;; amdgpu-corpus repo=ROCm/AMDMIGraphX kind=compiled arch=gfx1030 opt=O3
	.text
	.amdgcn_target "amdgcn-amd-amdhsa--gfx1030"
	.amdhsa_code_object_version 6
	.p2align	2                               ; -- Begin function _ZNK8migraphx13basic_printerIZNS_4coutEvEUlT_E_ElsEPKc
	.type	_ZNK8migraphx13basic_printerIZNS_4coutEvEUlT_E_ElsEPKc,@function
_ZNK8migraphx13basic_printerIZNS_4coutEvEUlT_E_ElsEPKc: ; @_ZNK8migraphx13basic_printerIZNS_4coutEvEUlT_E_ElsEPKc
; %bb.0:
	s_waitcnt vmcnt(0) expcnt(0) lgkmcnt(0)
	s_load_dwordx2 s[6:7], s[8:9], 0x50
	v_mbcnt_lo_u32_b32 v33, -1, 0
	v_mov_b32_e32 v8, 0
	v_mov_b32_e32 v9, 0
	v_readfirstlane_b32 s4, v33
	v_cmp_eq_u32_e64 s4, s4, v33
	s_and_saveexec_b32 s5, s4
	s_cbranch_execz .LBB0_6
; %bb.1:
	v_mov_b32_e32 v2, 0
	s_mov_b32 s8, exec_lo
	s_waitcnt lgkmcnt(0)
	global_load_dwordx2 v[5:6], v2, s[6:7] offset:24 glc dlc
	s_waitcnt vmcnt(0)
	buffer_gl1_inv
	buffer_gl0_inv
	s_clause 0x1
	global_load_dwordx2 v[3:4], v2, s[6:7] offset:40
	global_load_dwordx2 v[7:8], v2, s[6:7]
	s_waitcnt vmcnt(1)
	v_and_b32_e32 v4, v4, v6
	v_and_b32_e32 v3, v3, v5
	v_mul_lo_u32 v4, v4, 24
	v_mul_hi_u32 v9, v3, 24
	v_mul_lo_u32 v3, v3, 24
	v_add_nc_u32_e32 v4, v9, v4
	s_waitcnt vmcnt(0)
	v_add_co_u32 v3, vcc_lo, v7, v3
	v_add_co_ci_u32_e32 v4, vcc_lo, v8, v4, vcc_lo
	global_load_dwordx2 v[3:4], v[3:4], off glc dlc
	s_waitcnt vmcnt(0)
	global_atomic_cmpswap_x2 v[8:9], v2, v[3:6], s[6:7] offset:24 glc
	s_waitcnt vmcnt(0)
	buffer_gl1_inv
	buffer_gl0_inv
	v_cmpx_ne_u64_e64 v[8:9], v[5:6]
	s_cbranch_execz .LBB0_5
; %bb.2:
	s_mov_b32 s9, 0
	.p2align	6
.LBB0_3:                                ; =>This Inner Loop Header: Depth=1
	s_sleep 1
	s_clause 0x1
	global_load_dwordx2 v[3:4], v2, s[6:7] offset:40
	global_load_dwordx2 v[10:11], v2, s[6:7]
	v_mov_b32_e32 v5, v8
	v_mov_b32_e32 v6, v9
	s_waitcnt vmcnt(1)
	v_and_b32_e32 v3, v3, v5
	v_and_b32_e32 v4, v4, v6
	s_waitcnt vmcnt(0)
	v_mad_u64_u32 v[7:8], null, v3, 24, v[10:11]
	v_mov_b32_e32 v3, v8
	v_mad_u64_u32 v[3:4], null, v4, 24, v[3:4]
	v_mov_b32_e32 v8, v3
	global_load_dwordx2 v[3:4], v[7:8], off glc dlc
	s_waitcnt vmcnt(0)
	global_atomic_cmpswap_x2 v[8:9], v2, v[3:6], s[6:7] offset:24 glc
	s_waitcnt vmcnt(0)
	buffer_gl1_inv
	buffer_gl0_inv
	v_cmp_eq_u64_e32 vcc_lo, v[8:9], v[5:6]
	s_or_b32 s9, vcc_lo, s9
	s_andn2_b32 exec_lo, exec_lo, s9
	s_cbranch_execnz .LBB0_3
; %bb.4:
	s_or_b32 exec_lo, exec_lo, s9
.LBB0_5:
	s_or_b32 exec_lo, exec_lo, s8
.LBB0_6:
	s_or_b32 exec_lo, exec_lo, s5
	v_mov_b32_e32 v7, 0
	v_readfirstlane_b32 s8, v8
	v_readfirstlane_b32 s9, v9
	s_mov_b32 s5, exec_lo
	s_waitcnt lgkmcnt(0)
	s_clause 0x1
	global_load_dwordx2 v[10:11], v7, s[6:7] offset:40
	global_load_dwordx4 v[2:5], v7, s[6:7]
	s_waitcnt vmcnt(1)
	v_readfirstlane_b32 s10, v10
	v_readfirstlane_b32 s11, v11
	s_and_b64 s[10:11], s[8:9], s[10:11]
	s_mul_i32 s12, s11, 24
	s_mul_hi_u32 s13, s10, 24
	s_mul_i32 s14, s10, 24
	s_add_i32 s13, s13, s12
	s_waitcnt vmcnt(0)
	v_add_co_u32 v10, vcc_lo, v2, s14
	v_add_co_ci_u32_e32 v11, vcc_lo, s13, v3, vcc_lo
	s_and_saveexec_b32 s12, s4
	s_cbranch_execz .LBB0_8
; %bb.7:
	v_mov_b32_e32 v6, s5
	v_mov_b32_e32 v8, 2
	;; [unrolled: 1-line block ×3, first 2 shown]
	global_store_dwordx4 v[10:11], v[6:9], off offset:8
.LBB0_8:
	s_or_b32 exec_lo, exec_lo, s12
	s_lshl_b64 s[10:11], s[10:11], 12
	v_lshlrev_b32_e32 v32, 6, v33
	v_add_co_u32 v4, vcc_lo, v4, s10
	v_add_co_ci_u32_e32 v5, vcc_lo, s11, v5, vcc_lo
	s_mov_b32 s12, 0
	v_add_co_u32 v12, vcc_lo, v4, v32
	s_mov_b32 s15, s12
	s_mov_b32 s13, s12
	;; [unrolled: 1-line block ×3, first 2 shown]
	v_mov_b32_e32 v6, 33
	v_mov_b32_e32 v8, v7
	;; [unrolled: 1-line block ×3, first 2 shown]
	v_readfirstlane_b32 s10, v4
	v_readfirstlane_b32 s11, v5
	v_mov_b32_e32 v17, s15
	v_add_co_ci_u32_e32 v13, vcc_lo, 0, v5, vcc_lo
	v_mov_b32_e32 v16, s14
	v_mov_b32_e32 v15, s13
	;; [unrolled: 1-line block ×3, first 2 shown]
	global_store_dwordx4 v32, v[6:9], s[10:11]
	global_store_dwordx4 v32, v[14:17], s[10:11] offset:16
	global_store_dwordx4 v32, v[14:17], s[10:11] offset:32
	;; [unrolled: 1-line block ×3, first 2 shown]
	s_and_saveexec_b32 s5, s4
	s_cbranch_execz .LBB0_16
; %bb.9:
	v_mov_b32_e32 v8, 0
	v_mov_b32_e32 v14, s8
	;; [unrolled: 1-line block ×3, first 2 shown]
	s_mov_b32 s10, exec_lo
	s_clause 0x1
	global_load_dwordx2 v[16:17], v8, s[6:7] offset:32 glc dlc
	global_load_dwordx2 v[4:5], v8, s[6:7] offset:40
	s_waitcnt vmcnt(0)
	v_and_b32_e32 v5, s9, v5
	v_and_b32_e32 v4, s8, v4
	v_mul_lo_u32 v5, v5, 24
	v_mul_hi_u32 v6, v4, 24
	v_mul_lo_u32 v4, v4, 24
	v_add_nc_u32_e32 v5, v6, v5
	v_add_co_u32 v6, vcc_lo, v2, v4
	v_add_co_ci_u32_e32 v7, vcc_lo, v3, v5, vcc_lo
	global_store_dwordx2 v[6:7], v[16:17], off
	s_waitcnt_vscnt null, 0x0
	global_atomic_cmpswap_x2 v[4:5], v8, v[14:17], s[6:7] offset:32 glc
	s_waitcnt vmcnt(0)
	v_cmpx_ne_u64_e64 v[4:5], v[16:17]
	s_cbranch_execz .LBB0_12
; %bb.10:
	s_mov_b32 s11, 0
.LBB0_11:                               ; =>This Inner Loop Header: Depth=1
	v_mov_b32_e32 v2, s8
	v_mov_b32_e32 v3, s9
	s_sleep 1
	global_store_dwordx2 v[6:7], v[4:5], off
	s_waitcnt_vscnt null, 0x0
	global_atomic_cmpswap_x2 v[2:3], v8, v[2:5], s[6:7] offset:32 glc
	s_waitcnt vmcnt(0)
	v_cmp_eq_u64_e32 vcc_lo, v[2:3], v[4:5]
	v_mov_b32_e32 v5, v3
	v_mov_b32_e32 v4, v2
	s_or_b32 s11, vcc_lo, s11
	s_andn2_b32 exec_lo, exec_lo, s11
	s_cbranch_execnz .LBB0_11
.LBB0_12:
	s_or_b32 exec_lo, exec_lo, s10
	v_mov_b32_e32 v5, 0
	s_mov_b32 s11, exec_lo
	s_mov_b32 s10, exec_lo
	v_mbcnt_lo_u32_b32 v4, s11, 0
	global_load_dwordx2 v[2:3], v5, s[6:7] offset:16
	v_cmpx_eq_u32_e32 0, v4
	s_cbranch_execz .LBB0_14
; %bb.13:
	s_bcnt1_i32_b32 s11, s11
	v_mov_b32_e32 v4, s11
	s_waitcnt vmcnt(0)
	global_atomic_add_x2 v[2:3], v[4:5], off offset:8
.LBB0_14:
	s_or_b32 exec_lo, exec_lo, s10
	s_waitcnt vmcnt(0)
	global_load_dwordx2 v[4:5], v[2:3], off offset:16
	s_waitcnt vmcnt(0)
	v_cmp_eq_u64_e32 vcc_lo, 0, v[4:5]
	s_cbranch_vccnz .LBB0_16
; %bb.15:
	global_load_dword v2, v[2:3], off offset:24
	v_mov_b32_e32 v3, 0
	s_waitcnt vmcnt(0)
	v_and_b32_e32 v6, 0x7fffff, v2
	s_waitcnt_vscnt null, 0x0
	global_store_dwordx2 v[4:5], v[2:3], off
	v_readfirstlane_b32 m0, v6
	s_sendmsg sendmsg(MSG_INTERRUPT)
.LBB0_16:
	s_or_b32 exec_lo, exec_lo, s5
	s_branch .LBB0_20
	.p2align	6
.LBB0_17:                               ;   in Loop: Header=BB0_20 Depth=1
	s_or_b32 exec_lo, exec_lo, s5
	v_readfirstlane_b32 s5, v2
	s_cmp_eq_u32 s5, 0
	s_cbranch_scc1 .LBB0_19
; %bb.18:                               ;   in Loop: Header=BB0_20 Depth=1
	s_sleep 1
	s_cbranch_execnz .LBB0_20
	s_branch .LBB0_22
	.p2align	6
.LBB0_19:
	s_branch .LBB0_22
.LBB0_20:                               ; =>This Inner Loop Header: Depth=1
	v_mov_b32_e32 v2, 1
	s_and_saveexec_b32 s5, s4
	s_cbranch_execz .LBB0_17
; %bb.21:                               ;   in Loop: Header=BB0_20 Depth=1
	global_load_dword v2, v[10:11], off offset:20 glc dlc
	s_waitcnt vmcnt(0)
	buffer_gl1_inv
	buffer_gl0_inv
	v_and_b32_e32 v2, 1, v2
	s_branch .LBB0_17
.LBB0_22:
	global_load_dwordx2 v[6:7], v[12:13], off
	s_and_saveexec_b32 s5, s4
	s_cbranch_execz .LBB0_26
; %bb.23:
	v_mov_b32_e32 v10, 0
	s_clause 0x2
	global_load_dwordx2 v[4:5], v10, s[6:7] offset:40
	global_load_dwordx2 v[11:12], v10, s[6:7] offset:24 glc dlc
	global_load_dwordx2 v[8:9], v10, s[6:7]
	s_waitcnt vmcnt(2)
	v_add_co_u32 v13, vcc_lo, v4, 1
	v_add_co_ci_u32_e32 v14, vcc_lo, 0, v5, vcc_lo
	v_add_co_u32 v2, vcc_lo, v13, s8
	v_add_co_ci_u32_e32 v3, vcc_lo, s9, v14, vcc_lo
	v_cmp_eq_u64_e32 vcc_lo, 0, v[2:3]
	v_cndmask_b32_e32 v3, v3, v14, vcc_lo
	v_cndmask_b32_e32 v2, v2, v13, vcc_lo
	v_and_b32_e32 v5, v3, v5
	v_and_b32_e32 v4, v2, v4
	v_mul_lo_u32 v5, v5, 24
	v_mul_hi_u32 v13, v4, 24
	v_mul_lo_u32 v4, v4, 24
	v_add_nc_u32_e32 v5, v13, v5
	s_waitcnt vmcnt(0)
	v_add_co_u32 v8, vcc_lo, v8, v4
	v_mov_b32_e32 v4, v11
	v_add_co_ci_u32_e32 v9, vcc_lo, v9, v5, vcc_lo
	v_mov_b32_e32 v5, v12
	global_store_dwordx2 v[8:9], v[11:12], off
	s_waitcnt_vscnt null, 0x0
	global_atomic_cmpswap_x2 v[4:5], v10, v[2:5], s[6:7] offset:24 glc
	s_waitcnt vmcnt(0)
	v_cmp_ne_u64_e32 vcc_lo, v[4:5], v[11:12]
	s_and_b32 exec_lo, exec_lo, vcc_lo
	s_cbranch_execz .LBB0_26
; %bb.24:
	s_mov_b32 s4, 0
.LBB0_25:                               ; =>This Inner Loop Header: Depth=1
	s_sleep 1
	global_store_dwordx2 v[8:9], v[4:5], off
	s_waitcnt_vscnt null, 0x0
	global_atomic_cmpswap_x2 v[11:12], v10, v[2:5], s[6:7] offset:24 glc
	s_waitcnt vmcnt(0)
	v_cmp_eq_u64_e32 vcc_lo, v[11:12], v[4:5]
	v_mov_b32_e32 v4, v11
	v_mov_b32_e32 v5, v12
	s_or_b32 s4, vcc_lo, s4
	s_andn2_b32 exec_lo, exec_lo, s4
	s_cbranch_execnz .LBB0_25
.LBB0_26:
	s_or_b32 exec_lo, exec_lo, s5
	s_getpc_b64 s[8:9]
	s_add_u32 s8, s8, .str.5@rel32@lo+4
	s_addc_u32 s9, s9, .str.5@rel32@hi+12
	s_cmp_lg_u64 s[8:9], 0
	s_cbranch_scc0 .LBB0_105
; %bb.27:
	s_waitcnt vmcnt(0)
	v_and_b32_e32 v30, 2, v6
	v_mov_b32_e32 v9, 0
	v_and_b32_e32 v2, -3, v6
	v_mov_b32_e32 v3, v7
	v_mov_b32_e32 v10, 2
	;; [unrolled: 1-line block ×3, first 2 shown]
	s_mov_b64 s[10:11], 3
	s_branch .LBB0_29
.LBB0_28:                               ;   in Loop: Header=BB0_29 Depth=1
	s_or_b32 exec_lo, exec_lo, s5
	s_sub_u32 s10, s10, s12
	s_subb_u32 s11, s11, s13
	s_add_u32 s8, s8, s12
	s_addc_u32 s9, s9, s13
	s_cmp_lg_u64 s[10:11], 0
	s_cbranch_scc0 .LBB0_104
.LBB0_29:                               ; =>This Loop Header: Depth=1
                                        ;     Child Loop BB0_38 Depth 2
                                        ;     Child Loop BB0_34 Depth 2
	;; [unrolled: 1-line block ×11, first 2 shown]
	v_cmp_lt_u64_e64 s4, s[10:11], 56
	v_cmp_gt_u64_e64 s5, s[10:11], 7
                                        ; implicit-def: $vgpr4_vgpr5
                                        ; implicit-def: $sgpr18
	s_and_b32 s4, s4, exec_lo
	s_cselect_b32 s13, s11, 0
	s_cselect_b32 s12, s10, 56
	s_and_b32 vcc_lo, exec_lo, s5
	s_mov_b32 s4, -1
	s_cbranch_vccz .LBB0_36
; %bb.30:                               ;   in Loop: Header=BB0_29 Depth=1
	s_andn2_b32 vcc_lo, exec_lo, s4
	s_mov_b64 s[4:5], s[8:9]
	s_cbranch_vccz .LBB0_40
.LBB0_31:                               ;   in Loop: Header=BB0_29 Depth=1
	s_cmp_gt_u32 s18, 7
	s_cbranch_scc1 .LBB0_41
.LBB0_32:                               ;   in Loop: Header=BB0_29 Depth=1
	v_mov_b32_e32 v12, 0
	v_mov_b32_e32 v13, 0
	s_cmp_eq_u32 s18, 0
	s_cbranch_scc1 .LBB0_35
; %bb.33:                               ;   in Loop: Header=BB0_29 Depth=1
	s_mov_b64 s[14:15], 0
	s_mov_b64 s[16:17], 0
.LBB0_34:                               ;   Parent Loop BB0_29 Depth=1
                                        ; =>  This Inner Loop Header: Depth=2
	s_add_u32 s20, s4, s16
	s_addc_u32 s21, s5, s17
	s_add_u32 s16, s16, 1
	global_load_ubyte v8, v9, s[20:21]
	s_addc_u32 s17, s17, 0
	s_waitcnt vmcnt(0)
	v_and_b32_e32 v8, 0xffff, v8
	v_lshlrev_b64 v[14:15], s14, v[8:9]
	s_add_u32 s14, s14, 8
	s_addc_u32 s15, s15, 0
	s_cmp_lg_u32 s18, s16
	v_or_b32_e32 v12, v14, v12
	v_or_b32_e32 v13, v15, v13
	s_cbranch_scc1 .LBB0_34
.LBB0_35:                               ;   in Loop: Header=BB0_29 Depth=1
	s_mov_b32 s19, 0
	s_cbranch_execz .LBB0_42
	s_branch .LBB0_43
.LBB0_36:                               ;   in Loop: Header=BB0_29 Depth=1
	s_waitcnt vmcnt(0)
	v_mov_b32_e32 v4, 0
	v_mov_b32_e32 v5, 0
	s_cmp_eq_u64 s[10:11], 0
	s_mov_b64 s[4:5], 0
	s_cbranch_scc1 .LBB0_39
; %bb.37:                               ;   in Loop: Header=BB0_29 Depth=1
	v_mov_b32_e32 v4, 0
	v_mov_b32_e32 v5, 0
	s_lshl_b64 s[14:15], s[12:13], 3
	s_mov_b64 s[16:17], s[8:9]
.LBB0_38:                               ;   Parent Loop BB0_29 Depth=1
                                        ; =>  This Inner Loop Header: Depth=2
	global_load_ubyte v8, v9, s[16:17]
	s_waitcnt vmcnt(0)
	v_and_b32_e32 v8, 0xffff, v8
	v_lshlrev_b64 v[12:13], s4, v[8:9]
	s_add_u32 s4, s4, 8
	s_addc_u32 s5, s5, 0
	s_add_u32 s16, s16, 1
	s_addc_u32 s17, s17, 0
	s_cmp_lg_u32 s14, s4
	v_or_b32_e32 v4, v12, v4
	v_or_b32_e32 v5, v13, v5
	s_cbranch_scc1 .LBB0_38
.LBB0_39:                               ;   in Loop: Header=BB0_29 Depth=1
	s_mov_b32 s18, 0
	s_mov_b64 s[4:5], s[8:9]
	s_cbranch_execnz .LBB0_31
.LBB0_40:                               ;   in Loop: Header=BB0_29 Depth=1
	global_load_dwordx2 v[4:5], v9, s[8:9]
	s_add_i32 s18, s12, -8
	s_add_u32 s4, s8, 8
	s_addc_u32 s5, s9, 0
	s_cmp_gt_u32 s18, 7
	s_cbranch_scc0 .LBB0_32
.LBB0_41:                               ;   in Loop: Header=BB0_29 Depth=1
                                        ; implicit-def: $vgpr12_vgpr13
                                        ; implicit-def: $sgpr19
.LBB0_42:                               ;   in Loop: Header=BB0_29 Depth=1
	global_load_dwordx2 v[12:13], v9, s[4:5]
	s_add_i32 s19, s18, -8
	s_add_u32 s4, s4, 8
	s_addc_u32 s5, s5, 0
.LBB0_43:                               ;   in Loop: Header=BB0_29 Depth=1
	s_cmp_gt_u32 s19, 7
	s_cbranch_scc1 .LBB0_48
; %bb.44:                               ;   in Loop: Header=BB0_29 Depth=1
	v_mov_b32_e32 v14, 0
	v_mov_b32_e32 v15, 0
	s_cmp_eq_u32 s19, 0
	s_cbranch_scc1 .LBB0_47
; %bb.45:                               ;   in Loop: Header=BB0_29 Depth=1
	s_mov_b64 s[14:15], 0
	s_mov_b64 s[16:17], 0
.LBB0_46:                               ;   Parent Loop BB0_29 Depth=1
                                        ; =>  This Inner Loop Header: Depth=2
	s_add_u32 s20, s4, s16
	s_addc_u32 s21, s5, s17
	s_add_u32 s16, s16, 1
	global_load_ubyte v8, v9, s[20:21]
	s_addc_u32 s17, s17, 0
	s_waitcnt vmcnt(0)
	v_and_b32_e32 v8, 0xffff, v8
	v_lshlrev_b64 v[16:17], s14, v[8:9]
	s_add_u32 s14, s14, 8
	s_addc_u32 s15, s15, 0
	s_cmp_lg_u32 s19, s16
	v_or_b32_e32 v14, v16, v14
	v_or_b32_e32 v15, v17, v15
	s_cbranch_scc1 .LBB0_46
.LBB0_47:                               ;   in Loop: Header=BB0_29 Depth=1
	s_mov_b32 s18, 0
	s_cbranch_execz .LBB0_49
	s_branch .LBB0_50
.LBB0_48:                               ;   in Loop: Header=BB0_29 Depth=1
                                        ; implicit-def: $sgpr18
.LBB0_49:                               ;   in Loop: Header=BB0_29 Depth=1
	global_load_dwordx2 v[14:15], v9, s[4:5]
	s_add_i32 s18, s19, -8
	s_add_u32 s4, s4, 8
	s_addc_u32 s5, s5, 0
.LBB0_50:                               ;   in Loop: Header=BB0_29 Depth=1
	s_cmp_gt_u32 s18, 7
	s_cbranch_scc1 .LBB0_55
; %bb.51:                               ;   in Loop: Header=BB0_29 Depth=1
	v_mov_b32_e32 v16, 0
	v_mov_b32_e32 v17, 0
	s_cmp_eq_u32 s18, 0
	s_cbranch_scc1 .LBB0_54
; %bb.52:                               ;   in Loop: Header=BB0_29 Depth=1
	s_mov_b64 s[14:15], 0
	s_mov_b64 s[16:17], 0
.LBB0_53:                               ;   Parent Loop BB0_29 Depth=1
                                        ; =>  This Inner Loop Header: Depth=2
	s_add_u32 s20, s4, s16
	s_addc_u32 s21, s5, s17
	s_add_u32 s16, s16, 1
	global_load_ubyte v8, v9, s[20:21]
	s_addc_u32 s17, s17, 0
	s_waitcnt vmcnt(0)
	v_and_b32_e32 v8, 0xffff, v8
	v_lshlrev_b64 v[18:19], s14, v[8:9]
	s_add_u32 s14, s14, 8
	s_addc_u32 s15, s15, 0
	s_cmp_lg_u32 s18, s16
	v_or_b32_e32 v16, v18, v16
	v_or_b32_e32 v17, v19, v17
	s_cbranch_scc1 .LBB0_53
.LBB0_54:                               ;   in Loop: Header=BB0_29 Depth=1
	s_mov_b32 s19, 0
	s_cbranch_execz .LBB0_56
	s_branch .LBB0_57
.LBB0_55:                               ;   in Loop: Header=BB0_29 Depth=1
                                        ; implicit-def: $vgpr16_vgpr17
                                        ; implicit-def: $sgpr19
.LBB0_56:                               ;   in Loop: Header=BB0_29 Depth=1
	global_load_dwordx2 v[16:17], v9, s[4:5]
	s_add_i32 s19, s18, -8
	s_add_u32 s4, s4, 8
	s_addc_u32 s5, s5, 0
.LBB0_57:                               ;   in Loop: Header=BB0_29 Depth=1
	s_cmp_gt_u32 s19, 7
	s_cbranch_scc1 .LBB0_62
; %bb.58:                               ;   in Loop: Header=BB0_29 Depth=1
	v_mov_b32_e32 v18, 0
	v_mov_b32_e32 v19, 0
	s_cmp_eq_u32 s19, 0
	s_cbranch_scc1 .LBB0_61
; %bb.59:                               ;   in Loop: Header=BB0_29 Depth=1
	s_mov_b64 s[14:15], 0
	s_mov_b64 s[16:17], 0
.LBB0_60:                               ;   Parent Loop BB0_29 Depth=1
                                        ; =>  This Inner Loop Header: Depth=2
	s_add_u32 s20, s4, s16
	s_addc_u32 s21, s5, s17
	s_add_u32 s16, s16, 1
	global_load_ubyte v8, v9, s[20:21]
	s_addc_u32 s17, s17, 0
	s_waitcnt vmcnt(0)
	v_and_b32_e32 v8, 0xffff, v8
	v_lshlrev_b64 v[20:21], s14, v[8:9]
	s_add_u32 s14, s14, 8
	s_addc_u32 s15, s15, 0
	s_cmp_lg_u32 s19, s16
	v_or_b32_e32 v18, v20, v18
	v_or_b32_e32 v19, v21, v19
	s_cbranch_scc1 .LBB0_60
.LBB0_61:                               ;   in Loop: Header=BB0_29 Depth=1
	s_mov_b32 s18, 0
	s_cbranch_execz .LBB0_63
	s_branch .LBB0_64
.LBB0_62:                               ;   in Loop: Header=BB0_29 Depth=1
                                        ; implicit-def: $sgpr18
.LBB0_63:                               ;   in Loop: Header=BB0_29 Depth=1
	global_load_dwordx2 v[18:19], v9, s[4:5]
	s_add_i32 s18, s19, -8
	s_add_u32 s4, s4, 8
	s_addc_u32 s5, s5, 0
.LBB0_64:                               ;   in Loop: Header=BB0_29 Depth=1
	s_cmp_gt_u32 s18, 7
	s_cbranch_scc1 .LBB0_69
; %bb.65:                               ;   in Loop: Header=BB0_29 Depth=1
	v_mov_b32_e32 v20, 0
	v_mov_b32_e32 v21, 0
	s_cmp_eq_u32 s18, 0
	s_cbranch_scc1 .LBB0_68
; %bb.66:                               ;   in Loop: Header=BB0_29 Depth=1
	s_mov_b64 s[14:15], 0
	s_mov_b64 s[16:17], 0
.LBB0_67:                               ;   Parent Loop BB0_29 Depth=1
                                        ; =>  This Inner Loop Header: Depth=2
	s_add_u32 s20, s4, s16
	s_addc_u32 s21, s5, s17
	s_add_u32 s16, s16, 1
	global_load_ubyte v8, v9, s[20:21]
	s_addc_u32 s17, s17, 0
	s_waitcnt vmcnt(0)
	v_and_b32_e32 v8, 0xffff, v8
	v_lshlrev_b64 v[22:23], s14, v[8:9]
	s_add_u32 s14, s14, 8
	s_addc_u32 s15, s15, 0
	s_cmp_lg_u32 s18, s16
	v_or_b32_e32 v20, v22, v20
	v_or_b32_e32 v21, v23, v21
	s_cbranch_scc1 .LBB0_67
.LBB0_68:                               ;   in Loop: Header=BB0_29 Depth=1
	s_mov_b32 s19, 0
	s_cbranch_execz .LBB0_70
	s_branch .LBB0_71
.LBB0_69:                               ;   in Loop: Header=BB0_29 Depth=1
                                        ; implicit-def: $vgpr20_vgpr21
                                        ; implicit-def: $sgpr19
.LBB0_70:                               ;   in Loop: Header=BB0_29 Depth=1
	global_load_dwordx2 v[20:21], v9, s[4:5]
	s_add_i32 s19, s18, -8
	s_add_u32 s4, s4, 8
	s_addc_u32 s5, s5, 0
.LBB0_71:                               ;   in Loop: Header=BB0_29 Depth=1
	s_cmp_gt_u32 s19, 7
	s_cbranch_scc1 .LBB0_76
; %bb.72:                               ;   in Loop: Header=BB0_29 Depth=1
	v_mov_b32_e32 v22, 0
	v_mov_b32_e32 v23, 0
	s_cmp_eq_u32 s19, 0
	s_cbranch_scc1 .LBB0_75
; %bb.73:                               ;   in Loop: Header=BB0_29 Depth=1
	s_mov_b64 s[14:15], 0
	s_mov_b64 s[16:17], s[4:5]
.LBB0_74:                               ;   Parent Loop BB0_29 Depth=1
                                        ; =>  This Inner Loop Header: Depth=2
	global_load_ubyte v8, v9, s[16:17]
	s_add_i32 s19, s19, -1
	s_waitcnt vmcnt(0)
	v_and_b32_e32 v8, 0xffff, v8
	v_lshlrev_b64 v[24:25], s14, v[8:9]
	s_add_u32 s14, s14, 8
	s_addc_u32 s15, s15, 0
	s_add_u32 s16, s16, 1
	s_addc_u32 s17, s17, 0
	s_cmp_lg_u32 s19, 0
	v_or_b32_e32 v22, v24, v22
	v_or_b32_e32 v23, v25, v23
	s_cbranch_scc1 .LBB0_74
.LBB0_75:                               ;   in Loop: Header=BB0_29 Depth=1
	s_cbranch_execz .LBB0_77
	s_branch .LBB0_78
.LBB0_76:                               ;   in Loop: Header=BB0_29 Depth=1
.LBB0_77:                               ;   in Loop: Header=BB0_29 Depth=1
	global_load_dwordx2 v[22:23], v9, s[4:5]
.LBB0_78:                               ;   in Loop: Header=BB0_29 Depth=1
	v_readfirstlane_b32 s4, v33
	v_mov_b32_e32 v28, 0
	v_mov_b32_e32 v29, 0
	v_cmp_eq_u32_e64 s4, s4, v33
	s_and_saveexec_b32 s5, s4
	s_cbranch_execz .LBB0_84
; %bb.79:                               ;   in Loop: Header=BB0_29 Depth=1
	global_load_dwordx2 v[26:27], v9, s[6:7] offset:24 glc dlc
	s_waitcnt vmcnt(0)
	buffer_gl1_inv
	buffer_gl0_inv
	s_clause 0x1
	global_load_dwordx2 v[24:25], v9, s[6:7] offset:40
	global_load_dwordx2 v[28:29], v9, s[6:7]
	s_mov_b32 s14, exec_lo
	s_waitcnt vmcnt(1)
	v_and_b32_e32 v8, v25, v27
	v_and_b32_e32 v24, v24, v26
	v_mul_lo_u32 v8, v8, 24
	v_mul_hi_u32 v25, v24, 24
	v_mul_lo_u32 v24, v24, 24
	v_add_nc_u32_e32 v8, v25, v8
	s_waitcnt vmcnt(0)
	v_add_co_u32 v24, vcc_lo, v28, v24
	v_add_co_ci_u32_e32 v25, vcc_lo, v29, v8, vcc_lo
	global_load_dwordx2 v[24:25], v[24:25], off glc dlc
	s_waitcnt vmcnt(0)
	global_atomic_cmpswap_x2 v[28:29], v9, v[24:27], s[6:7] offset:24 glc
	s_waitcnt vmcnt(0)
	buffer_gl1_inv
	buffer_gl0_inv
	v_cmpx_ne_u64_e64 v[28:29], v[26:27]
	s_cbranch_execz .LBB0_83
; %bb.80:                               ;   in Loop: Header=BB0_29 Depth=1
	s_mov_b32 s15, 0
	.p2align	6
.LBB0_81:                               ;   Parent Loop BB0_29 Depth=1
                                        ; =>  This Inner Loop Header: Depth=2
	s_sleep 1
	s_clause 0x1
	global_load_dwordx2 v[24:25], v9, s[6:7] offset:40
	global_load_dwordx2 v[34:35], v9, s[6:7]
	v_mov_b32_e32 v26, v28
	v_mov_b32_e32 v27, v29
	s_waitcnt vmcnt(1)
	v_and_b32_e32 v8, v24, v26
	v_and_b32_e32 v24, v25, v27
	s_waitcnt vmcnt(0)
	v_mad_u64_u32 v[28:29], null, v8, 24, v[34:35]
	v_mov_b32_e32 v8, v29
	v_mad_u64_u32 v[24:25], null, v24, 24, v[8:9]
	v_mov_b32_e32 v29, v24
	global_load_dwordx2 v[24:25], v[28:29], off glc dlc
	s_waitcnt vmcnt(0)
	global_atomic_cmpswap_x2 v[28:29], v9, v[24:27], s[6:7] offset:24 glc
	s_waitcnt vmcnt(0)
	buffer_gl1_inv
	buffer_gl0_inv
	v_cmp_eq_u64_e32 vcc_lo, v[28:29], v[26:27]
	s_or_b32 s15, vcc_lo, s15
	s_andn2_b32 exec_lo, exec_lo, s15
	s_cbranch_execnz .LBB0_81
; %bb.82:                               ;   in Loop: Header=BB0_29 Depth=1
	s_or_b32 exec_lo, exec_lo, s15
.LBB0_83:                               ;   in Loop: Header=BB0_29 Depth=1
	s_or_b32 exec_lo, exec_lo, s14
.LBB0_84:                               ;   in Loop: Header=BB0_29 Depth=1
	s_or_b32 exec_lo, exec_lo, s5
	s_clause 0x1
	global_load_dwordx2 v[34:35], v9, s[6:7] offset:40
	global_load_dwordx4 v[24:27], v9, s[6:7]
	v_readfirstlane_b32 s14, v28
	v_readfirstlane_b32 s15, v29
	s_mov_b32 s5, exec_lo
	s_waitcnt vmcnt(1)
	v_readfirstlane_b32 s16, v34
	v_readfirstlane_b32 s17, v35
	s_and_b64 s[16:17], s[14:15], s[16:17]
	s_mul_i32 s18, s17, 24
	s_mul_hi_u32 s19, s16, 24
	s_mul_i32 s20, s16, 24
	s_add_i32 s19, s19, s18
	s_waitcnt vmcnt(0)
	v_add_co_u32 v28, vcc_lo, v24, s20
	v_add_co_ci_u32_e32 v29, vcc_lo, s19, v25, vcc_lo
	s_and_saveexec_b32 s18, s4
	s_cbranch_execz .LBB0_86
; %bb.85:                               ;   in Loop: Header=BB0_29 Depth=1
	v_mov_b32_e32 v8, s5
	global_store_dwordx4 v[28:29], v[8:11], off offset:8
.LBB0_86:                               ;   in Loop: Header=BB0_29 Depth=1
	s_or_b32 exec_lo, exec_lo, s18
	s_lshl_b64 s[16:17], s[16:17], 12
	v_cmp_gt_u64_e64 vcc_lo, s[10:11], 56
	v_or_b32_e32 v31, v2, v30
	v_add_co_u32 v26, s5, v26, s16
	v_add_co_ci_u32_e64 v27, s5, s17, v27, s5
	s_lshl_b32 s5, s12, 2
	v_or_b32_e32 v8, 0, v3
	v_cndmask_b32_e32 v2, v31, v2, vcc_lo
	s_add_i32 s5, s5, 28
	v_readfirstlane_b32 s16, v26
	s_and_b32 s5, s5, 0x1e0
	v_cndmask_b32_e32 v3, v8, v3, vcc_lo
	v_readfirstlane_b32 s17, v27
	v_and_or_b32 v2, 0xffffff1f, v2, s5
	global_store_dwordx4 v32, v[2:5], s[16:17]
	global_store_dwordx4 v32, v[12:15], s[16:17] offset:16
	global_store_dwordx4 v32, v[16:19], s[16:17] offset:32
	;; [unrolled: 1-line block ×3, first 2 shown]
	s_and_saveexec_b32 s5, s4
	s_cbranch_execz .LBB0_94
; %bb.87:                               ;   in Loop: Header=BB0_29 Depth=1
	s_clause 0x1
	global_load_dwordx2 v[16:17], v9, s[6:7] offset:32 glc dlc
	global_load_dwordx2 v[2:3], v9, s[6:7] offset:40
	v_mov_b32_e32 v14, s14
	v_mov_b32_e32 v15, s15
	s_waitcnt vmcnt(0)
	v_readfirstlane_b32 s16, v2
	v_readfirstlane_b32 s17, v3
	s_and_b64 s[16:17], s[16:17], s[14:15]
	s_mul_i32 s17, s17, 24
	s_mul_hi_u32 s18, s16, 24
	s_mul_i32 s16, s16, 24
	s_add_i32 s18, s18, s17
	v_add_co_u32 v12, vcc_lo, v24, s16
	v_add_co_ci_u32_e32 v13, vcc_lo, s18, v25, vcc_lo
	s_mov_b32 s16, exec_lo
	global_store_dwordx2 v[12:13], v[16:17], off
	s_waitcnt_vscnt null, 0x0
	global_atomic_cmpswap_x2 v[4:5], v9, v[14:17], s[6:7] offset:32 glc
	s_waitcnt vmcnt(0)
	v_cmpx_ne_u64_e64 v[4:5], v[16:17]
	s_cbranch_execz .LBB0_90
; %bb.88:                               ;   in Loop: Header=BB0_29 Depth=1
	s_mov_b32 s17, 0
.LBB0_89:                               ;   Parent Loop BB0_29 Depth=1
                                        ; =>  This Inner Loop Header: Depth=2
	v_mov_b32_e32 v2, s14
	v_mov_b32_e32 v3, s15
	s_sleep 1
	global_store_dwordx2 v[12:13], v[4:5], off
	s_waitcnt_vscnt null, 0x0
	global_atomic_cmpswap_x2 v[2:3], v9, v[2:5], s[6:7] offset:32 glc
	s_waitcnt vmcnt(0)
	v_cmp_eq_u64_e32 vcc_lo, v[2:3], v[4:5]
	v_mov_b32_e32 v5, v3
	v_mov_b32_e32 v4, v2
	s_or_b32 s17, vcc_lo, s17
	s_andn2_b32 exec_lo, exec_lo, s17
	s_cbranch_execnz .LBB0_89
.LBB0_90:                               ;   in Loop: Header=BB0_29 Depth=1
	s_or_b32 exec_lo, exec_lo, s16
	global_load_dwordx2 v[2:3], v9, s[6:7] offset:16
	s_mov_b32 s17, exec_lo
	s_mov_b32 s16, exec_lo
	v_mbcnt_lo_u32_b32 v4, s17, 0
	v_cmpx_eq_u32_e32 0, v4
	s_cbranch_execz .LBB0_92
; %bb.91:                               ;   in Loop: Header=BB0_29 Depth=1
	s_bcnt1_i32_b32 s17, s17
	v_mov_b32_e32 v8, s17
	s_waitcnt vmcnt(0)
	global_atomic_add_x2 v[2:3], v[8:9], off offset:8
.LBB0_92:                               ;   in Loop: Header=BB0_29 Depth=1
	s_or_b32 exec_lo, exec_lo, s16
	s_waitcnt vmcnt(0)
	global_load_dwordx2 v[4:5], v[2:3], off offset:16
	s_waitcnt vmcnt(0)
	v_cmp_eq_u64_e32 vcc_lo, 0, v[4:5]
	s_cbranch_vccnz .LBB0_94
; %bb.93:                               ;   in Loop: Header=BB0_29 Depth=1
	global_load_dword v8, v[2:3], off offset:24
	s_waitcnt vmcnt(0)
	v_and_b32_e32 v2, 0x7fffff, v8
	s_waitcnt_vscnt null, 0x0
	global_store_dwordx2 v[4:5], v[8:9], off
	v_readfirstlane_b32 m0, v2
	s_sendmsg sendmsg(MSG_INTERRUPT)
.LBB0_94:                               ;   in Loop: Header=BB0_29 Depth=1
	s_or_b32 exec_lo, exec_lo, s5
	v_add_co_u32 v2, vcc_lo, v26, v32
	v_add_co_ci_u32_e32 v3, vcc_lo, 0, v27, vcc_lo
	s_branch .LBB0_98
	.p2align	6
.LBB0_95:                               ;   in Loop: Header=BB0_98 Depth=2
	s_or_b32 exec_lo, exec_lo, s5
	v_readfirstlane_b32 s5, v4
	s_cmp_eq_u32 s5, 0
	s_cbranch_scc1 .LBB0_97
; %bb.96:                               ;   in Loop: Header=BB0_98 Depth=2
	s_sleep 1
	s_cbranch_execnz .LBB0_98
	s_branch .LBB0_100
	.p2align	6
.LBB0_97:                               ;   in Loop: Header=BB0_29 Depth=1
	s_branch .LBB0_100
.LBB0_98:                               ;   Parent Loop BB0_29 Depth=1
                                        ; =>  This Inner Loop Header: Depth=2
	v_mov_b32_e32 v4, 1
	s_and_saveexec_b32 s5, s4
	s_cbranch_execz .LBB0_95
; %bb.99:                               ;   in Loop: Header=BB0_98 Depth=2
	global_load_dword v4, v[28:29], off offset:20 glc dlc
	s_waitcnt vmcnt(0)
	buffer_gl1_inv
	buffer_gl0_inv
	v_and_b32_e32 v4, 1, v4
	s_branch .LBB0_95
.LBB0_100:                              ;   in Loop: Header=BB0_29 Depth=1
	global_load_dwordx4 v[2:5], v[2:3], off
	s_and_saveexec_b32 s5, s4
	s_cbranch_execz .LBB0_28
; %bb.101:                              ;   in Loop: Header=BB0_29 Depth=1
	s_clause 0x2
	global_load_dwordx2 v[4:5], v9, s[6:7] offset:40
	global_load_dwordx2 v[16:17], v9, s[6:7] offset:24 glc dlc
	global_load_dwordx2 v[14:15], v9, s[6:7]
	s_waitcnt vmcnt(2)
	v_add_co_u32 v8, vcc_lo, v4, 1
	v_add_co_ci_u32_e32 v18, vcc_lo, 0, v5, vcc_lo
	v_add_co_u32 v12, vcc_lo, v8, s14
	v_add_co_ci_u32_e32 v13, vcc_lo, s15, v18, vcc_lo
	v_cmp_eq_u64_e32 vcc_lo, 0, v[12:13]
	v_cndmask_b32_e32 v13, v13, v18, vcc_lo
	v_cndmask_b32_e32 v12, v12, v8, vcc_lo
	v_and_b32_e32 v5, v13, v5
	v_and_b32_e32 v4, v12, v4
	v_mul_lo_u32 v5, v5, 24
	v_mul_hi_u32 v8, v4, 24
	v_mul_lo_u32 v4, v4, 24
	v_add_nc_u32_e32 v5, v8, v5
	s_waitcnt vmcnt(0)
	v_add_co_u32 v4, vcc_lo, v14, v4
	v_mov_b32_e32 v14, v16
	v_add_co_ci_u32_e32 v5, vcc_lo, v15, v5, vcc_lo
	v_mov_b32_e32 v15, v17
	global_store_dwordx2 v[4:5], v[16:17], off
	s_waitcnt_vscnt null, 0x0
	global_atomic_cmpswap_x2 v[14:15], v9, v[12:15], s[6:7] offset:24 glc
	s_waitcnt vmcnt(0)
	v_cmp_ne_u64_e32 vcc_lo, v[14:15], v[16:17]
	s_and_b32 exec_lo, exec_lo, vcc_lo
	s_cbranch_execz .LBB0_28
; %bb.102:                              ;   in Loop: Header=BB0_29 Depth=1
	s_mov_b32 s4, 0
.LBB0_103:                              ;   Parent Loop BB0_29 Depth=1
                                        ; =>  This Inner Loop Header: Depth=2
	s_sleep 1
	global_store_dwordx2 v[4:5], v[14:15], off
	s_waitcnt_vscnt null, 0x0
	global_atomic_cmpswap_x2 v[16:17], v9, v[12:15], s[6:7] offset:24 glc
	s_waitcnt vmcnt(0)
	v_cmp_eq_u64_e32 vcc_lo, v[16:17], v[14:15]
	v_mov_b32_e32 v14, v16
	v_mov_b32_e32 v15, v17
	s_or_b32 s4, vcc_lo, s4
	s_andn2_b32 exec_lo, exec_lo, s4
	s_cbranch_execnz .LBB0_103
	s_branch .LBB0_28
.LBB0_104:
	s_branch .LBB0_133
.LBB0_105:
                                        ; implicit-def: $vgpr2_vgpr3
	s_cbranch_execz .LBB0_133
; %bb.106:
	v_readfirstlane_b32 s4, v33
	v_mov_b32_e32 v9, 0
	v_mov_b32_e32 v10, 0
	v_cmp_eq_u32_e64 s4, s4, v33
	s_and_saveexec_b32 s5, s4
	s_cbranch_execz .LBB0_112
; %bb.107:
	s_waitcnt vmcnt(0)
	v_mov_b32_e32 v2, 0
	s_mov_b32 s8, exec_lo
	global_load_dwordx2 v[11:12], v2, s[6:7] offset:24 glc dlc
	s_waitcnt vmcnt(0)
	buffer_gl1_inv
	buffer_gl0_inv
	s_clause 0x1
	global_load_dwordx2 v[3:4], v2, s[6:7] offset:40
	global_load_dwordx2 v[8:9], v2, s[6:7]
	s_waitcnt vmcnt(1)
	v_and_b32_e32 v4, v4, v12
	v_and_b32_e32 v3, v3, v11
	v_mul_lo_u32 v4, v4, 24
	v_mul_hi_u32 v5, v3, 24
	v_mul_lo_u32 v3, v3, 24
	v_add_nc_u32_e32 v4, v5, v4
	s_waitcnt vmcnt(0)
	v_add_co_u32 v3, vcc_lo, v8, v3
	v_add_co_ci_u32_e32 v4, vcc_lo, v9, v4, vcc_lo
	global_load_dwordx2 v[9:10], v[3:4], off glc dlc
	s_waitcnt vmcnt(0)
	global_atomic_cmpswap_x2 v[9:10], v2, v[9:12], s[6:7] offset:24 glc
	s_waitcnt vmcnt(0)
	buffer_gl1_inv
	buffer_gl0_inv
	v_cmpx_ne_u64_e64 v[9:10], v[11:12]
	s_cbranch_execz .LBB0_111
; %bb.108:
	s_mov_b32 s9, 0
	.p2align	6
.LBB0_109:                              ; =>This Inner Loop Header: Depth=1
	s_sleep 1
	s_clause 0x1
	global_load_dwordx2 v[3:4], v2, s[6:7] offset:40
	global_load_dwordx2 v[13:14], v2, s[6:7]
	v_mov_b32_e32 v12, v10
	v_mov_b32_e32 v11, v9
	s_waitcnt vmcnt(1)
	v_and_b32_e32 v3, v3, v11
	v_and_b32_e32 v4, v4, v12
	s_waitcnt vmcnt(0)
	v_mad_u64_u32 v[8:9], null, v3, 24, v[13:14]
	v_mov_b32_e32 v3, v9
	v_mad_u64_u32 v[3:4], null, v4, 24, v[3:4]
	v_mov_b32_e32 v9, v3
	global_load_dwordx2 v[9:10], v[8:9], off glc dlc
	s_waitcnt vmcnt(0)
	global_atomic_cmpswap_x2 v[9:10], v2, v[9:12], s[6:7] offset:24 glc
	s_waitcnt vmcnt(0)
	buffer_gl1_inv
	buffer_gl0_inv
	v_cmp_eq_u64_e32 vcc_lo, v[9:10], v[11:12]
	s_or_b32 s9, vcc_lo, s9
	s_andn2_b32 exec_lo, exec_lo, s9
	s_cbranch_execnz .LBB0_109
; %bb.110:
	s_or_b32 exec_lo, exec_lo, s9
.LBB0_111:
	s_or_b32 exec_lo, exec_lo, s8
.LBB0_112:
	s_or_b32 exec_lo, exec_lo, s5
	v_mov_b32_e32 v8, 0
	v_readfirstlane_b32 s8, v9
	v_readfirstlane_b32 s9, v10
	s_mov_b32 s5, exec_lo
	s_clause 0x1
	global_load_dwordx2 v[11:12], v8, s[6:7] offset:40
	global_load_dwordx4 v[2:5], v8, s[6:7]
	s_waitcnt vmcnt(1)
	v_readfirstlane_b32 s10, v11
	v_readfirstlane_b32 s11, v12
	s_and_b64 s[10:11], s[8:9], s[10:11]
	s_mul_i32 s12, s11, 24
	s_mul_hi_u32 s13, s10, 24
	s_mul_i32 s14, s10, 24
	s_add_i32 s13, s13, s12
	s_waitcnt vmcnt(0)
	v_add_co_u32 v10, vcc_lo, v2, s14
	v_add_co_ci_u32_e32 v11, vcc_lo, s13, v3, vcc_lo
	s_and_saveexec_b32 s12, s4
	s_cbranch_execz .LBB0_114
; %bb.113:
	v_mov_b32_e32 v12, s5
	v_mov_b32_e32 v13, v8
	;; [unrolled: 1-line block ×4, first 2 shown]
	global_store_dwordx4 v[10:11], v[12:15], off offset:8
.LBB0_114:
	s_or_b32 exec_lo, exec_lo, s12
	s_lshl_b64 s[10:11], s[10:11], 12
	s_mov_b32 s12, 0
	v_add_co_u32 v4, vcc_lo, v4, s10
	v_add_co_ci_u32_e32 v5, vcc_lo, s11, v5, vcc_lo
	s_mov_b32 s15, s12
	v_add_co_u32 v12, vcc_lo, v4, v32
	s_mov_b32 s13, s12
	s_mov_b32 s14, s12
	v_and_or_b32 v6, 0xffffff1f, v6, 32
	v_mov_b32_e32 v9, v8
	v_readfirstlane_b32 s10, v4
	v_readfirstlane_b32 s11, v5
	v_mov_b32_e32 v17, s15
	v_add_co_ci_u32_e32 v13, vcc_lo, 0, v5, vcc_lo
	v_mov_b32_e32 v16, s14
	v_mov_b32_e32 v15, s13
	;; [unrolled: 1-line block ×3, first 2 shown]
	global_store_dwordx4 v32, v[6:9], s[10:11]
	global_store_dwordx4 v32, v[14:17], s[10:11] offset:16
	global_store_dwordx4 v32, v[14:17], s[10:11] offset:32
	;; [unrolled: 1-line block ×3, first 2 shown]
	s_and_saveexec_b32 s5, s4
	s_cbranch_execz .LBB0_122
; %bb.115:
	v_mov_b32_e32 v8, 0
	v_mov_b32_e32 v14, s8
	;; [unrolled: 1-line block ×3, first 2 shown]
	s_clause 0x1
	global_load_dwordx2 v[16:17], v8, s[6:7] offset:32 glc dlc
	global_load_dwordx2 v[4:5], v8, s[6:7] offset:40
	s_waitcnt vmcnt(0)
	v_readfirstlane_b32 s10, v4
	v_readfirstlane_b32 s11, v5
	s_and_b64 s[10:11], s[10:11], s[8:9]
	s_mul_i32 s11, s11, 24
	s_mul_hi_u32 s12, s10, 24
	s_mul_i32 s10, s10, 24
	s_add_i32 s12, s12, s11
	v_add_co_u32 v6, vcc_lo, v2, s10
	v_add_co_ci_u32_e32 v7, vcc_lo, s12, v3, vcc_lo
	s_mov_b32 s10, exec_lo
	global_store_dwordx2 v[6:7], v[16:17], off
	s_waitcnt_vscnt null, 0x0
	global_atomic_cmpswap_x2 v[4:5], v8, v[14:17], s[6:7] offset:32 glc
	s_waitcnt vmcnt(0)
	v_cmpx_ne_u64_e64 v[4:5], v[16:17]
	s_cbranch_execz .LBB0_118
; %bb.116:
	s_mov_b32 s11, 0
.LBB0_117:                              ; =>This Inner Loop Header: Depth=1
	v_mov_b32_e32 v2, s8
	v_mov_b32_e32 v3, s9
	s_sleep 1
	global_store_dwordx2 v[6:7], v[4:5], off
	s_waitcnt_vscnt null, 0x0
	global_atomic_cmpswap_x2 v[2:3], v8, v[2:5], s[6:7] offset:32 glc
	s_waitcnt vmcnt(0)
	v_cmp_eq_u64_e32 vcc_lo, v[2:3], v[4:5]
	v_mov_b32_e32 v5, v3
	v_mov_b32_e32 v4, v2
	s_or_b32 s11, vcc_lo, s11
	s_andn2_b32 exec_lo, exec_lo, s11
	s_cbranch_execnz .LBB0_117
.LBB0_118:
	s_or_b32 exec_lo, exec_lo, s10
	v_mov_b32_e32 v5, 0
	s_mov_b32 s11, exec_lo
	s_mov_b32 s10, exec_lo
	v_mbcnt_lo_u32_b32 v4, s11, 0
	global_load_dwordx2 v[2:3], v5, s[6:7] offset:16
	v_cmpx_eq_u32_e32 0, v4
	s_cbranch_execz .LBB0_120
; %bb.119:
	s_bcnt1_i32_b32 s11, s11
	v_mov_b32_e32 v4, s11
	s_waitcnt vmcnt(0)
	global_atomic_add_x2 v[2:3], v[4:5], off offset:8
.LBB0_120:
	s_or_b32 exec_lo, exec_lo, s10
	s_waitcnt vmcnt(0)
	global_load_dwordx2 v[4:5], v[2:3], off offset:16
	s_waitcnt vmcnt(0)
	v_cmp_eq_u64_e32 vcc_lo, 0, v[4:5]
	s_cbranch_vccnz .LBB0_122
; %bb.121:
	global_load_dword v2, v[2:3], off offset:24
	v_mov_b32_e32 v3, 0
	s_waitcnt vmcnt(0)
	v_and_b32_e32 v6, 0x7fffff, v2
	s_waitcnt_vscnt null, 0x0
	global_store_dwordx2 v[4:5], v[2:3], off
	v_readfirstlane_b32 m0, v6
	s_sendmsg sendmsg(MSG_INTERRUPT)
.LBB0_122:
	s_or_b32 exec_lo, exec_lo, s5
	s_branch .LBB0_126
	.p2align	6
.LBB0_123:                              ;   in Loop: Header=BB0_126 Depth=1
	s_or_b32 exec_lo, exec_lo, s5
	v_readfirstlane_b32 s5, v2
	s_cmp_eq_u32 s5, 0
	s_cbranch_scc1 .LBB0_125
; %bb.124:                              ;   in Loop: Header=BB0_126 Depth=1
	s_sleep 1
	s_cbranch_execnz .LBB0_126
	s_branch .LBB0_128
	.p2align	6
.LBB0_125:
	s_branch .LBB0_128
.LBB0_126:                              ; =>This Inner Loop Header: Depth=1
	v_mov_b32_e32 v2, 1
	s_and_saveexec_b32 s5, s4
	s_cbranch_execz .LBB0_123
; %bb.127:                              ;   in Loop: Header=BB0_126 Depth=1
	global_load_dword v2, v[10:11], off offset:20 glc dlc
	s_waitcnt vmcnt(0)
	buffer_gl1_inv
	buffer_gl0_inv
	v_and_b32_e32 v2, 1, v2
	s_branch .LBB0_123
.LBB0_128:
	global_load_dwordx2 v[2:3], v[12:13], off
	s_and_saveexec_b32 s5, s4
	s_cbranch_execz .LBB0_132
; %bb.129:
	v_mov_b32_e32 v10, 0
	s_clause 0x2
	global_load_dwordx2 v[6:7], v10, s[6:7] offset:40
	global_load_dwordx2 v[11:12], v10, s[6:7] offset:24 glc dlc
	global_load_dwordx2 v[8:9], v10, s[6:7]
	s_waitcnt vmcnt(2)
	v_add_co_u32 v13, vcc_lo, v6, 1
	v_add_co_ci_u32_e32 v14, vcc_lo, 0, v7, vcc_lo
	v_add_co_u32 v4, vcc_lo, v13, s8
	v_add_co_ci_u32_e32 v5, vcc_lo, s9, v14, vcc_lo
	v_cmp_eq_u64_e32 vcc_lo, 0, v[4:5]
	v_cndmask_b32_e32 v5, v5, v14, vcc_lo
	v_cndmask_b32_e32 v4, v4, v13, vcc_lo
	v_and_b32_e32 v7, v5, v7
	v_and_b32_e32 v6, v4, v6
	v_mul_lo_u32 v7, v7, 24
	v_mul_hi_u32 v13, v6, 24
	v_mul_lo_u32 v6, v6, 24
	v_add_nc_u32_e32 v7, v13, v7
	s_waitcnt vmcnt(0)
	v_add_co_u32 v8, vcc_lo, v8, v6
	v_mov_b32_e32 v6, v11
	v_add_co_ci_u32_e32 v9, vcc_lo, v9, v7, vcc_lo
	v_mov_b32_e32 v7, v12
	global_store_dwordx2 v[8:9], v[11:12], off
	s_waitcnt_vscnt null, 0x0
	global_atomic_cmpswap_x2 v[6:7], v10, v[4:7], s[6:7] offset:24 glc
	s_waitcnt vmcnt(0)
	v_cmp_ne_u64_e32 vcc_lo, v[6:7], v[11:12]
	s_and_b32 exec_lo, exec_lo, vcc_lo
	s_cbranch_execz .LBB0_132
; %bb.130:
	s_mov_b32 s4, 0
.LBB0_131:                              ; =>This Inner Loop Header: Depth=1
	s_sleep 1
	global_store_dwordx2 v[8:9], v[6:7], off
	s_waitcnt_vscnt null, 0x0
	global_atomic_cmpswap_x2 v[11:12], v10, v[4:7], s[6:7] offset:24 glc
	s_waitcnt vmcnt(0)
	v_cmp_eq_u64_e32 vcc_lo, v[11:12], v[6:7]
	v_mov_b32_e32 v6, v11
	v_mov_b32_e32 v7, v12
	s_or_b32 s4, vcc_lo, s4
	s_andn2_b32 exec_lo, exec_lo, s4
	s_cbranch_execnz .LBB0_131
.LBB0_132:
	s_or_b32 exec_lo, exec_lo, s5
.LBB0_133:
	v_cmp_ne_u64_e32 vcc_lo, 0, v[0:1]
	v_mov_b32_e32 v26, 0
	v_mov_b32_e32 v27, 0
	s_and_saveexec_b32 s5, vcc_lo
	s_cbranch_execnz .LBB0_158
; %bb.134:
	s_or_b32 exec_lo, exec_lo, s5
	s_and_saveexec_b32 s4, vcc_lo
	s_xor_b32 s12, exec_lo, s4
	s_cbranch_execnz .LBB0_161
.LBB0_135:
	s_andn2_saveexec_b32 s5, s12
	s_cbranch_execz .LBB0_251
.LBB0_136:
	v_readfirstlane_b32 s4, v33
	v_mov_b32_e32 v0, 0
	v_mov_b32_e32 v1, 0
	v_cmp_eq_u32_e64 s4, s4, v33
	s_and_saveexec_b32 s8, s4
	s_cbranch_execz .LBB0_142
; %bb.137:
	s_waitcnt vmcnt(0)
	v_mov_b32_e32 v4, 0
	s_mov_b32 s9, exec_lo
	global_load_dwordx2 v[7:8], v4, s[6:7] offset:24 glc dlc
	s_waitcnt vmcnt(0)
	buffer_gl1_inv
	buffer_gl0_inv
	s_clause 0x1
	global_load_dwordx2 v[0:1], v4, s[6:7] offset:40
	global_load_dwordx2 v[5:6], v4, s[6:7]
	s_waitcnt vmcnt(1)
	v_and_b32_e32 v1, v1, v8
	v_and_b32_e32 v0, v0, v7
	v_mul_lo_u32 v1, v1, 24
	v_mul_hi_u32 v9, v0, 24
	v_mul_lo_u32 v0, v0, 24
	v_add_nc_u32_e32 v1, v9, v1
	s_waitcnt vmcnt(0)
	v_add_co_u32 v0, vcc_lo, v5, v0
	v_add_co_ci_u32_e32 v1, vcc_lo, v6, v1, vcc_lo
	global_load_dwordx2 v[5:6], v[0:1], off glc dlc
	s_waitcnt vmcnt(0)
	global_atomic_cmpswap_x2 v[0:1], v4, v[5:8], s[6:7] offset:24 glc
	s_waitcnt vmcnt(0)
	buffer_gl1_inv
	buffer_gl0_inv
	v_cmpx_ne_u64_e64 v[0:1], v[7:8]
	s_cbranch_execz .LBB0_141
; %bb.138:
	s_mov_b32 s10, 0
	.p2align	6
.LBB0_139:                              ; =>This Inner Loop Header: Depth=1
	s_sleep 1
	s_clause 0x1
	global_load_dwordx2 v[5:6], v4, s[6:7] offset:40
	global_load_dwordx2 v[9:10], v4, s[6:7]
	v_mov_b32_e32 v8, v1
	v_mov_b32_e32 v7, v0
	s_waitcnt vmcnt(1)
	v_and_b32_e32 v0, v5, v7
	v_and_b32_e32 v5, v6, v8
	s_waitcnt vmcnt(0)
	v_mad_u64_u32 v[0:1], null, v0, 24, v[9:10]
	v_mad_u64_u32 v[5:6], null, v5, 24, v[1:2]
	v_mov_b32_e32 v1, v5
	global_load_dwordx2 v[5:6], v[0:1], off glc dlc
	s_waitcnt vmcnt(0)
	global_atomic_cmpswap_x2 v[0:1], v4, v[5:8], s[6:7] offset:24 glc
	s_waitcnt vmcnt(0)
	buffer_gl1_inv
	buffer_gl0_inv
	v_cmp_eq_u64_e32 vcc_lo, v[0:1], v[7:8]
	s_or_b32 s10, vcc_lo, s10
	s_andn2_b32 exec_lo, exec_lo, s10
	s_cbranch_execnz .LBB0_139
; %bb.140:
	s_or_b32 exec_lo, exec_lo, s10
.LBB0_141:
	s_or_b32 exec_lo, exec_lo, s9
.LBB0_142:
	s_or_b32 exec_lo, exec_lo, s8
	s_waitcnt vmcnt(0)
	v_mov_b32_e32 v4, 0
	v_readfirstlane_b32 s8, v0
	v_readfirstlane_b32 s9, v1
	s_mov_b32 s12, exec_lo
	s_clause 0x1
	global_load_dwordx2 v[10:11], v4, s[6:7] offset:40
	global_load_dwordx4 v[6:9], v4, s[6:7]
	s_waitcnt vmcnt(1)
	v_readfirstlane_b32 s10, v10
	v_readfirstlane_b32 s11, v11
	s_and_b64 s[10:11], s[8:9], s[10:11]
	s_mul_i32 s13, s11, 24
	s_mul_hi_u32 s14, s10, 24
	s_mul_i32 s15, s10, 24
	s_add_i32 s14, s14, s13
	s_waitcnt vmcnt(0)
	v_add_co_u32 v10, vcc_lo, v6, s15
	v_add_co_ci_u32_e32 v11, vcc_lo, s14, v7, vcc_lo
	s_and_saveexec_b32 s13, s4
	s_cbranch_execz .LBB0_144
; %bb.143:
	v_mov_b32_e32 v12, s12
	v_mov_b32_e32 v13, v4
	;; [unrolled: 1-line block ×4, first 2 shown]
	global_store_dwordx4 v[10:11], v[12:15], off offset:8
.LBB0_144:
	s_or_b32 exec_lo, exec_lo, s13
	s_lshl_b64 s[10:11], s[10:11], 12
	s_mov_b32 s12, 0
	v_add_co_u32 v0, vcc_lo, v8, s10
	v_add_co_ci_u32_e32 v1, vcc_lo, s11, v9, vcc_lo
	s_mov_b32 s13, s12
	s_mov_b32 s14, s12
	;; [unrolled: 1-line block ×3, first 2 shown]
	v_and_or_b32 v2, 0xffffff1d, v2, 34
	v_mov_b32_e32 v5, v4
	v_readfirstlane_b32 s10, v0
	v_readfirstlane_b32 s11, v1
	v_mov_b32_e32 v12, s12
	v_mov_b32_e32 v13, s13
	v_mov_b32_e32 v14, s14
	v_mov_b32_e32 v15, s15
	global_store_dwordx4 v32, v[2:5], s[10:11]
	global_store_dwordx4 v32, v[12:15], s[10:11] offset:16
	global_store_dwordx4 v32, v[12:15], s[10:11] offset:32
	;; [unrolled: 1-line block ×3, first 2 shown]
	s_and_saveexec_b32 s10, s4
	s_cbranch_execz .LBB0_152
; %bb.145:
	v_mov_b32_e32 v8, 0
	v_mov_b32_e32 v12, s8
	;; [unrolled: 1-line block ×3, first 2 shown]
	s_clause 0x1
	global_load_dwordx2 v[14:15], v8, s[6:7] offset:32 glc dlc
	global_load_dwordx2 v[0:1], v8, s[6:7] offset:40
	s_waitcnt vmcnt(0)
	v_readfirstlane_b32 s12, v0
	v_readfirstlane_b32 s13, v1
	s_and_b64 s[12:13], s[12:13], s[8:9]
	s_mul_i32 s11, s13, 24
	s_mul_hi_u32 s13, s12, 24
	s_mul_i32 s12, s12, 24
	s_add_i32 s13, s13, s11
	v_add_co_u32 v4, vcc_lo, v6, s12
	v_add_co_ci_u32_e32 v5, vcc_lo, s13, v7, vcc_lo
	s_mov_b32 s11, exec_lo
	global_store_dwordx2 v[4:5], v[14:15], off
	s_waitcnt_vscnt null, 0x0
	global_atomic_cmpswap_x2 v[2:3], v8, v[12:15], s[6:7] offset:32 glc
	s_waitcnt vmcnt(0)
	v_cmpx_ne_u64_e64 v[2:3], v[14:15]
	s_cbranch_execz .LBB0_148
; %bb.146:
	s_mov_b32 s12, 0
.LBB0_147:                              ; =>This Inner Loop Header: Depth=1
	v_mov_b32_e32 v0, s8
	v_mov_b32_e32 v1, s9
	s_sleep 1
	global_store_dwordx2 v[4:5], v[2:3], off
	s_waitcnt_vscnt null, 0x0
	global_atomic_cmpswap_x2 v[0:1], v8, v[0:3], s[6:7] offset:32 glc
	s_waitcnt vmcnt(0)
	v_cmp_eq_u64_e32 vcc_lo, v[0:1], v[2:3]
	v_mov_b32_e32 v3, v1
	v_mov_b32_e32 v2, v0
	s_or_b32 s12, vcc_lo, s12
	s_andn2_b32 exec_lo, exec_lo, s12
	s_cbranch_execnz .LBB0_147
.LBB0_148:
	s_or_b32 exec_lo, exec_lo, s11
	v_mov_b32_e32 v3, 0
	s_mov_b32 s12, exec_lo
	s_mov_b32 s11, exec_lo
	v_mbcnt_lo_u32_b32 v2, s12, 0
	global_load_dwordx2 v[0:1], v3, s[6:7] offset:16
	v_cmpx_eq_u32_e32 0, v2
	s_cbranch_execz .LBB0_150
; %bb.149:
	s_bcnt1_i32_b32 s12, s12
	v_mov_b32_e32 v2, s12
	s_waitcnt vmcnt(0)
	global_atomic_add_x2 v[0:1], v[2:3], off offset:8
.LBB0_150:
	s_or_b32 exec_lo, exec_lo, s11
	s_waitcnt vmcnt(0)
	global_load_dwordx2 v[2:3], v[0:1], off offset:16
	s_waitcnt vmcnt(0)
	v_cmp_eq_u64_e32 vcc_lo, 0, v[2:3]
	s_cbranch_vccnz .LBB0_152
; %bb.151:
	global_load_dword v0, v[0:1], off offset:24
	v_mov_b32_e32 v1, 0
	s_waitcnt vmcnt(0)
	v_and_b32_e32 v4, 0x7fffff, v0
	s_waitcnt_vscnt null, 0x0
	global_store_dwordx2 v[2:3], v[0:1], off
	v_readfirstlane_b32 m0, v4
	s_sendmsg sendmsg(MSG_INTERRUPT)
.LBB0_152:
	s_or_b32 exec_lo, exec_lo, s10
	s_branch .LBB0_156
	.p2align	6
.LBB0_153:                              ;   in Loop: Header=BB0_156 Depth=1
	s_or_b32 exec_lo, exec_lo, s10
	v_readfirstlane_b32 s10, v0
	s_cmp_eq_u32 s10, 0
	s_cbranch_scc1 .LBB0_155
; %bb.154:                              ;   in Loop: Header=BB0_156 Depth=1
	s_sleep 1
	s_cbranch_execnz .LBB0_156
	s_branch .LBB0_245
	.p2align	6
.LBB0_155:
	s_branch .LBB0_245
.LBB0_156:                              ; =>This Inner Loop Header: Depth=1
	v_mov_b32_e32 v0, 1
	s_and_saveexec_b32 s10, s4
	s_cbranch_execz .LBB0_153
; %bb.157:                              ;   in Loop: Header=BB0_156 Depth=1
	global_load_dword v0, v[10:11], off offset:20 glc dlc
	s_waitcnt vmcnt(0)
	buffer_gl1_inv
	buffer_gl0_inv
	v_and_b32_e32 v0, 1, v0
	s_branch .LBB0_153
.LBB0_158:
	s_waitcnt vmcnt(0)
	v_add_co_u32 v4, s4, v0, -1
	v_add_co_ci_u32_e64 v5, s4, -1, v1, s4
	s_mov_b32 s8, 0
.LBB0_159:                              ; =>This Inner Loop Header: Depth=1
	flat_load_ubyte v8, v[4:5] offset:1
	v_add_co_u32 v6, s4, v4, 1
	v_add_co_ci_u32_e64 v7, s4, 0, v5, s4
	v_mov_b32_e32 v4, v6
	v_mov_b32_e32 v5, v7
	s_waitcnt vmcnt(0) lgkmcnt(0)
	v_cmp_eq_u16_e64 s4, 0, v8
	s_or_b32 s8, s4, s8
	s_andn2_b32 exec_lo, exec_lo, s8
	s_cbranch_execnz .LBB0_159
; %bb.160:
	s_or_b32 exec_lo, exec_lo, s8
	v_sub_co_u32 v4, s4, v6, v0
	v_sub_co_ci_u32_e64 v5, s4, v7, v1, s4
	v_add_co_u32 v26, s4, v4, 1
	v_add_co_ci_u32_e64 v27, s4, 0, v5, s4
	s_or_b32 exec_lo, exec_lo, s5
	s_and_saveexec_b32 s4, vcc_lo
	s_xor_b32 s12, exec_lo, s4
	s_cbranch_execz .LBB0_135
.LBB0_161:
	s_waitcnt vmcnt(0)
	v_and_b32_e32 v2, -3, v2
	v_mov_b32_e32 v7, 0
	v_mov_b32_e32 v8, 2
	;; [unrolled: 1-line block ×3, first 2 shown]
	s_mov_b32 s14, 0
	s_mov_b32 s13, 0
	s_branch .LBB0_163
.LBB0_162:                              ;   in Loop: Header=BB0_163 Depth=1
	s_or_b32 exec_lo, exec_lo, s5
	v_sub_co_u32 v26, vcc_lo, v26, v28
	v_sub_co_ci_u32_e32 v27, vcc_lo, v27, v29, vcc_lo
	v_add_co_u32 v0, s4, v0, v28
	v_add_co_ci_u32_e64 v1, s4, v1, v29, s4
	v_cmp_eq_u64_e32 vcc_lo, 0, v[26:27]
	s_or_b32 s13, vcc_lo, s13
	s_andn2_b32 exec_lo, exec_lo, s13
	s_cbranch_execz .LBB0_250
.LBB0_163:                              ; =>This Loop Header: Depth=1
                                        ;     Child Loop BB0_166 Depth 2
                                        ;     Child Loop BB0_174 Depth 2
	;; [unrolled: 1-line block ×11, first 2 shown]
	v_cmp_gt_u64_e32 vcc_lo, 56, v[26:27]
	s_mov_b32 s5, exec_lo
                                        ; implicit-def: $sgpr8
	v_cndmask_b32_e32 v29, 0, v27, vcc_lo
	v_cndmask_b32_e32 v28, 56, v26, vcc_lo
	v_cmpx_gt_u64_e32 8, v[26:27]
	s_xor_b32 s5, exec_lo, s5
	s_cbranch_execz .LBB0_169
; %bb.164:                              ;   in Loop: Header=BB0_163 Depth=1
	s_waitcnt vmcnt(0)
	v_mov_b32_e32 v4, 0
	v_mov_b32_e32 v5, 0
	s_mov_b64 s[8:9], 0
	s_mov_b32 s10, exec_lo
	v_cmpx_ne_u64_e32 0, v[26:27]
	s_cbranch_execz .LBB0_168
; %bb.165:                              ;   in Loop: Header=BB0_163 Depth=1
	v_lshlrev_b64 v[10:11], 3, v[28:29]
	v_mov_b32_e32 v4, 0
	v_mov_b32_e32 v12, v1
	;; [unrolled: 1-line block ×4, first 2 shown]
	s_mov_b32 s11, 0
	.p2align	6
.LBB0_166:                              ;   Parent Loop BB0_163 Depth=1
                                        ; =>  This Inner Loop Header: Depth=2
	flat_load_ubyte v6, v[11:12]
	v_mov_b32_e32 v14, s14
	v_add_co_u32 v11, vcc_lo, v11, 1
	v_add_co_ci_u32_e32 v12, vcc_lo, 0, v12, vcc_lo
	s_waitcnt vmcnt(0) lgkmcnt(0)
	v_and_b32_e32 v13, 0xffff, v6
	v_lshlrev_b64 v[13:14], s8, v[13:14]
	s_add_u32 s8, s8, 8
	s_addc_u32 s9, s9, 0
	v_cmp_eq_u32_e64 s4, s8, v10
	v_or_b32_e32 v5, v14, v5
	v_or_b32_e32 v4, v13, v4
	s_or_b32 s11, s4, s11
	s_andn2_b32 exec_lo, exec_lo, s11
	s_cbranch_execnz .LBB0_166
; %bb.167:                              ;   in Loop: Header=BB0_163 Depth=1
	s_or_b32 exec_lo, exec_lo, s11
.LBB0_168:                              ;   in Loop: Header=BB0_163 Depth=1
	s_or_b32 exec_lo, exec_lo, s10
	s_mov_b32 s8, 0
.LBB0_169:                              ;   in Loop: Header=BB0_163 Depth=1
	s_or_saveexec_b32 s4, s5
	v_mov_b32_e32 v23, v1
	v_mov_b32_e32 v6, s8
	;; [unrolled: 1-line block ×3, first 2 shown]
	s_xor_b32 exec_lo, exec_lo, s4
	s_cbranch_execz .LBB0_171
; %bb.170:                              ;   in Loop: Header=BB0_163 Depth=1
	s_waitcnt vmcnt(0)
	flat_load_dwordx2 v[4:5], v[0:1]
	v_add_co_u32 v22, vcc_lo, v0, 8
	v_add_co_ci_u32_e32 v23, vcc_lo, 0, v1, vcc_lo
	s_waitcnt vmcnt(0) lgkmcnt(0)
	v_and_b32_e32 v6, 0xff, v5
	v_and_b32_e32 v10, 0xff00, v5
	;; [unrolled: 1-line block ×4, first 2 shown]
	v_or3_b32 v4, v4, 0, 0
	v_or_b32_e32 v10, v6, v10
	v_add_nc_u32_e32 v6, -8, v28
	v_or3_b32 v5, v10, v11, v5
.LBB0_171:                              ;   in Loop: Header=BB0_163 Depth=1
	s_or_b32 exec_lo, exec_lo, s4
                                        ; implicit-def: $vgpr10_vgpr11
                                        ; implicit-def: $sgpr5
	s_mov_b32 s4, exec_lo
	v_cmpx_gt_u32_e32 8, v6
	s_xor_b32 s10, exec_lo, s4
	s_cbranch_execz .LBB0_177
; %bb.172:                              ;   in Loop: Header=BB0_163 Depth=1
	v_mov_b32_e32 v10, 0
	v_mov_b32_e32 v11, 0
	s_mov_b32 s11, exec_lo
	v_cmpx_ne_u32_e32 0, v6
	s_cbranch_execz .LBB0_176
; %bb.173:                              ;   in Loop: Header=BB0_163 Depth=1
	v_mov_b32_e32 v10, 0
	v_mov_b32_e32 v11, 0
	s_mov_b64 s[4:5], 0
	s_mov_b32 s15, 0
	s_mov_b64 s[8:9], 0
	.p2align	6
.LBB0_174:                              ;   Parent Loop BB0_163 Depth=1
                                        ; =>  This Inner Loop Header: Depth=2
	v_add_co_u32 v12, vcc_lo, v22, s8
	v_add_co_ci_u32_e32 v13, vcc_lo, s9, v23, vcc_lo
	s_add_u32 s8, s8, 1
	s_addc_u32 s9, s9, 0
	v_cmp_eq_u32_e32 vcc_lo, s8, v6
	flat_load_ubyte v12, v[12:13]
	v_mov_b32_e32 v13, s14
	s_waitcnt vmcnt(0) lgkmcnt(0)
	v_and_b32_e32 v12, 0xffff, v12
	v_lshlrev_b64 v[12:13], s4, v[12:13]
	s_add_u32 s4, s4, 8
	s_addc_u32 s5, s5, 0
	s_or_b32 s15, vcc_lo, s15
	v_or_b32_e32 v11, v13, v11
	v_or_b32_e32 v10, v12, v10
	s_andn2_b32 exec_lo, exec_lo, s15
	s_cbranch_execnz .LBB0_174
; %bb.175:                              ;   in Loop: Header=BB0_163 Depth=1
	s_or_b32 exec_lo, exec_lo, s15
.LBB0_176:                              ;   in Loop: Header=BB0_163 Depth=1
	s_or_b32 exec_lo, exec_lo, s11
	s_mov_b32 s5, 0
                                        ; implicit-def: $vgpr6
.LBB0_177:                              ;   in Loop: Header=BB0_163 Depth=1
	s_or_saveexec_b32 s4, s10
	v_mov_b32_e32 v14, s5
	s_xor_b32 exec_lo, exec_lo, s4
	s_cbranch_execz .LBB0_179
; %bb.178:                              ;   in Loop: Header=BB0_163 Depth=1
	flat_load_dwordx2 v[10:11], v[22:23]
	v_add_co_u32 v22, vcc_lo, v22, 8
	v_add_nc_u32_e32 v14, -8, v6
	v_add_co_ci_u32_e32 v23, vcc_lo, 0, v23, vcc_lo
	s_waitcnt vmcnt(0) lgkmcnt(0)
	v_and_b32_e32 v12, 0xff, v11
	v_and_b32_e32 v13, 0xff00, v11
	;; [unrolled: 1-line block ×4, first 2 shown]
	v_or3_b32 v10, v10, 0, 0
	v_or_b32_e32 v12, v12, v13
	v_or3_b32 v11, v12, v15, v11
.LBB0_179:                              ;   in Loop: Header=BB0_163 Depth=1
	s_or_b32 exec_lo, exec_lo, s4
                                        ; implicit-def: $sgpr5
	s_mov_b32 s4, exec_lo
	v_cmpx_gt_u32_e32 8, v14
	s_xor_b32 s10, exec_lo, s4
	s_cbranch_execz .LBB0_185
; %bb.180:                              ;   in Loop: Header=BB0_163 Depth=1
	v_mov_b32_e32 v12, 0
	v_mov_b32_e32 v13, 0
	s_mov_b32 s11, exec_lo
	v_cmpx_ne_u32_e32 0, v14
	s_cbranch_execz .LBB0_184
; %bb.181:                              ;   in Loop: Header=BB0_163 Depth=1
	v_mov_b32_e32 v12, 0
	v_mov_b32_e32 v13, 0
	s_mov_b64 s[4:5], 0
	s_mov_b32 s15, 0
	s_mov_b64 s[8:9], 0
	.p2align	6
.LBB0_182:                              ;   Parent Loop BB0_163 Depth=1
                                        ; =>  This Inner Loop Header: Depth=2
	v_add_co_u32 v15, vcc_lo, v22, s8
	v_add_co_ci_u32_e32 v16, vcc_lo, s9, v23, vcc_lo
	s_add_u32 s8, s8, 1
	s_addc_u32 s9, s9, 0
	v_cmp_eq_u32_e32 vcc_lo, s8, v14
	flat_load_ubyte v6, v[15:16]
	v_mov_b32_e32 v16, s14
	s_waitcnt vmcnt(0) lgkmcnt(0)
	v_and_b32_e32 v15, 0xffff, v6
	v_lshlrev_b64 v[15:16], s4, v[15:16]
	s_add_u32 s4, s4, 8
	s_addc_u32 s5, s5, 0
	s_or_b32 s15, vcc_lo, s15
	v_or_b32_e32 v13, v16, v13
	v_or_b32_e32 v12, v15, v12
	s_andn2_b32 exec_lo, exec_lo, s15
	s_cbranch_execnz .LBB0_182
; %bb.183:                              ;   in Loop: Header=BB0_163 Depth=1
	s_or_b32 exec_lo, exec_lo, s15
.LBB0_184:                              ;   in Loop: Header=BB0_163 Depth=1
	s_or_b32 exec_lo, exec_lo, s11
	s_mov_b32 s5, 0
                                        ; implicit-def: $vgpr14
.LBB0_185:                              ;   in Loop: Header=BB0_163 Depth=1
	s_or_saveexec_b32 s4, s10
	v_mov_b32_e32 v6, s5
	s_xor_b32 exec_lo, exec_lo, s4
	s_cbranch_execz .LBB0_187
; %bb.186:                              ;   in Loop: Header=BB0_163 Depth=1
	flat_load_dwordx2 v[12:13], v[22:23]
	v_add_co_u32 v22, vcc_lo, v22, 8
	v_add_co_ci_u32_e32 v23, vcc_lo, 0, v23, vcc_lo
	s_waitcnt vmcnt(0) lgkmcnt(0)
	v_and_b32_e32 v6, 0xff, v13
	v_and_b32_e32 v15, 0xff00, v13
	;; [unrolled: 1-line block ×4, first 2 shown]
	v_or3_b32 v12, v12, 0, 0
	v_or_b32_e32 v15, v6, v15
	v_add_nc_u32_e32 v6, -8, v14
	v_or3_b32 v13, v15, v16, v13
.LBB0_187:                              ;   in Loop: Header=BB0_163 Depth=1
	s_or_b32 exec_lo, exec_lo, s4
                                        ; implicit-def: $vgpr14_vgpr15
                                        ; implicit-def: $sgpr5
	s_mov_b32 s4, exec_lo
	v_cmpx_gt_u32_e32 8, v6
	s_xor_b32 s10, exec_lo, s4
	s_cbranch_execz .LBB0_193
; %bb.188:                              ;   in Loop: Header=BB0_163 Depth=1
	v_mov_b32_e32 v14, 0
	v_mov_b32_e32 v15, 0
	s_mov_b32 s11, exec_lo
	v_cmpx_ne_u32_e32 0, v6
	s_cbranch_execz .LBB0_192
; %bb.189:                              ;   in Loop: Header=BB0_163 Depth=1
	v_mov_b32_e32 v14, 0
	v_mov_b32_e32 v15, 0
	s_mov_b64 s[4:5], 0
	s_mov_b32 s15, 0
	s_mov_b64 s[8:9], 0
	.p2align	6
.LBB0_190:                              ;   Parent Loop BB0_163 Depth=1
                                        ; =>  This Inner Loop Header: Depth=2
	v_add_co_u32 v16, vcc_lo, v22, s8
	v_add_co_ci_u32_e32 v17, vcc_lo, s9, v23, vcc_lo
	s_add_u32 s8, s8, 1
	s_addc_u32 s9, s9, 0
	v_cmp_eq_u32_e32 vcc_lo, s8, v6
	flat_load_ubyte v16, v[16:17]
	v_mov_b32_e32 v17, s14
	s_waitcnt vmcnt(0) lgkmcnt(0)
	v_and_b32_e32 v16, 0xffff, v16
	v_lshlrev_b64 v[16:17], s4, v[16:17]
	s_add_u32 s4, s4, 8
	s_addc_u32 s5, s5, 0
	s_or_b32 s15, vcc_lo, s15
	v_or_b32_e32 v15, v17, v15
	v_or_b32_e32 v14, v16, v14
	s_andn2_b32 exec_lo, exec_lo, s15
	s_cbranch_execnz .LBB0_190
; %bb.191:                              ;   in Loop: Header=BB0_163 Depth=1
	s_or_b32 exec_lo, exec_lo, s15
.LBB0_192:                              ;   in Loop: Header=BB0_163 Depth=1
	s_or_b32 exec_lo, exec_lo, s11
	s_mov_b32 s5, 0
                                        ; implicit-def: $vgpr6
.LBB0_193:                              ;   in Loop: Header=BB0_163 Depth=1
	s_or_saveexec_b32 s4, s10
	v_mov_b32_e32 v18, s5
	s_xor_b32 exec_lo, exec_lo, s4
	s_cbranch_execz .LBB0_195
; %bb.194:                              ;   in Loop: Header=BB0_163 Depth=1
	flat_load_dwordx2 v[14:15], v[22:23]
	v_add_co_u32 v22, vcc_lo, v22, 8
	v_add_nc_u32_e32 v18, -8, v6
	v_add_co_ci_u32_e32 v23, vcc_lo, 0, v23, vcc_lo
	s_waitcnt vmcnt(0) lgkmcnt(0)
	v_and_b32_e32 v16, 0xff, v15
	v_and_b32_e32 v17, 0xff00, v15
	;; [unrolled: 1-line block ×4, first 2 shown]
	v_or3_b32 v14, v14, 0, 0
	v_or_b32_e32 v16, v16, v17
	v_or3_b32 v15, v16, v19, v15
.LBB0_195:                              ;   in Loop: Header=BB0_163 Depth=1
	s_or_b32 exec_lo, exec_lo, s4
                                        ; implicit-def: $sgpr5
	s_mov_b32 s4, exec_lo
	v_cmpx_gt_u32_e32 8, v18
	s_xor_b32 s10, exec_lo, s4
	s_cbranch_execz .LBB0_201
; %bb.196:                              ;   in Loop: Header=BB0_163 Depth=1
	v_mov_b32_e32 v16, 0
	v_mov_b32_e32 v17, 0
	s_mov_b32 s11, exec_lo
	v_cmpx_ne_u32_e32 0, v18
	s_cbranch_execz .LBB0_200
; %bb.197:                              ;   in Loop: Header=BB0_163 Depth=1
	v_mov_b32_e32 v16, 0
	v_mov_b32_e32 v17, 0
	s_mov_b64 s[4:5], 0
	s_mov_b32 s15, 0
	s_mov_b64 s[8:9], 0
	.p2align	6
.LBB0_198:                              ;   Parent Loop BB0_163 Depth=1
                                        ; =>  This Inner Loop Header: Depth=2
	v_add_co_u32 v19, vcc_lo, v22, s8
	v_add_co_ci_u32_e32 v20, vcc_lo, s9, v23, vcc_lo
	s_add_u32 s8, s8, 1
	s_addc_u32 s9, s9, 0
	v_cmp_eq_u32_e32 vcc_lo, s8, v18
	flat_load_ubyte v6, v[19:20]
	v_mov_b32_e32 v20, s14
	s_waitcnt vmcnt(0) lgkmcnt(0)
	v_and_b32_e32 v19, 0xffff, v6
	v_lshlrev_b64 v[19:20], s4, v[19:20]
	s_add_u32 s4, s4, 8
	s_addc_u32 s5, s5, 0
	s_or_b32 s15, vcc_lo, s15
	v_or_b32_e32 v17, v20, v17
	v_or_b32_e32 v16, v19, v16
	s_andn2_b32 exec_lo, exec_lo, s15
	s_cbranch_execnz .LBB0_198
; %bb.199:                              ;   in Loop: Header=BB0_163 Depth=1
	s_or_b32 exec_lo, exec_lo, s15
.LBB0_200:                              ;   in Loop: Header=BB0_163 Depth=1
	s_or_b32 exec_lo, exec_lo, s11
	s_mov_b32 s5, 0
                                        ; implicit-def: $vgpr18
.LBB0_201:                              ;   in Loop: Header=BB0_163 Depth=1
	s_or_saveexec_b32 s4, s10
	v_mov_b32_e32 v6, s5
	s_xor_b32 exec_lo, exec_lo, s4
	s_cbranch_execz .LBB0_203
; %bb.202:                              ;   in Loop: Header=BB0_163 Depth=1
	flat_load_dwordx2 v[16:17], v[22:23]
	v_add_co_u32 v22, vcc_lo, v22, 8
	v_add_co_ci_u32_e32 v23, vcc_lo, 0, v23, vcc_lo
	s_waitcnt vmcnt(0) lgkmcnt(0)
	v_and_b32_e32 v6, 0xff, v17
	v_and_b32_e32 v19, 0xff00, v17
	;; [unrolled: 1-line block ×4, first 2 shown]
	v_or3_b32 v16, v16, 0, 0
	v_or_b32_e32 v19, v6, v19
	v_add_nc_u32_e32 v6, -8, v18
	v_or3_b32 v17, v19, v20, v17
.LBB0_203:                              ;   in Loop: Header=BB0_163 Depth=1
	s_or_b32 exec_lo, exec_lo, s4
                                        ; implicit-def: $vgpr18_vgpr19
                                        ; implicit-def: $sgpr5
	s_mov_b32 s4, exec_lo
	v_cmpx_gt_u32_e32 8, v6
	s_xor_b32 s10, exec_lo, s4
	s_cbranch_execz .LBB0_209
; %bb.204:                              ;   in Loop: Header=BB0_163 Depth=1
	v_mov_b32_e32 v18, 0
	v_mov_b32_e32 v19, 0
	s_mov_b32 s11, exec_lo
	v_cmpx_ne_u32_e32 0, v6
	s_cbranch_execz .LBB0_208
; %bb.205:                              ;   in Loop: Header=BB0_163 Depth=1
	v_mov_b32_e32 v18, 0
	v_mov_b32_e32 v19, 0
	s_mov_b64 s[4:5], 0
	s_mov_b32 s15, 0
	s_mov_b64 s[8:9], 0
	.p2align	6
.LBB0_206:                              ;   Parent Loop BB0_163 Depth=1
                                        ; =>  This Inner Loop Header: Depth=2
	v_add_co_u32 v20, vcc_lo, v22, s8
	v_add_co_ci_u32_e32 v21, vcc_lo, s9, v23, vcc_lo
	s_add_u32 s8, s8, 1
	s_addc_u32 s9, s9, 0
	v_cmp_eq_u32_e32 vcc_lo, s8, v6
	flat_load_ubyte v20, v[20:21]
	v_mov_b32_e32 v21, s14
	s_waitcnt vmcnt(0) lgkmcnt(0)
	v_and_b32_e32 v20, 0xffff, v20
	v_lshlrev_b64 v[20:21], s4, v[20:21]
	s_add_u32 s4, s4, 8
	s_addc_u32 s5, s5, 0
	s_or_b32 s15, vcc_lo, s15
	v_or_b32_e32 v19, v21, v19
	v_or_b32_e32 v18, v20, v18
	s_andn2_b32 exec_lo, exec_lo, s15
	s_cbranch_execnz .LBB0_206
; %bb.207:                              ;   in Loop: Header=BB0_163 Depth=1
	s_or_b32 exec_lo, exec_lo, s15
.LBB0_208:                              ;   in Loop: Header=BB0_163 Depth=1
	s_or_b32 exec_lo, exec_lo, s11
	s_mov_b32 s5, 0
                                        ; implicit-def: $vgpr6
.LBB0_209:                              ;   in Loop: Header=BB0_163 Depth=1
	s_or_saveexec_b32 s4, s10
	v_mov_b32_e32 v24, s5
	s_xor_b32 exec_lo, exec_lo, s4
	s_cbranch_execz .LBB0_211
; %bb.210:                              ;   in Loop: Header=BB0_163 Depth=1
	flat_load_dwordx2 v[18:19], v[22:23]
	v_add_co_u32 v22, vcc_lo, v22, 8
	v_add_nc_u32_e32 v24, -8, v6
	v_add_co_ci_u32_e32 v23, vcc_lo, 0, v23, vcc_lo
	s_waitcnt vmcnt(0) lgkmcnt(0)
	v_and_b32_e32 v20, 0xff, v19
	v_and_b32_e32 v21, 0xff00, v19
	;; [unrolled: 1-line block ×4, first 2 shown]
	v_or3_b32 v18, v18, 0, 0
	v_or_b32_e32 v20, v20, v21
	v_or3_b32 v19, v20, v25, v19
.LBB0_211:                              ;   in Loop: Header=BB0_163 Depth=1
	s_or_b32 exec_lo, exec_lo, s4
	s_mov_b32 s4, exec_lo
	v_cmpx_gt_u32_e32 8, v24
	s_xor_b32 s8, exec_lo, s4
	s_cbranch_execz .LBB0_217
; %bb.212:                              ;   in Loop: Header=BB0_163 Depth=1
	v_mov_b32_e32 v20, 0
	v_mov_b32_e32 v21, 0
	s_mov_b32 s9, exec_lo
	v_cmpx_ne_u32_e32 0, v24
	s_cbranch_execz .LBB0_216
; %bb.213:                              ;   in Loop: Header=BB0_163 Depth=1
	v_mov_b32_e32 v20, 0
	v_mov_b32_e32 v21, 0
	s_mov_b64 s[4:5], 0
	s_mov_b32 s10, 0
	.p2align	6
.LBB0_214:                              ;   Parent Loop BB0_163 Depth=1
                                        ; =>  This Inner Loop Header: Depth=2
	flat_load_ubyte v6, v[22:23]
	v_mov_b32_e32 v31, s14
	v_add_nc_u32_e32 v24, -1, v24
	v_add_co_u32 v22, vcc_lo, v22, 1
	v_add_co_ci_u32_e32 v23, vcc_lo, 0, v23, vcc_lo
	v_cmp_eq_u32_e32 vcc_lo, 0, v24
	s_waitcnt vmcnt(0) lgkmcnt(0)
	v_and_b32_e32 v30, 0xffff, v6
	v_lshlrev_b64 v[30:31], s4, v[30:31]
	s_add_u32 s4, s4, 8
	s_addc_u32 s5, s5, 0
	s_or_b32 s10, vcc_lo, s10
	v_or_b32_e32 v21, v31, v21
	v_or_b32_e32 v20, v30, v20
	s_andn2_b32 exec_lo, exec_lo, s10
	s_cbranch_execnz .LBB0_214
; %bb.215:                              ;   in Loop: Header=BB0_163 Depth=1
	s_or_b32 exec_lo, exec_lo, s10
.LBB0_216:                              ;   in Loop: Header=BB0_163 Depth=1
	s_or_b32 exec_lo, exec_lo, s9
                                        ; implicit-def: $vgpr22_vgpr23
.LBB0_217:                              ;   in Loop: Header=BB0_163 Depth=1
	s_andn2_saveexec_b32 s4, s8
	s_cbranch_execz .LBB0_219
; %bb.218:                              ;   in Loop: Header=BB0_163 Depth=1
	flat_load_dwordx2 v[20:21], v[22:23]
	s_waitcnt vmcnt(0) lgkmcnt(0)
	v_and_b32_e32 v6, 0xff, v21
	v_and_b32_e32 v22, 0xff00, v21
	;; [unrolled: 1-line block ×4, first 2 shown]
	v_or3_b32 v20, v20, 0, 0
	v_or_b32_e32 v6, v6, v22
	v_or3_b32 v21, v6, v23, v21
.LBB0_219:                              ;   in Loop: Header=BB0_163 Depth=1
	s_or_b32 exec_lo, exec_lo, s4
	v_readfirstlane_b32 s4, v33
	v_mov_b32_e32 v30, 0
	v_mov_b32_e32 v31, 0
	v_cmp_eq_u32_e64 s4, s4, v33
	s_and_saveexec_b32 s5, s4
	s_cbranch_execz .LBB0_225
; %bb.220:                              ;   in Loop: Header=BB0_163 Depth=1
	global_load_dwordx2 v[24:25], v7, s[6:7] offset:24 glc dlc
	s_waitcnt vmcnt(0)
	buffer_gl1_inv
	buffer_gl0_inv
	s_clause 0x1
	global_load_dwordx2 v[22:23], v7, s[6:7] offset:40
	global_load_dwordx2 v[30:31], v7, s[6:7]
	s_mov_b32 s8, exec_lo
	s_waitcnt vmcnt(1)
	v_and_b32_e32 v6, v23, v25
	v_and_b32_e32 v22, v22, v24
	v_mul_lo_u32 v6, v6, 24
	v_mul_hi_u32 v23, v22, 24
	v_mul_lo_u32 v22, v22, 24
	v_add_nc_u32_e32 v6, v23, v6
	s_waitcnt vmcnt(0)
	v_add_co_u32 v22, vcc_lo, v30, v22
	v_add_co_ci_u32_e32 v23, vcc_lo, v31, v6, vcc_lo
	global_load_dwordx2 v[22:23], v[22:23], off glc dlc
	s_waitcnt vmcnt(0)
	global_atomic_cmpswap_x2 v[30:31], v7, v[22:25], s[6:7] offset:24 glc
	s_waitcnt vmcnt(0)
	buffer_gl1_inv
	buffer_gl0_inv
	v_cmpx_ne_u64_e64 v[30:31], v[24:25]
	s_cbranch_execz .LBB0_224
; %bb.221:                              ;   in Loop: Header=BB0_163 Depth=1
	s_mov_b32 s9, 0
	.p2align	6
.LBB0_222:                              ;   Parent Loop BB0_163 Depth=1
                                        ; =>  This Inner Loop Header: Depth=2
	s_sleep 1
	s_clause 0x1
	global_load_dwordx2 v[22:23], v7, s[6:7] offset:40
	global_load_dwordx2 v[34:35], v7, s[6:7]
	v_mov_b32_e32 v24, v30
	v_mov_b32_e32 v25, v31
	s_waitcnt vmcnt(1)
	v_and_b32_e32 v6, v22, v24
	v_and_b32_e32 v22, v23, v25
	s_waitcnt vmcnt(0)
	v_mad_u64_u32 v[30:31], null, v6, 24, v[34:35]
	v_mov_b32_e32 v6, v31
	v_mad_u64_u32 v[22:23], null, v22, 24, v[6:7]
	v_mov_b32_e32 v31, v22
	global_load_dwordx2 v[22:23], v[30:31], off glc dlc
	s_waitcnt vmcnt(0)
	global_atomic_cmpswap_x2 v[30:31], v7, v[22:25], s[6:7] offset:24 glc
	s_waitcnt vmcnt(0)
	buffer_gl1_inv
	buffer_gl0_inv
	v_cmp_eq_u64_e32 vcc_lo, v[30:31], v[24:25]
	s_or_b32 s9, vcc_lo, s9
	s_andn2_b32 exec_lo, exec_lo, s9
	s_cbranch_execnz .LBB0_222
; %bb.223:                              ;   in Loop: Header=BB0_163 Depth=1
	s_or_b32 exec_lo, exec_lo, s9
.LBB0_224:                              ;   in Loop: Header=BB0_163 Depth=1
	s_or_b32 exec_lo, exec_lo, s8
.LBB0_225:                              ;   in Loop: Header=BB0_163 Depth=1
	s_or_b32 exec_lo, exec_lo, s5
	s_clause 0x1
	global_load_dwordx2 v[34:35], v7, s[6:7] offset:40
	global_load_dwordx4 v[22:25], v7, s[6:7]
	v_readfirstlane_b32 s8, v30
	v_readfirstlane_b32 s9, v31
	s_mov_b32 s5, exec_lo
	s_waitcnt vmcnt(1)
	v_readfirstlane_b32 s10, v34
	v_readfirstlane_b32 s11, v35
	s_and_b64 s[10:11], s[8:9], s[10:11]
	s_mul_i32 s15, s11, 24
	s_mul_hi_u32 s16, s10, 24
	s_mul_i32 s17, s10, 24
	s_add_i32 s16, s16, s15
	s_waitcnt vmcnt(0)
	v_add_co_u32 v30, vcc_lo, v22, s17
	v_add_co_ci_u32_e32 v31, vcc_lo, s16, v23, vcc_lo
	s_and_saveexec_b32 s15, s4
	s_cbranch_execz .LBB0_227
; %bb.226:                              ;   in Loop: Header=BB0_163 Depth=1
	v_mov_b32_e32 v6, s5
	global_store_dwordx4 v[30:31], v[6:9], off offset:8
.LBB0_227:                              ;   in Loop: Header=BB0_163 Depth=1
	s_or_b32 exec_lo, exec_lo, s15
	s_lshl_b64 s[10:11], s[10:11], 12
	v_or_b32_e32 v6, 2, v2
	v_add_co_u32 v24, vcc_lo, v24, s10
	v_add_co_ci_u32_e32 v25, vcc_lo, s11, v25, vcc_lo
	v_cmp_lt_u64_e32 vcc_lo, 56, v[26:27]
	v_lshl_add_u32 v34, v28, 2, 28
	v_readfirstlane_b32 s10, v24
	v_readfirstlane_b32 s11, v25
	v_cndmask_b32_e32 v2, v6, v2, vcc_lo
	v_and_b32_e32 v6, 0x1e0, v34
	v_and_or_b32 v2, 0xffffff1f, v2, v6
	global_store_dwordx4 v32, v[10:13], s[10:11] offset:16
	global_store_dwordx4 v32, v[14:17], s[10:11] offset:32
	global_store_dwordx4 v32, v[2:5], s[10:11]
	global_store_dwordx4 v32, v[18:21], s[10:11] offset:48
	s_and_saveexec_b32 s5, s4
	s_cbranch_execz .LBB0_235
; %bb.228:                              ;   in Loop: Header=BB0_163 Depth=1
	s_clause 0x1
	global_load_dwordx2 v[14:15], v7, s[6:7] offset:32 glc dlc
	global_load_dwordx2 v[2:3], v7, s[6:7] offset:40
	v_mov_b32_e32 v12, s8
	v_mov_b32_e32 v13, s9
	s_waitcnt vmcnt(0)
	v_readfirstlane_b32 s10, v2
	v_readfirstlane_b32 s11, v3
	s_and_b64 s[10:11], s[10:11], s[8:9]
	s_mul_i32 s11, s11, 24
	s_mul_hi_u32 s15, s10, 24
	s_mul_i32 s10, s10, 24
	s_add_i32 s15, s15, s11
	v_add_co_u32 v10, vcc_lo, v22, s10
	v_add_co_ci_u32_e32 v11, vcc_lo, s15, v23, vcc_lo
	s_mov_b32 s10, exec_lo
	global_store_dwordx2 v[10:11], v[14:15], off
	s_waitcnt_vscnt null, 0x0
	global_atomic_cmpswap_x2 v[4:5], v7, v[12:15], s[6:7] offset:32 glc
	s_waitcnt vmcnt(0)
	v_cmpx_ne_u64_e64 v[4:5], v[14:15]
	s_cbranch_execz .LBB0_231
; %bb.229:                              ;   in Loop: Header=BB0_163 Depth=1
	s_mov_b32 s11, 0
.LBB0_230:                              ;   Parent Loop BB0_163 Depth=1
                                        ; =>  This Inner Loop Header: Depth=2
	v_mov_b32_e32 v2, s8
	v_mov_b32_e32 v3, s9
	s_sleep 1
	global_store_dwordx2 v[10:11], v[4:5], off
	s_waitcnt_vscnt null, 0x0
	global_atomic_cmpswap_x2 v[2:3], v7, v[2:5], s[6:7] offset:32 glc
	s_waitcnt vmcnt(0)
	v_cmp_eq_u64_e32 vcc_lo, v[2:3], v[4:5]
	v_mov_b32_e32 v5, v3
	v_mov_b32_e32 v4, v2
	s_or_b32 s11, vcc_lo, s11
	s_andn2_b32 exec_lo, exec_lo, s11
	s_cbranch_execnz .LBB0_230
.LBB0_231:                              ;   in Loop: Header=BB0_163 Depth=1
	s_or_b32 exec_lo, exec_lo, s10
	global_load_dwordx2 v[2:3], v7, s[6:7] offset:16
	s_mov_b32 s11, exec_lo
	s_mov_b32 s10, exec_lo
	v_mbcnt_lo_u32_b32 v4, s11, 0
	v_cmpx_eq_u32_e32 0, v4
	s_cbranch_execz .LBB0_233
; %bb.232:                              ;   in Loop: Header=BB0_163 Depth=1
	s_bcnt1_i32_b32 s11, s11
	v_mov_b32_e32 v6, s11
	s_waitcnt vmcnt(0)
	global_atomic_add_x2 v[2:3], v[6:7], off offset:8
.LBB0_233:                              ;   in Loop: Header=BB0_163 Depth=1
	s_or_b32 exec_lo, exec_lo, s10
	s_waitcnt vmcnt(0)
	global_load_dwordx2 v[4:5], v[2:3], off offset:16
	s_waitcnt vmcnt(0)
	v_cmp_eq_u64_e32 vcc_lo, 0, v[4:5]
	s_cbranch_vccnz .LBB0_235
; %bb.234:                              ;   in Loop: Header=BB0_163 Depth=1
	global_load_dword v6, v[2:3], off offset:24
	s_waitcnt vmcnt(0)
	v_and_b32_e32 v2, 0x7fffff, v6
	s_waitcnt_vscnt null, 0x0
	global_store_dwordx2 v[4:5], v[6:7], off
	v_readfirstlane_b32 m0, v2
	s_sendmsg sendmsg(MSG_INTERRUPT)
.LBB0_235:                              ;   in Loop: Header=BB0_163 Depth=1
	s_or_b32 exec_lo, exec_lo, s5
	v_add_co_u32 v2, vcc_lo, v24, v32
	v_add_co_ci_u32_e32 v3, vcc_lo, 0, v25, vcc_lo
	s_branch .LBB0_239
	.p2align	6
.LBB0_236:                              ;   in Loop: Header=BB0_239 Depth=2
	s_or_b32 exec_lo, exec_lo, s5
	v_readfirstlane_b32 s5, v4
	s_cmp_eq_u32 s5, 0
	s_cbranch_scc1 .LBB0_238
; %bb.237:                              ;   in Loop: Header=BB0_239 Depth=2
	s_sleep 1
	s_cbranch_execnz .LBB0_239
	s_branch .LBB0_241
	.p2align	6
.LBB0_238:                              ;   in Loop: Header=BB0_163 Depth=1
	s_branch .LBB0_241
.LBB0_239:                              ;   Parent Loop BB0_163 Depth=1
                                        ; =>  This Inner Loop Header: Depth=2
	v_mov_b32_e32 v4, 1
	s_and_saveexec_b32 s5, s4
	s_cbranch_execz .LBB0_236
; %bb.240:                              ;   in Loop: Header=BB0_239 Depth=2
	global_load_dword v4, v[30:31], off offset:20 glc dlc
	s_waitcnt vmcnt(0)
	buffer_gl1_inv
	buffer_gl0_inv
	v_and_b32_e32 v4, 1, v4
	s_branch .LBB0_236
.LBB0_241:                              ;   in Loop: Header=BB0_163 Depth=1
	global_load_dwordx4 v[2:5], v[2:3], off
	s_and_saveexec_b32 s5, s4
	s_cbranch_execz .LBB0_162
; %bb.242:                              ;   in Loop: Header=BB0_163 Depth=1
	s_clause 0x2
	global_load_dwordx2 v[4:5], v7, s[6:7] offset:40
	global_load_dwordx2 v[14:15], v7, s[6:7] offset:24 glc dlc
	global_load_dwordx2 v[12:13], v7, s[6:7]
	s_waitcnt vmcnt(2)
	v_add_co_u32 v6, vcc_lo, v4, 1
	v_add_co_ci_u32_e32 v16, vcc_lo, 0, v5, vcc_lo
	v_add_co_u32 v10, vcc_lo, v6, s8
	v_add_co_ci_u32_e32 v11, vcc_lo, s9, v16, vcc_lo
	v_cmp_eq_u64_e32 vcc_lo, 0, v[10:11]
	v_cndmask_b32_e32 v11, v11, v16, vcc_lo
	v_cndmask_b32_e32 v10, v10, v6, vcc_lo
	v_and_b32_e32 v5, v11, v5
	v_and_b32_e32 v4, v10, v4
	v_mul_lo_u32 v5, v5, 24
	v_mul_hi_u32 v6, v4, 24
	v_mul_lo_u32 v4, v4, 24
	v_add_nc_u32_e32 v5, v6, v5
	s_waitcnt vmcnt(0)
	v_add_co_u32 v4, vcc_lo, v12, v4
	v_mov_b32_e32 v12, v14
	v_add_co_ci_u32_e32 v5, vcc_lo, v13, v5, vcc_lo
	v_mov_b32_e32 v13, v15
	global_store_dwordx2 v[4:5], v[14:15], off
	s_waitcnt_vscnt null, 0x0
	global_atomic_cmpswap_x2 v[12:13], v7, v[10:13], s[6:7] offset:24 glc
	s_waitcnt vmcnt(0)
	v_cmp_ne_u64_e32 vcc_lo, v[12:13], v[14:15]
	s_and_b32 exec_lo, exec_lo, vcc_lo
	s_cbranch_execz .LBB0_162
; %bb.243:                              ;   in Loop: Header=BB0_163 Depth=1
	s_mov_b32 s4, 0
.LBB0_244:                              ;   Parent Loop BB0_163 Depth=1
                                        ; =>  This Inner Loop Header: Depth=2
	s_sleep 1
	global_store_dwordx2 v[4:5], v[12:13], off
	s_waitcnt_vscnt null, 0x0
	global_atomic_cmpswap_x2 v[14:15], v7, v[10:13], s[6:7] offset:24 glc
	s_waitcnt vmcnt(0)
	v_cmp_eq_u64_e32 vcc_lo, v[14:15], v[12:13]
	v_mov_b32_e32 v12, v14
	v_mov_b32_e32 v13, v15
	s_or_b32 s4, vcc_lo, s4
	s_andn2_b32 exec_lo, exec_lo, s4
	s_cbranch_execnz .LBB0_244
	s_branch .LBB0_162
.LBB0_245:
	s_and_saveexec_b32 s10, s4
	s_cbranch_execz .LBB0_249
; %bb.246:
	v_mov_b32_e32 v6, 0
	s_clause 0x2
	global_load_dwordx2 v[2:3], v6, s[6:7] offset:40
	global_load_dwordx2 v[7:8], v6, s[6:7] offset:24 glc dlc
	global_load_dwordx2 v[4:5], v6, s[6:7]
	s_waitcnt vmcnt(2)
	v_add_co_u32 v9, vcc_lo, v2, 1
	v_add_co_ci_u32_e32 v10, vcc_lo, 0, v3, vcc_lo
	v_add_co_u32 v0, vcc_lo, v9, s8
	v_add_co_ci_u32_e32 v1, vcc_lo, s9, v10, vcc_lo
	v_cmp_eq_u64_e32 vcc_lo, 0, v[0:1]
	v_cndmask_b32_e32 v1, v1, v10, vcc_lo
	v_cndmask_b32_e32 v0, v0, v9, vcc_lo
	v_and_b32_e32 v3, v1, v3
	v_and_b32_e32 v2, v0, v2
	v_mul_lo_u32 v3, v3, 24
	v_mul_hi_u32 v9, v2, 24
	v_mul_lo_u32 v2, v2, 24
	v_add_nc_u32_e32 v3, v9, v3
	s_waitcnt vmcnt(0)
	v_add_co_u32 v4, vcc_lo, v4, v2
	v_mov_b32_e32 v2, v7
	v_add_co_ci_u32_e32 v5, vcc_lo, v5, v3, vcc_lo
	v_mov_b32_e32 v3, v8
	global_store_dwordx2 v[4:5], v[7:8], off
	s_waitcnt_vscnt null, 0x0
	global_atomic_cmpswap_x2 v[2:3], v6, v[0:3], s[6:7] offset:24 glc
	s_waitcnt vmcnt(0)
	v_cmp_ne_u64_e32 vcc_lo, v[2:3], v[7:8]
	s_and_b32 exec_lo, exec_lo, vcc_lo
	s_cbranch_execz .LBB0_249
; %bb.247:
	s_mov_b32 s4, 0
.LBB0_248:                              ; =>This Inner Loop Header: Depth=1
	s_sleep 1
	global_store_dwordx2 v[4:5], v[2:3], off
	s_waitcnt_vscnt null, 0x0
	global_atomic_cmpswap_x2 v[7:8], v6, v[0:3], s[6:7] offset:24 glc
	s_waitcnt vmcnt(0)
	v_cmp_eq_u64_e32 vcc_lo, v[7:8], v[2:3]
	v_mov_b32_e32 v2, v7
	v_mov_b32_e32 v3, v8
	s_or_b32 s4, vcc_lo, s4
	s_andn2_b32 exec_lo, exec_lo, s4
	s_cbranch_execnz .LBB0_248
.LBB0_249:
	s_or_b32 exec_lo, exec_lo, s10
	s_or_b32 exec_lo, exec_lo, s5
	s_waitcnt lgkmcnt(0)
	s_setpc_b64 s[30:31]
.LBB0_250:
	s_or_b32 exec_lo, exec_lo, s13
                                        ; implicit-def: $vgpr2_vgpr3
                                        ; implicit-def: $vgpr32
                                        ; implicit-def: $vgpr33
	s_andn2_saveexec_b32 s5, s12
	s_cbranch_execnz .LBB0_136
.LBB0_251:
	s_or_b32 exec_lo, exec_lo, s5
	s_waitcnt vmcnt(0) lgkmcnt(0)
	s_setpc_b64 s[30:31]
.Lfunc_end0:
	.size	_ZNK8migraphx13basic_printerIZNS_4coutEvEUlT_E_ElsEPKc, .Lfunc_end0-_ZNK8migraphx13basic_printerIZNS_4coutEvEUlT_E_ElsEPKc
                                        ; -- End function
	.section	.AMDGPU.csdata,"",@progbits
; Function info:
; codeLenInByte = 9188
; NumSgprs: 34
; NumVgprs: 36
; ScratchSize: 0
; MemoryBound: 0
	.text
	.p2align	2                               ; -- Begin function _ZN8migraphx4testlsIKNS_13basic_printerIZNS_4coutEvEUlT_E_EEEERS3_S7_RKNS0_10expressionINS0_14lhs_expressionIRNS_5arrayIiLj6EEENS0_3nopEEESC_NS0_5equalEEE
	.type	_ZN8migraphx4testlsIKNS_13basic_printerIZNS_4coutEvEUlT_E_EEEERS3_S7_RKNS0_10expressionINS0_14lhs_expressionIRNS_5arrayIiLj6EEENS0_3nopEEESC_NS0_5equalEEE,@function
_ZN8migraphx4testlsIKNS_13basic_printerIZNS_4coutEvEUlT_E_EEEERS3_S7_RKNS0_10expressionINS0_14lhs_expressionIRNS_5arrayIiLj6EEENS0_3nopEEESC_NS0_5equalEEE: ; @_ZN8migraphx4testlsIKNS_13basic_printerIZNS_4coutEvEUlT_E_EEEERS3_S7_RKNS0_10expressionINS0_14lhs_expressionIRNS_5arrayIiLj6EEENS0_3nopEEESC_NS0_5equalEEE
; %bb.0:
	s_waitcnt vmcnt(0) expcnt(0) lgkmcnt(0)
	s_mov_b32 s4, s33
	s_mov_b32 s33, s32
	s_or_saveexec_b32 s5, -1
	buffer_store_dword v40, off, s[0:3], s33 ; 4-byte Folded Spill
	s_mov_b32 exec_lo, s5
	v_writelane_b32 v40, s4, 2
	v_writelane_b32 v40, s30, 0
	s_addk_i32 s32, 0x200
	v_writelane_b32 v40, s31, 1
	v_mov_b32_e32 v37, v1
	v_mov_b32_e32 v36, v0
	v_mbcnt_lo_u32_b32 v64, -1, 0
	v_mov_b32_e32 v49, 0
	s_getpc_b64 s[4:5]
	s_add_u32 s4, s4, .str.7@rel32@lo+4
	s_addc_u32 s5, s5, .str.7@rel32@hi+12
	v_mov_b32_e32 v50, 2
	flat_load_dwordx2 v[38:39], v[36:37]
	v_mov_b32_e32 v51, 1
	v_lshlrev_b32_e32 v65, 6, v64
	v_mov_b32_e32 v52, 33
	v_mov_b32_e32 v53, v49
	;; [unrolled: 1-line block ×4, first 2 shown]
	s_cmp_lg_u64 s[4:5], 0
	s_mov_b32 s35, 0
	s_mov_b64 s[22:23], s[8:9]
	s_cselect_b32 s36, -1, 0
	s_mov_b32 s24, s35
	s_mov_b32 s25, s35
	;; [unrolled: 1-line block ×5, first 2 shown]
	s_branch .LBB1_2
.LBB1_1:                                ;   in Loop: Header=BB1_2 Depth=1
	s_or_b32 exec_lo, exec_lo, s5
	s_add_i32 s34, s34, 1
	s_cmp_lg_u32 s34, 6
	s_cbranch_scc0 .LBB1_163
.LBB1_2:                                ; =>This Loop Header: Depth=1
                                        ;     Child Loop BB1_7 Depth 2
                                        ;     Child Loop BB1_15 Depth 2
	;; [unrolled: 1-line block ×9, first 2 shown]
                                        ;       Child Loop BB1_36 Depth 3
                                        ;       Child Loop BB1_43 Depth 3
	;; [unrolled: 1-line block ×11, first 2 shown]
                                        ;     Child Loop BB1_140 Depth 2
                                        ;     Child Loop BB1_148 Depth 2
	;; [unrolled: 1-line block ×4, first 2 shown]
	s_cmp_eq_u32 s34, 0
	s_cbranch_scc1 .LBB1_4
; %bb.3:                                ;   in Loop: Header=BB1_2 Depth=1
	s_getpc_b64 s[4:5]
	s_add_u32 s4, s4, .str.11@rel32@lo+4
	s_addc_u32 s5, s5, .str.11@rel32@hi+12
	v_mov_b32_e32 v0, s4
	v_mov_b32_e32 v1, s5
	s_mov_b64 s[8:9], s[22:23]
	s_getpc_b64 s[6:7]
	s_add_u32 s6, s6, _ZNK8migraphx13basic_printerIZNS_4coutEvEUlT_E_ElsEPKc@rel32@lo+4
	s_addc_u32 s7, s7, _ZNK8migraphx13basic_printerIZNS_4coutEvEUlT_E_ElsEPKc@rel32@hi+12
	s_swappc_b64 s[30:31], s[6:7]
.LBB1_4:                                ;   in Loop: Header=BB1_2 Depth=1
	s_lshl_b64 s[4:5], s[34:35], 2
	s_load_dwordx2 s[28:29], s[22:23], 0x50
	s_waitcnt vmcnt(0) lgkmcnt(0)
	v_add_co_u32 v0, vcc_lo, v38, s4
	v_add_co_ci_u32_e32 v1, vcc_lo, s5, v39, vcc_lo
	v_readfirstlane_b32 s4, v64
	v_mov_b32_e32 v4, 0
	v_mov_b32_e32 v5, 0
	flat_load_dword v24, v[0:1]
	v_cmp_eq_u32_e64 s4, s4, v64
	s_and_saveexec_b32 s5, s4
	s_cbranch_execz .LBB1_10
; %bb.5:                                ;   in Loop: Header=BB1_2 Depth=1
	global_load_dwordx2 v[2:3], v49, s[28:29] offset:24 glc dlc
	s_waitcnt vmcnt(0)
	buffer_gl1_inv
	buffer_gl0_inv
	s_clause 0x1
	global_load_dwordx2 v[0:1], v49, s[28:29] offset:40
	global_load_dwordx2 v[4:5], v49, s[28:29]
	s_mov_b32 s6, exec_lo
	s_waitcnt vmcnt(1)
	v_and_b32_e32 v1, v1, v3
	v_and_b32_e32 v0, v0, v2
	v_mul_lo_u32 v1, v1, 24
	v_mul_hi_u32 v6, v0, 24
	v_mul_lo_u32 v0, v0, 24
	v_add_nc_u32_e32 v1, v6, v1
	s_waitcnt vmcnt(0)
	v_add_co_u32 v0, vcc_lo, v4, v0
	v_add_co_ci_u32_e32 v1, vcc_lo, v5, v1, vcc_lo
	global_load_dwordx2 v[0:1], v[0:1], off glc dlc
	s_waitcnt vmcnt(0)
	global_atomic_cmpswap_x2 v[4:5], v49, v[0:3], s[28:29] offset:24 glc
	s_waitcnt vmcnt(0)
	buffer_gl1_inv
	buffer_gl0_inv
	v_cmpx_ne_u64_e64 v[4:5], v[2:3]
	s_cbranch_execz .LBB1_9
; %bb.6:                                ;   in Loop: Header=BB1_2 Depth=1
	s_mov_b32 s7, 0
	.p2align	6
.LBB1_7:                                ;   Parent Loop BB1_2 Depth=1
                                        ; =>  This Inner Loop Header: Depth=2
	s_sleep 1
	s_clause 0x1
	global_load_dwordx2 v[0:1], v49, s[28:29] offset:40
	global_load_dwordx2 v[6:7], v49, s[28:29]
	v_mov_b32_e32 v2, v4
	v_mov_b32_e32 v3, v5
	s_waitcnt vmcnt(1)
	v_and_b32_e32 v0, v0, v2
	v_and_b32_e32 v1, v1, v3
	s_waitcnt vmcnt(0)
	v_mad_u64_u32 v[4:5], null, v0, 24, v[6:7]
	v_mov_b32_e32 v0, v5
	v_mad_u64_u32 v[0:1], null, v1, 24, v[0:1]
	v_mov_b32_e32 v5, v0
	global_load_dwordx2 v[0:1], v[4:5], off glc dlc
	s_waitcnt vmcnt(0)
	global_atomic_cmpswap_x2 v[4:5], v49, v[0:3], s[28:29] offset:24 glc
	s_waitcnt vmcnt(0)
	buffer_gl1_inv
	buffer_gl0_inv
	v_cmp_eq_u64_e32 vcc_lo, v[4:5], v[2:3]
	s_or_b32 s7, vcc_lo, s7
	s_andn2_b32 exec_lo, exec_lo, s7
	s_cbranch_execnz .LBB1_7
; %bb.8:                                ;   in Loop: Header=BB1_2 Depth=1
	s_or_b32 exec_lo, exec_lo, s7
.LBB1_9:                                ;   in Loop: Header=BB1_2 Depth=1
	s_or_b32 exec_lo, exec_lo, s6
.LBB1_10:                               ;   in Loop: Header=BB1_2 Depth=1
	s_or_b32 exec_lo, exec_lo, s5
	s_clause 0x1
	global_load_dwordx2 v[6:7], v49, s[28:29] offset:40
	global_load_dwordx4 v[0:3], v49, s[28:29]
	v_readfirstlane_b32 s6, v4
	v_readfirstlane_b32 s7, v5
	s_mov_b32 s5, exec_lo
	s_waitcnt vmcnt(1)
	v_readfirstlane_b32 s8, v6
	v_readfirstlane_b32 s9, v7
	s_and_b64 s[8:9], s[6:7], s[8:9]
	s_mul_i32 s10, s9, 24
	s_mul_hi_u32 s11, s8, 24
	s_mul_i32 s12, s8, 24
	s_add_i32 s11, s11, s10
	s_waitcnt vmcnt(0)
	v_add_co_u32 v4, vcc_lo, v0, s12
	v_add_co_ci_u32_e32 v5, vcc_lo, s11, v1, vcc_lo
	s_and_saveexec_b32 s10, s4
	s_cbranch_execz .LBB1_12
; %bb.11:                               ;   in Loop: Header=BB1_2 Depth=1
	v_mov_b32_e32 v48, s5
	global_store_dwordx4 v[4:5], v[48:51], off offset:8
.LBB1_12:                               ;   in Loop: Header=BB1_2 Depth=1
	s_or_b32 exec_lo, exec_lo, s10
	s_lshl_b64 s[8:9], s[8:9], 12
	v_mov_b32_e32 v10, s24
	v_add_co_u32 v8, vcc_lo, v2, s8
	v_add_co_ci_u32_e32 v9, vcc_lo, s9, v3, vcc_lo
	v_mov_b32_e32 v11, s25
	v_readfirstlane_b32 s8, v8
	v_mov_b32_e32 v12, s26
	v_readfirstlane_b32 s9, v9
	v_mov_b32_e32 v13, s27
	global_store_dwordx4 v65, v[52:55], s[8:9]
	global_store_dwordx4 v65, v[10:13], s[8:9] offset:16
	global_store_dwordx4 v65, v[10:13], s[8:9] offset:32
	;; [unrolled: 1-line block ×3, first 2 shown]
	s_and_saveexec_b32 s5, s4
	s_cbranch_execz .LBB1_20
; %bb.13:                               ;   in Loop: Header=BB1_2 Depth=1
	s_clause 0x1
	global_load_dwordx2 v[12:13], v49, s[28:29] offset:32 glc dlc
	global_load_dwordx2 v[2:3], v49, s[28:29] offset:40
	v_mov_b32_e32 v10, s6
	v_mov_b32_e32 v11, s7
	s_mov_b32 s8, exec_lo
	s_waitcnt vmcnt(0)
	v_and_b32_e32 v3, s7, v3
	v_and_b32_e32 v2, s6, v2
	v_mul_lo_u32 v3, v3, 24
	v_mul_hi_u32 v6, v2, 24
	v_mul_lo_u32 v2, v2, 24
	v_add_nc_u32_e32 v3, v6, v3
	v_add_co_u32 v6, vcc_lo, v0, v2
	v_add_co_ci_u32_e32 v7, vcc_lo, v1, v3, vcc_lo
	global_store_dwordx2 v[6:7], v[12:13], off
	s_waitcnt_vscnt null, 0x0
	global_atomic_cmpswap_x2 v[2:3], v49, v[10:13], s[28:29] offset:32 glc
	s_waitcnt vmcnt(0)
	v_cmpx_ne_u64_e64 v[2:3], v[12:13]
	s_cbranch_execz .LBB1_16
; %bb.14:                               ;   in Loop: Header=BB1_2 Depth=1
	s_mov_b32 s9, 0
.LBB1_15:                               ;   Parent Loop BB1_2 Depth=1
                                        ; =>  This Inner Loop Header: Depth=2
	v_mov_b32_e32 v0, s6
	v_mov_b32_e32 v1, s7
	s_sleep 1
	global_store_dwordx2 v[6:7], v[2:3], off
	s_waitcnt_vscnt null, 0x0
	global_atomic_cmpswap_x2 v[0:1], v49, v[0:3], s[28:29] offset:32 glc
	s_waitcnt vmcnt(0)
	v_cmp_eq_u64_e32 vcc_lo, v[0:1], v[2:3]
	v_mov_b32_e32 v3, v1
	v_mov_b32_e32 v2, v0
	s_or_b32 s9, vcc_lo, s9
	s_andn2_b32 exec_lo, exec_lo, s9
	s_cbranch_execnz .LBB1_15
.LBB1_16:                               ;   in Loop: Header=BB1_2 Depth=1
	s_or_b32 exec_lo, exec_lo, s8
	global_load_dwordx2 v[0:1], v49, s[28:29] offset:16
	s_mov_b32 s9, exec_lo
	s_mov_b32 s8, exec_lo
	v_mbcnt_lo_u32_b32 v2, s9, 0
	v_cmpx_eq_u32_e32 0, v2
	s_cbranch_execz .LBB1_18
; %bb.17:                               ;   in Loop: Header=BB1_2 Depth=1
	s_bcnt1_i32_b32 s9, s9
	v_mov_b32_e32 v48, s9
	s_waitcnt vmcnt(0)
	global_atomic_add_x2 v[0:1], v[48:49], off offset:8
.LBB1_18:                               ;   in Loop: Header=BB1_2 Depth=1
	s_or_b32 exec_lo, exec_lo, s8
	s_waitcnt vmcnt(0)
	global_load_dwordx2 v[2:3], v[0:1], off offset:16
	s_waitcnt vmcnt(0)
	v_cmp_eq_u64_e32 vcc_lo, 0, v[2:3]
	s_cbranch_vccnz .LBB1_20
; %bb.19:                               ;   in Loop: Header=BB1_2 Depth=1
	global_load_dword v48, v[0:1], off offset:24
	s_waitcnt vmcnt(0)
	v_and_b32_e32 v0, 0x7fffff, v48
	s_waitcnt_vscnt null, 0x0
	global_store_dwordx2 v[2:3], v[48:49], off
	v_readfirstlane_b32 m0, v0
	s_sendmsg sendmsg(MSG_INTERRUPT)
.LBB1_20:                               ;   in Loop: Header=BB1_2 Depth=1
	s_or_b32 exec_lo, exec_lo, s5
	v_add_co_u32 v0, vcc_lo, v8, v65
	v_add_co_ci_u32_e32 v1, vcc_lo, 0, v9, vcc_lo
	s_branch .LBB1_24
	.p2align	6
.LBB1_21:                               ;   in Loop: Header=BB1_24 Depth=2
	s_or_b32 exec_lo, exec_lo, s5
	v_readfirstlane_b32 s5, v2
	s_cmp_eq_u32 s5, 0
	s_cbranch_scc1 .LBB1_23
; %bb.22:                               ;   in Loop: Header=BB1_24 Depth=2
	s_sleep 1
	s_cbranch_execnz .LBB1_24
	s_branch .LBB1_26
	.p2align	6
.LBB1_23:                               ;   in Loop: Header=BB1_2 Depth=1
	s_branch .LBB1_26
.LBB1_24:                               ;   Parent Loop BB1_2 Depth=1
                                        ; =>  This Inner Loop Header: Depth=2
	v_mov_b32_e32 v2, 1
	s_and_saveexec_b32 s5, s4
	s_cbranch_execz .LBB1_21
; %bb.25:                               ;   in Loop: Header=BB1_24 Depth=2
	global_load_dword v2, v[4:5], off offset:20 glc dlc
	s_waitcnt vmcnt(0)
	buffer_gl1_inv
	buffer_gl0_inv
	v_and_b32_e32 v2, 1, v2
	s_branch .LBB1_21
.LBB1_26:                               ;   in Loop: Header=BB1_2 Depth=1
	global_load_dwordx2 v[0:1], v[0:1], off
	s_and_saveexec_b32 s5, s4
	s_cbranch_execz .LBB1_30
; %bb.27:                               ;   in Loop: Header=BB1_2 Depth=1
	s_clause 0x2
	global_load_dwordx2 v[4:5], v49, s[28:29] offset:40
	global_load_dwordx2 v[8:9], v49, s[28:29] offset:24 glc dlc
	global_load_dwordx2 v[6:7], v49, s[28:29]
	s_waitcnt vmcnt(2)
	v_add_co_u32 v10, vcc_lo, v4, 1
	v_add_co_ci_u32_e32 v11, vcc_lo, 0, v5, vcc_lo
	v_add_co_u32 v2, vcc_lo, v10, s6
	v_add_co_ci_u32_e32 v3, vcc_lo, s7, v11, vcc_lo
	v_cmp_eq_u64_e32 vcc_lo, 0, v[2:3]
	v_cndmask_b32_e32 v3, v3, v11, vcc_lo
	v_cndmask_b32_e32 v2, v2, v10, vcc_lo
	v_and_b32_e32 v5, v3, v5
	v_and_b32_e32 v4, v2, v4
	v_mul_lo_u32 v5, v5, 24
	v_mul_hi_u32 v10, v4, 24
	v_mul_lo_u32 v4, v4, 24
	v_add_nc_u32_e32 v5, v10, v5
	s_waitcnt vmcnt(0)
	v_add_co_u32 v6, vcc_lo, v6, v4
	v_mov_b32_e32 v4, v8
	v_add_co_ci_u32_e32 v7, vcc_lo, v7, v5, vcc_lo
	v_mov_b32_e32 v5, v9
	global_store_dwordx2 v[6:7], v[8:9], off
	s_waitcnt_vscnt null, 0x0
	global_atomic_cmpswap_x2 v[4:5], v49, v[2:5], s[28:29] offset:24 glc
	s_waitcnt vmcnt(0)
	v_cmp_ne_u64_e32 vcc_lo, v[4:5], v[8:9]
	s_and_b32 exec_lo, exec_lo, vcc_lo
	s_cbranch_execz .LBB1_30
; %bb.28:                               ;   in Loop: Header=BB1_2 Depth=1
	s_mov_b32 s4, 0
.LBB1_29:                               ;   Parent Loop BB1_2 Depth=1
                                        ; =>  This Inner Loop Header: Depth=2
	s_sleep 1
	global_store_dwordx2 v[6:7], v[4:5], off
	s_waitcnt_vscnt null, 0x0
	global_atomic_cmpswap_x2 v[8:9], v49, v[2:5], s[28:29] offset:24 glc
	s_waitcnt vmcnt(0)
	v_cmp_eq_u64_e32 vcc_lo, v[8:9], v[4:5]
	v_mov_b32_e32 v4, v8
	v_mov_b32_e32 v5, v9
	s_or_b32 s4, vcc_lo, s4
	s_andn2_b32 exec_lo, exec_lo, s4
	s_cbranch_execnz .LBB1_29
.LBB1_30:                               ;   in Loop: Header=BB1_2 Depth=1
	s_or_b32 exec_lo, exec_lo, s5
	s_and_b32 vcc_lo, exec_lo, s36
	s_cbranch_vccz .LBB1_109
; %bb.31:                               ;   in Loop: Header=BB1_2 Depth=1
	s_waitcnt vmcnt(0)
	v_and_b32_e32 v25, 2, v0
	v_and_b32_e32 v2, -3, v0
	v_mov_b32_e32 v3, v1
	s_mov_b64 s[8:9], 4
	s_getpc_b64 s[6:7]
	s_add_u32 s6, s6, .str.7@rel32@lo+4
	s_addc_u32 s7, s7, .str.7@rel32@hi+12
	s_branch .LBB1_33
.LBB1_32:                               ;   in Loop: Header=BB1_33 Depth=2
	s_or_b32 exec_lo, exec_lo, s5
	s_sub_u32 s8, s8, s10
	s_subb_u32 s9, s9, s11
	s_add_u32 s6, s6, s10
	s_addc_u32 s7, s7, s11
	s_cmp_lg_u64 s[8:9], 0
	s_cbranch_scc0 .LBB1_108
.LBB1_33:                               ;   Parent Loop BB1_2 Depth=1
                                        ; =>  This Loop Header: Depth=2
                                        ;       Child Loop BB1_36 Depth 3
                                        ;       Child Loop BB1_43 Depth 3
	;; [unrolled: 1-line block ×11, first 2 shown]
	v_cmp_lt_u64_e64 s4, s[8:9], 56
	v_cmp_gt_u64_e64 s5, s[8:9], 7
	s_and_b32 s4, s4, exec_lo
	s_cselect_b32 s11, s9, 0
	s_cselect_b32 s10, s8, 56
	s_and_b32 vcc_lo, exec_lo, s5
	s_cbranch_vccnz .LBB1_38
; %bb.34:                               ;   in Loop: Header=BB1_33 Depth=2
	s_waitcnt vmcnt(0)
	v_mov_b32_e32 v4, 0
	v_mov_b32_e32 v5, 0
	s_cmp_eq_u64 s[8:9], 0
	s_mov_b64 s[4:5], 0
	s_cbranch_scc1 .LBB1_37
; %bb.35:                               ;   in Loop: Header=BB1_33 Depth=2
	v_mov_b32_e32 v4, 0
	v_mov_b32_e32 v5, 0
	s_lshl_b64 s[12:13], s[10:11], 3
	s_mov_b64 s[14:15], s[6:7]
.LBB1_36:                               ;   Parent Loop BB1_2 Depth=1
                                        ;     Parent Loop BB1_33 Depth=2
                                        ; =>    This Inner Loop Header: Depth=3
	global_load_ubyte v6, v49, s[14:15]
	s_waitcnt vmcnt(0)
	v_and_b32_e32 v48, 0xffff, v6
	v_lshlrev_b64 v[6:7], s4, v[48:49]
	s_add_u32 s4, s4, 8
	s_addc_u32 s5, s5, 0
	s_add_u32 s14, s14, 1
	s_addc_u32 s15, s15, 0
	s_cmp_lg_u32 s12, s4
	v_or_b32_e32 v4, v6, v4
	v_or_b32_e32 v5, v7, v5
	s_cbranch_scc1 .LBB1_36
.LBB1_37:                               ;   in Loop: Header=BB1_33 Depth=2
	s_mov_b32 s16, 0
	s_mov_b64 s[4:5], s[6:7]
	s_cbranch_execz .LBB1_39
	s_branch .LBB1_40
.LBB1_38:                               ;   in Loop: Header=BB1_33 Depth=2
                                        ; implicit-def: $vgpr4_vgpr5
                                        ; implicit-def: $sgpr16
	s_mov_b64 s[4:5], s[6:7]
.LBB1_39:                               ;   in Loop: Header=BB1_33 Depth=2
	global_load_dwordx2 v[4:5], v49, s[6:7]
	s_add_i32 s16, s10, -8
	s_add_u32 s4, s6, 8
	s_addc_u32 s5, s7, 0
.LBB1_40:                               ;   in Loop: Header=BB1_33 Depth=2
	s_cmp_gt_u32 s16, 7
	s_cbranch_scc1 .LBB1_45
; %bb.41:                               ;   in Loop: Header=BB1_33 Depth=2
	v_mov_b32_e32 v6, 0
	v_mov_b32_e32 v7, 0
	s_cmp_eq_u32 s16, 0
	s_cbranch_scc1 .LBB1_44
; %bb.42:                               ;   in Loop: Header=BB1_33 Depth=2
	s_mov_b64 s[12:13], 0
	s_mov_b64 s[14:15], 0
.LBB1_43:                               ;   Parent Loop BB1_2 Depth=1
                                        ;     Parent Loop BB1_33 Depth=2
                                        ; =>    This Inner Loop Header: Depth=3
	s_add_u32 s18, s4, s14
	s_addc_u32 s19, s5, s15
	s_add_u32 s14, s14, 1
	global_load_ubyte v8, v49, s[18:19]
	s_addc_u32 s15, s15, 0
	s_waitcnt vmcnt(0)
	v_and_b32_e32 v48, 0xffff, v8
	v_lshlrev_b64 v[8:9], s12, v[48:49]
	s_add_u32 s12, s12, 8
	s_addc_u32 s13, s13, 0
	s_cmp_lg_u32 s16, s14
	v_or_b32_e32 v6, v8, v6
	v_or_b32_e32 v7, v9, v7
	s_cbranch_scc1 .LBB1_43
.LBB1_44:                               ;   in Loop: Header=BB1_33 Depth=2
	s_mov_b32 s17, 0
	s_cbranch_execz .LBB1_46
	s_branch .LBB1_47
.LBB1_45:                               ;   in Loop: Header=BB1_33 Depth=2
                                        ; implicit-def: $vgpr6_vgpr7
                                        ; implicit-def: $sgpr17
.LBB1_46:                               ;   in Loop: Header=BB1_33 Depth=2
	global_load_dwordx2 v[6:7], v49, s[4:5]
	s_add_i32 s17, s16, -8
	s_add_u32 s4, s4, 8
	s_addc_u32 s5, s5, 0
.LBB1_47:                               ;   in Loop: Header=BB1_33 Depth=2
	s_cmp_gt_u32 s17, 7
	s_cbranch_scc1 .LBB1_52
; %bb.48:                               ;   in Loop: Header=BB1_33 Depth=2
	v_mov_b32_e32 v8, 0
	v_mov_b32_e32 v9, 0
	s_cmp_eq_u32 s17, 0
	s_cbranch_scc1 .LBB1_51
; %bb.49:                               ;   in Loop: Header=BB1_33 Depth=2
	s_mov_b64 s[12:13], 0
	s_mov_b64 s[14:15], 0
.LBB1_50:                               ;   Parent Loop BB1_2 Depth=1
                                        ;     Parent Loop BB1_33 Depth=2
                                        ; =>    This Inner Loop Header: Depth=3
	s_add_u32 s18, s4, s14
	s_addc_u32 s19, s5, s15
	s_add_u32 s14, s14, 1
	global_load_ubyte v10, v49, s[18:19]
	s_addc_u32 s15, s15, 0
	s_waitcnt vmcnt(0)
	v_and_b32_e32 v48, 0xffff, v10
	v_lshlrev_b64 v[10:11], s12, v[48:49]
	s_add_u32 s12, s12, 8
	s_addc_u32 s13, s13, 0
	s_cmp_lg_u32 s17, s14
	v_or_b32_e32 v8, v10, v8
	v_or_b32_e32 v9, v11, v9
	s_cbranch_scc1 .LBB1_50
.LBB1_51:                               ;   in Loop: Header=BB1_33 Depth=2
	s_mov_b32 s16, 0
	s_cbranch_execz .LBB1_53
	s_branch .LBB1_54
.LBB1_52:                               ;   in Loop: Header=BB1_33 Depth=2
                                        ; implicit-def: $sgpr16
.LBB1_53:                               ;   in Loop: Header=BB1_33 Depth=2
	global_load_dwordx2 v[8:9], v49, s[4:5]
	s_add_i32 s16, s17, -8
	s_add_u32 s4, s4, 8
	s_addc_u32 s5, s5, 0
.LBB1_54:                               ;   in Loop: Header=BB1_33 Depth=2
	s_cmp_gt_u32 s16, 7
	s_cbranch_scc1 .LBB1_59
; %bb.55:                               ;   in Loop: Header=BB1_33 Depth=2
	v_mov_b32_e32 v10, 0
	v_mov_b32_e32 v11, 0
	s_cmp_eq_u32 s16, 0
	s_cbranch_scc1 .LBB1_58
; %bb.56:                               ;   in Loop: Header=BB1_33 Depth=2
	s_mov_b64 s[12:13], 0
	s_mov_b64 s[14:15], 0
.LBB1_57:                               ;   Parent Loop BB1_2 Depth=1
                                        ;     Parent Loop BB1_33 Depth=2
                                        ; =>    This Inner Loop Header: Depth=3
	s_add_u32 s18, s4, s14
	s_addc_u32 s19, s5, s15
	s_add_u32 s14, s14, 1
	global_load_ubyte v12, v49, s[18:19]
	s_addc_u32 s15, s15, 0
	s_waitcnt vmcnt(0)
	v_and_b32_e32 v48, 0xffff, v12
	v_lshlrev_b64 v[12:13], s12, v[48:49]
	s_add_u32 s12, s12, 8
	s_addc_u32 s13, s13, 0
	s_cmp_lg_u32 s16, s14
	v_or_b32_e32 v10, v12, v10
	v_or_b32_e32 v11, v13, v11
	s_cbranch_scc1 .LBB1_57
.LBB1_58:                               ;   in Loop: Header=BB1_33 Depth=2
	s_mov_b32 s17, 0
	s_cbranch_execz .LBB1_60
	s_branch .LBB1_61
.LBB1_59:                               ;   in Loop: Header=BB1_33 Depth=2
                                        ; implicit-def: $vgpr10_vgpr11
                                        ; implicit-def: $sgpr17
.LBB1_60:                               ;   in Loop: Header=BB1_33 Depth=2
	global_load_dwordx2 v[10:11], v49, s[4:5]
	s_add_i32 s17, s16, -8
	s_add_u32 s4, s4, 8
	s_addc_u32 s5, s5, 0
.LBB1_61:                               ;   in Loop: Header=BB1_33 Depth=2
	s_cmp_gt_u32 s17, 7
	s_cbranch_scc1 .LBB1_66
; %bb.62:                               ;   in Loop: Header=BB1_33 Depth=2
	v_mov_b32_e32 v12, 0
	v_mov_b32_e32 v13, 0
	s_cmp_eq_u32 s17, 0
	s_cbranch_scc1 .LBB1_65
; %bb.63:                               ;   in Loop: Header=BB1_33 Depth=2
	s_mov_b64 s[12:13], 0
	s_mov_b64 s[14:15], 0
.LBB1_64:                               ;   Parent Loop BB1_2 Depth=1
                                        ;     Parent Loop BB1_33 Depth=2
                                        ; =>    This Inner Loop Header: Depth=3
	s_add_u32 s18, s4, s14
	s_addc_u32 s19, s5, s15
	s_add_u32 s14, s14, 1
	global_load_ubyte v14, v49, s[18:19]
	s_addc_u32 s15, s15, 0
	s_waitcnt vmcnt(0)
	v_and_b32_e32 v48, 0xffff, v14
	v_lshlrev_b64 v[14:15], s12, v[48:49]
	s_add_u32 s12, s12, 8
	s_addc_u32 s13, s13, 0
	s_cmp_lg_u32 s17, s14
	v_or_b32_e32 v12, v14, v12
	v_or_b32_e32 v13, v15, v13
	s_cbranch_scc1 .LBB1_64
.LBB1_65:                               ;   in Loop: Header=BB1_33 Depth=2
	s_mov_b32 s16, 0
	s_cbranch_execz .LBB1_67
	s_branch .LBB1_68
.LBB1_66:                               ;   in Loop: Header=BB1_33 Depth=2
                                        ; implicit-def: $sgpr16
.LBB1_67:                               ;   in Loop: Header=BB1_33 Depth=2
	global_load_dwordx2 v[12:13], v49, s[4:5]
	s_add_i32 s16, s17, -8
	s_add_u32 s4, s4, 8
	s_addc_u32 s5, s5, 0
.LBB1_68:                               ;   in Loop: Header=BB1_33 Depth=2
	s_cmp_gt_u32 s16, 7
	s_cbranch_scc1 .LBB1_73
; %bb.69:                               ;   in Loop: Header=BB1_33 Depth=2
	v_mov_b32_e32 v14, 0
	v_mov_b32_e32 v15, 0
	s_cmp_eq_u32 s16, 0
	s_cbranch_scc1 .LBB1_72
; %bb.70:                               ;   in Loop: Header=BB1_33 Depth=2
	s_mov_b64 s[12:13], 0
	s_mov_b64 s[14:15], 0
.LBB1_71:                               ;   Parent Loop BB1_2 Depth=1
                                        ;     Parent Loop BB1_33 Depth=2
                                        ; =>    This Inner Loop Header: Depth=3
	s_add_u32 s18, s4, s14
	s_addc_u32 s19, s5, s15
	s_add_u32 s14, s14, 1
	global_load_ubyte v16, v49, s[18:19]
	s_addc_u32 s15, s15, 0
	s_waitcnt vmcnt(0)
	v_and_b32_e32 v48, 0xffff, v16
	v_lshlrev_b64 v[16:17], s12, v[48:49]
	s_add_u32 s12, s12, 8
	s_addc_u32 s13, s13, 0
	s_cmp_lg_u32 s16, s14
	v_or_b32_e32 v14, v16, v14
	v_or_b32_e32 v15, v17, v15
	s_cbranch_scc1 .LBB1_71
.LBB1_72:                               ;   in Loop: Header=BB1_33 Depth=2
	s_mov_b32 s17, 0
	s_cbranch_execz .LBB1_74
	s_branch .LBB1_75
.LBB1_73:                               ;   in Loop: Header=BB1_33 Depth=2
                                        ; implicit-def: $vgpr14_vgpr15
                                        ; implicit-def: $sgpr17
.LBB1_74:                               ;   in Loop: Header=BB1_33 Depth=2
	global_load_dwordx2 v[14:15], v49, s[4:5]
	s_add_i32 s17, s16, -8
	s_add_u32 s4, s4, 8
	s_addc_u32 s5, s5, 0
.LBB1_75:                               ;   in Loop: Header=BB1_33 Depth=2
	s_cmp_gt_u32 s17, 7
	s_cbranch_scc1 .LBB1_80
; %bb.76:                               ;   in Loop: Header=BB1_33 Depth=2
	v_mov_b32_e32 v16, 0
	v_mov_b32_e32 v17, 0
	s_cmp_eq_u32 s17, 0
	s_cbranch_scc1 .LBB1_79
; %bb.77:                               ;   in Loop: Header=BB1_33 Depth=2
	s_mov_b64 s[12:13], 0
	s_mov_b64 s[14:15], s[4:5]
.LBB1_78:                               ;   Parent Loop BB1_2 Depth=1
                                        ;     Parent Loop BB1_33 Depth=2
                                        ; =>    This Inner Loop Header: Depth=3
	global_load_ubyte v18, v49, s[14:15]
	s_add_i32 s17, s17, -1
	s_waitcnt vmcnt(0)
	v_and_b32_e32 v48, 0xffff, v18
	v_lshlrev_b64 v[18:19], s12, v[48:49]
	s_add_u32 s12, s12, 8
	s_addc_u32 s13, s13, 0
	s_add_u32 s14, s14, 1
	s_addc_u32 s15, s15, 0
	s_cmp_lg_u32 s17, 0
	v_or_b32_e32 v16, v18, v16
	v_or_b32_e32 v17, v19, v17
	s_cbranch_scc1 .LBB1_78
.LBB1_79:                               ;   in Loop: Header=BB1_33 Depth=2
	s_cbranch_execz .LBB1_81
	s_branch .LBB1_82
.LBB1_80:                               ;   in Loop: Header=BB1_33 Depth=2
.LBB1_81:                               ;   in Loop: Header=BB1_33 Depth=2
	global_load_dwordx2 v[16:17], v49, s[4:5]
.LBB1_82:                               ;   in Loop: Header=BB1_33 Depth=2
	v_readfirstlane_b32 s4, v64
	v_mov_b32_e32 v22, 0
	v_mov_b32_e32 v23, 0
	v_cmp_eq_u32_e64 s4, s4, v64
	s_and_saveexec_b32 s5, s4
	s_cbranch_execz .LBB1_88
; %bb.83:                               ;   in Loop: Header=BB1_33 Depth=2
	global_load_dwordx2 v[20:21], v49, s[28:29] offset:24 glc dlc
	s_waitcnt vmcnt(0)
	buffer_gl1_inv
	buffer_gl0_inv
	s_clause 0x1
	global_load_dwordx2 v[18:19], v49, s[28:29] offset:40
	global_load_dwordx2 v[22:23], v49, s[28:29]
	s_mov_b32 s12, exec_lo
	s_waitcnt vmcnt(1)
	v_and_b32_e32 v19, v19, v21
	v_and_b32_e32 v18, v18, v20
	v_mul_lo_u32 v19, v19, 24
	v_mul_hi_u32 v26, v18, 24
	v_mul_lo_u32 v18, v18, 24
	v_add_nc_u32_e32 v19, v26, v19
	s_waitcnt vmcnt(0)
	v_add_co_u32 v18, vcc_lo, v22, v18
	v_add_co_ci_u32_e32 v19, vcc_lo, v23, v19, vcc_lo
	global_load_dwordx2 v[18:19], v[18:19], off glc dlc
	s_waitcnt vmcnt(0)
	global_atomic_cmpswap_x2 v[22:23], v49, v[18:21], s[28:29] offset:24 glc
	s_waitcnt vmcnt(0)
	buffer_gl1_inv
	buffer_gl0_inv
	v_cmpx_ne_u64_e64 v[22:23], v[20:21]
	s_cbranch_execz .LBB1_87
; %bb.84:                               ;   in Loop: Header=BB1_33 Depth=2
	s_mov_b32 s13, 0
	.p2align	6
.LBB1_85:                               ;   Parent Loop BB1_2 Depth=1
                                        ;     Parent Loop BB1_33 Depth=2
                                        ; =>    This Inner Loop Header: Depth=3
	s_sleep 1
	s_clause 0x1
	global_load_dwordx2 v[18:19], v49, s[28:29] offset:40
	global_load_dwordx2 v[26:27], v49, s[28:29]
	v_mov_b32_e32 v20, v22
	v_mov_b32_e32 v21, v23
	s_waitcnt vmcnt(1)
	v_and_b32_e32 v18, v18, v20
	v_and_b32_e32 v19, v19, v21
	s_waitcnt vmcnt(0)
	v_mad_u64_u32 v[22:23], null, v18, 24, v[26:27]
	v_mov_b32_e32 v18, v23
	v_mad_u64_u32 v[18:19], null, v19, 24, v[18:19]
	v_mov_b32_e32 v23, v18
	global_load_dwordx2 v[18:19], v[22:23], off glc dlc
	s_waitcnt vmcnt(0)
	global_atomic_cmpswap_x2 v[22:23], v49, v[18:21], s[28:29] offset:24 glc
	s_waitcnt vmcnt(0)
	buffer_gl1_inv
	buffer_gl0_inv
	v_cmp_eq_u64_e32 vcc_lo, v[22:23], v[20:21]
	s_or_b32 s13, vcc_lo, s13
	s_andn2_b32 exec_lo, exec_lo, s13
	s_cbranch_execnz .LBB1_85
; %bb.86:                               ;   in Loop: Header=BB1_33 Depth=2
	s_or_b32 exec_lo, exec_lo, s13
.LBB1_87:                               ;   in Loop: Header=BB1_33 Depth=2
	s_or_b32 exec_lo, exec_lo, s12
.LBB1_88:                               ;   in Loop: Header=BB1_33 Depth=2
	s_or_b32 exec_lo, exec_lo, s5
	s_clause 0x1
	global_load_dwordx2 v[26:27], v49, s[28:29] offset:40
	global_load_dwordx4 v[18:21], v49, s[28:29]
	v_readfirstlane_b32 s12, v22
	v_readfirstlane_b32 s13, v23
	s_mov_b32 s5, exec_lo
	s_waitcnt vmcnt(1)
	v_readfirstlane_b32 s14, v26
	v_readfirstlane_b32 s15, v27
	s_and_b64 s[14:15], s[12:13], s[14:15]
	s_mul_i32 s16, s15, 24
	s_mul_hi_u32 s17, s14, 24
	s_mul_i32 s18, s14, 24
	s_add_i32 s17, s17, s16
	s_waitcnt vmcnt(0)
	v_add_co_u32 v22, vcc_lo, v18, s18
	v_add_co_ci_u32_e32 v23, vcc_lo, s17, v19, vcc_lo
	s_and_saveexec_b32 s16, s4
	s_cbranch_execz .LBB1_90
; %bb.89:                               ;   in Loop: Header=BB1_33 Depth=2
	v_mov_b32_e32 v48, s5
	global_store_dwordx4 v[22:23], v[48:51], off offset:8
.LBB1_90:                               ;   in Loop: Header=BB1_33 Depth=2
	s_or_b32 exec_lo, exec_lo, s16
	v_cmp_gt_u64_e64 vcc_lo, s[8:9], 56
	v_or_b32_e32 v26, 0, v3
	v_or_b32_e32 v27, v2, v25
	s_lshl_b64 s[14:15], s[14:15], 12
	s_lshl_b32 s5, s10, 2
	s_add_i32 s5, s5, 28
	v_cndmask_b32_e32 v3, v26, v3, vcc_lo
	v_cndmask_b32_e32 v2, v27, v2, vcc_lo
	v_add_co_u32 v20, vcc_lo, v20, s14
	v_add_co_ci_u32_e32 v21, vcc_lo, s15, v21, vcc_lo
	s_and_b32 s5, s5, 0x1e0
	v_lshlrev_b32_e32 v26, 6, v64
	v_and_or_b32 v2, 0xffffff1f, v2, s5
	v_readfirstlane_b32 s14, v20
	v_readfirstlane_b32 s15, v21
	global_store_dwordx4 v26, v[2:5], s[14:15]
	global_store_dwordx4 v26, v[6:9], s[14:15] offset:16
	global_store_dwordx4 v26, v[10:13], s[14:15] offset:32
	;; [unrolled: 1-line block ×3, first 2 shown]
	s_and_saveexec_b32 s5, s4
	s_cbranch_execz .LBB1_98
; %bb.91:                               ;   in Loop: Header=BB1_33 Depth=2
	s_clause 0x1
	global_load_dwordx2 v[10:11], v49, s[28:29] offset:32 glc dlc
	global_load_dwordx2 v[2:3], v49, s[28:29] offset:40
	v_mov_b32_e32 v8, s12
	v_mov_b32_e32 v9, s13
	s_waitcnt vmcnt(0)
	v_readfirstlane_b32 s14, v2
	v_readfirstlane_b32 s15, v3
	s_and_b64 s[14:15], s[14:15], s[12:13]
	s_mul_i32 s15, s15, 24
	s_mul_hi_u32 s16, s14, 24
	s_mul_i32 s14, s14, 24
	s_add_i32 s16, s16, s15
	v_add_co_u32 v6, vcc_lo, v18, s14
	v_add_co_ci_u32_e32 v7, vcc_lo, s16, v19, vcc_lo
	s_mov_b32 s14, exec_lo
	global_store_dwordx2 v[6:7], v[10:11], off
	s_waitcnt_vscnt null, 0x0
	global_atomic_cmpswap_x2 v[4:5], v49, v[8:11], s[28:29] offset:32 glc
	s_waitcnt vmcnt(0)
	v_cmpx_ne_u64_e64 v[4:5], v[10:11]
	s_cbranch_execz .LBB1_94
; %bb.92:                               ;   in Loop: Header=BB1_33 Depth=2
	s_mov_b32 s15, 0
.LBB1_93:                               ;   Parent Loop BB1_2 Depth=1
                                        ;     Parent Loop BB1_33 Depth=2
                                        ; =>    This Inner Loop Header: Depth=3
	v_mov_b32_e32 v2, s12
	v_mov_b32_e32 v3, s13
	s_sleep 1
	global_store_dwordx2 v[6:7], v[4:5], off
	s_waitcnt_vscnt null, 0x0
	global_atomic_cmpswap_x2 v[2:3], v49, v[2:5], s[28:29] offset:32 glc
	s_waitcnt vmcnt(0)
	v_cmp_eq_u64_e32 vcc_lo, v[2:3], v[4:5]
	v_mov_b32_e32 v5, v3
	v_mov_b32_e32 v4, v2
	s_or_b32 s15, vcc_lo, s15
	s_andn2_b32 exec_lo, exec_lo, s15
	s_cbranch_execnz .LBB1_93
.LBB1_94:                               ;   in Loop: Header=BB1_33 Depth=2
	s_or_b32 exec_lo, exec_lo, s14
	global_load_dwordx2 v[2:3], v49, s[28:29] offset:16
	s_mov_b32 s15, exec_lo
	s_mov_b32 s14, exec_lo
	v_mbcnt_lo_u32_b32 v4, s15, 0
	v_cmpx_eq_u32_e32 0, v4
	s_cbranch_execz .LBB1_96
; %bb.95:                               ;   in Loop: Header=BB1_33 Depth=2
	s_bcnt1_i32_b32 s15, s15
	v_mov_b32_e32 v48, s15
	s_waitcnt vmcnt(0)
	global_atomic_add_x2 v[2:3], v[48:49], off offset:8
.LBB1_96:                               ;   in Loop: Header=BB1_33 Depth=2
	s_or_b32 exec_lo, exec_lo, s14
	s_waitcnt vmcnt(0)
	global_load_dwordx2 v[4:5], v[2:3], off offset:16
	s_waitcnt vmcnt(0)
	v_cmp_eq_u64_e32 vcc_lo, 0, v[4:5]
	s_cbranch_vccnz .LBB1_98
; %bb.97:                               ;   in Loop: Header=BB1_33 Depth=2
	global_load_dword v48, v[2:3], off offset:24
	s_waitcnt vmcnt(0)
	v_and_b32_e32 v2, 0x7fffff, v48
	s_waitcnt_vscnt null, 0x0
	global_store_dwordx2 v[4:5], v[48:49], off
	v_readfirstlane_b32 m0, v2
	s_sendmsg sendmsg(MSG_INTERRUPT)
.LBB1_98:                               ;   in Loop: Header=BB1_33 Depth=2
	s_or_b32 exec_lo, exec_lo, s5
	v_add_co_u32 v2, vcc_lo, v20, v26
	v_add_co_ci_u32_e32 v3, vcc_lo, 0, v21, vcc_lo
	s_branch .LBB1_102
	.p2align	6
.LBB1_99:                               ;   in Loop: Header=BB1_102 Depth=3
	s_or_b32 exec_lo, exec_lo, s5
	v_readfirstlane_b32 s5, v4
	s_cmp_eq_u32 s5, 0
	s_cbranch_scc1 .LBB1_101
; %bb.100:                              ;   in Loop: Header=BB1_102 Depth=3
	s_sleep 1
	s_cbranch_execnz .LBB1_102
	s_branch .LBB1_104
	.p2align	6
.LBB1_101:                              ;   in Loop: Header=BB1_33 Depth=2
	s_branch .LBB1_104
.LBB1_102:                              ;   Parent Loop BB1_2 Depth=1
                                        ;     Parent Loop BB1_33 Depth=2
                                        ; =>    This Inner Loop Header: Depth=3
	v_mov_b32_e32 v4, 1
	s_and_saveexec_b32 s5, s4
	s_cbranch_execz .LBB1_99
; %bb.103:                              ;   in Loop: Header=BB1_102 Depth=3
	global_load_dword v4, v[22:23], off offset:20 glc dlc
	s_waitcnt vmcnt(0)
	buffer_gl1_inv
	buffer_gl0_inv
	v_and_b32_e32 v4, 1, v4
	s_branch .LBB1_99
.LBB1_104:                              ;   in Loop: Header=BB1_33 Depth=2
	global_load_dwordx4 v[2:5], v[2:3], off
	s_and_saveexec_b32 s5, s4
	s_cbranch_execz .LBB1_32
; %bb.105:                              ;   in Loop: Header=BB1_33 Depth=2
	s_clause 0x2
	global_load_dwordx2 v[6:7], v49, s[28:29] offset:40
	global_load_dwordx2 v[10:11], v49, s[28:29] offset:24 glc dlc
	global_load_dwordx2 v[8:9], v49, s[28:29]
	s_waitcnt vmcnt(2)
	v_add_co_u32 v12, vcc_lo, v6, 1
	v_add_co_ci_u32_e32 v13, vcc_lo, 0, v7, vcc_lo
	v_add_co_u32 v4, vcc_lo, v12, s12
	v_add_co_ci_u32_e32 v5, vcc_lo, s13, v13, vcc_lo
	v_cmp_eq_u64_e32 vcc_lo, 0, v[4:5]
	v_cndmask_b32_e32 v5, v5, v13, vcc_lo
	v_cndmask_b32_e32 v4, v4, v12, vcc_lo
	v_and_b32_e32 v7, v5, v7
	v_and_b32_e32 v6, v4, v6
	v_mul_lo_u32 v7, v7, 24
	v_mul_hi_u32 v12, v6, 24
	v_mul_lo_u32 v6, v6, 24
	v_add_nc_u32_e32 v7, v12, v7
	s_waitcnt vmcnt(0)
	v_add_co_u32 v8, vcc_lo, v8, v6
	v_mov_b32_e32 v6, v10
	v_add_co_ci_u32_e32 v9, vcc_lo, v9, v7, vcc_lo
	v_mov_b32_e32 v7, v11
	global_store_dwordx2 v[8:9], v[10:11], off
	s_waitcnt_vscnt null, 0x0
	global_atomic_cmpswap_x2 v[6:7], v49, v[4:7], s[28:29] offset:24 glc
	s_waitcnt vmcnt(0)
	v_cmp_ne_u64_e32 vcc_lo, v[6:7], v[10:11]
	s_and_b32 exec_lo, exec_lo, vcc_lo
	s_cbranch_execz .LBB1_32
; %bb.106:                              ;   in Loop: Header=BB1_33 Depth=2
	s_mov_b32 s4, 0
.LBB1_107:                              ;   Parent Loop BB1_2 Depth=1
                                        ;     Parent Loop BB1_33 Depth=2
                                        ; =>    This Inner Loop Header: Depth=3
	s_sleep 1
	global_store_dwordx2 v[8:9], v[6:7], off
	s_waitcnt_vscnt null, 0x0
	global_atomic_cmpswap_x2 v[10:11], v49, v[4:7], s[28:29] offset:24 glc
	s_waitcnt vmcnt(0)
	v_cmp_eq_u64_e32 vcc_lo, v[10:11], v[6:7]
	v_mov_b32_e32 v6, v10
	v_mov_b32_e32 v7, v11
	s_or_b32 s4, vcc_lo, s4
	s_andn2_b32 exec_lo, exec_lo, s4
	s_cbranch_execnz .LBB1_107
	s_branch .LBB1_32
.LBB1_108:                              ;   in Loop: Header=BB1_2 Depth=1
	s_branch .LBB1_137
.LBB1_109:                              ;   in Loop: Header=BB1_2 Depth=1
                                        ; implicit-def: $vgpr2_vgpr3
	s_cbranch_execz .LBB1_137
; %bb.110:                              ;   in Loop: Header=BB1_2 Depth=1
	v_readfirstlane_b32 s4, v64
	s_waitcnt vmcnt(0)
	v_mov_b32_e32 v2, 0
	v_mov_b32_e32 v3, 0
	v_cmp_eq_u32_e64 s4, s4, v64
	s_and_saveexec_b32 s5, s4
	s_cbranch_execz .LBB1_116
; %bb.111:                              ;   in Loop: Header=BB1_2 Depth=1
	global_load_dwordx2 v[4:5], v49, s[28:29] offset:24 glc dlc
	s_waitcnt vmcnt(0)
	buffer_gl1_inv
	buffer_gl0_inv
	s_clause 0x1
	global_load_dwordx2 v[2:3], v49, s[28:29] offset:40
	global_load_dwordx2 v[6:7], v49, s[28:29]
	s_mov_b32 s6, exec_lo
	s_waitcnt vmcnt(1)
	v_and_b32_e32 v3, v3, v5
	v_and_b32_e32 v2, v2, v4
	v_mul_lo_u32 v3, v3, 24
	v_mul_hi_u32 v8, v2, 24
	v_mul_lo_u32 v2, v2, 24
	v_add_nc_u32_e32 v3, v8, v3
	s_waitcnt vmcnt(0)
	v_add_co_u32 v2, vcc_lo, v6, v2
	v_add_co_ci_u32_e32 v3, vcc_lo, v7, v3, vcc_lo
	global_load_dwordx2 v[2:3], v[2:3], off glc dlc
	s_waitcnt vmcnt(0)
	global_atomic_cmpswap_x2 v[2:3], v49, v[2:5], s[28:29] offset:24 glc
	s_waitcnt vmcnt(0)
	buffer_gl1_inv
	buffer_gl0_inv
	v_cmpx_ne_u64_e64 v[2:3], v[4:5]
	s_cbranch_execz .LBB1_115
; %bb.112:                              ;   in Loop: Header=BB1_2 Depth=1
	s_mov_b32 s7, 0
	.p2align	6
.LBB1_113:                              ;   Parent Loop BB1_2 Depth=1
                                        ; =>  This Inner Loop Header: Depth=2
	s_sleep 1
	s_clause 0x1
	global_load_dwordx2 v[6:7], v49, s[28:29] offset:40
	global_load_dwordx2 v[8:9], v49, s[28:29]
	v_mov_b32_e32 v5, v3
	v_mov_b32_e32 v4, v2
	s_waitcnt vmcnt(1)
	v_and_b32_e32 v2, v6, v4
	v_and_b32_e32 v6, v7, v5
	s_waitcnt vmcnt(0)
	v_mad_u64_u32 v[2:3], null, v2, 24, v[8:9]
	v_mad_u64_u32 v[6:7], null, v6, 24, v[3:4]
	v_mov_b32_e32 v3, v6
	global_load_dwordx2 v[2:3], v[2:3], off glc dlc
	s_waitcnt vmcnt(0)
	global_atomic_cmpswap_x2 v[2:3], v49, v[2:5], s[28:29] offset:24 glc
	s_waitcnt vmcnt(0)
	buffer_gl1_inv
	buffer_gl0_inv
	v_cmp_eq_u64_e32 vcc_lo, v[2:3], v[4:5]
	s_or_b32 s7, vcc_lo, s7
	s_andn2_b32 exec_lo, exec_lo, s7
	s_cbranch_execnz .LBB1_113
; %bb.114:                              ;   in Loop: Header=BB1_2 Depth=1
	s_or_b32 exec_lo, exec_lo, s7
.LBB1_115:                              ;   in Loop: Header=BB1_2 Depth=1
	s_or_b32 exec_lo, exec_lo, s6
.LBB1_116:                              ;   in Loop: Header=BB1_2 Depth=1
	s_or_b32 exec_lo, exec_lo, s5
	s_clause 0x1
	global_load_dwordx2 v[8:9], v49, s[28:29] offset:40
	global_load_dwordx4 v[4:7], v49, s[28:29]
	v_readfirstlane_b32 s6, v2
	v_readfirstlane_b32 s7, v3
	s_mov_b32 s5, exec_lo
	s_waitcnt vmcnt(1)
	v_readfirstlane_b32 s8, v8
	v_readfirstlane_b32 s9, v9
	s_and_b64 s[8:9], s[6:7], s[8:9]
	s_mul_i32 s10, s9, 24
	s_mul_hi_u32 s11, s8, 24
	s_mul_i32 s12, s8, 24
	s_add_i32 s11, s11, s10
	s_waitcnt vmcnt(0)
	v_add_co_u32 v8, vcc_lo, v4, s12
	v_add_co_ci_u32_e32 v9, vcc_lo, s11, v5, vcc_lo
	s_and_saveexec_b32 s10, s4
	s_cbranch_execz .LBB1_118
; %bb.117:                              ;   in Loop: Header=BB1_2 Depth=1
	v_mov_b32_e32 v48, s5
	global_store_dwordx4 v[8:9], v[48:51], off offset:8
.LBB1_118:                              ;   in Loop: Header=BB1_2 Depth=1
	s_or_b32 exec_lo, exec_lo, s10
	s_lshl_b64 s[8:9], s[8:9], 12
	v_and_or_b32 v0, 0xffffff1f, v0, 32
	v_add_co_u32 v6, vcc_lo, v6, s8
	v_add_co_ci_u32_e32 v7, vcc_lo, s9, v7, vcc_lo
	v_lshlrev_b32_e32 v10, 6, v64
	v_mov_b32_e32 v2, v49
	v_mov_b32_e32 v3, v49
	v_readfirstlane_b32 s8, v6
	v_readfirstlane_b32 s9, v7
	v_mov_b32_e32 v11, s24
	v_mov_b32_e32 v12, s25
	;; [unrolled: 1-line block ×4, first 2 shown]
	global_store_dwordx4 v10, v[0:3], s[8:9]
	global_store_dwordx4 v10, v[11:14], s[8:9] offset:16
	global_store_dwordx4 v10, v[11:14], s[8:9] offset:32
	;; [unrolled: 1-line block ×3, first 2 shown]
	s_and_saveexec_b32 s5, s4
	s_cbranch_execz .LBB1_126
; %bb.119:                              ;   in Loop: Header=BB1_2 Depth=1
	s_clause 0x1
	global_load_dwordx2 v[13:14], v49, s[28:29] offset:32 glc dlc
	global_load_dwordx2 v[0:1], v49, s[28:29] offset:40
	v_mov_b32_e32 v11, s6
	v_mov_b32_e32 v12, s7
	s_waitcnt vmcnt(0)
	v_readfirstlane_b32 s8, v0
	v_readfirstlane_b32 s9, v1
	s_and_b64 s[8:9], s[8:9], s[6:7]
	s_mul_i32 s9, s9, 24
	s_mul_hi_u32 s10, s8, 24
	s_mul_i32 s8, s8, 24
	s_add_i32 s10, s10, s9
	v_add_co_u32 v4, vcc_lo, v4, s8
	v_add_co_ci_u32_e32 v5, vcc_lo, s10, v5, vcc_lo
	s_mov_b32 s8, exec_lo
	global_store_dwordx2 v[4:5], v[13:14], off
	s_waitcnt_vscnt null, 0x0
	global_atomic_cmpswap_x2 v[2:3], v49, v[11:14], s[28:29] offset:32 glc
	s_waitcnt vmcnt(0)
	v_cmpx_ne_u64_e64 v[2:3], v[13:14]
	s_cbranch_execz .LBB1_122
; %bb.120:                              ;   in Loop: Header=BB1_2 Depth=1
	s_mov_b32 s9, 0
.LBB1_121:                              ;   Parent Loop BB1_2 Depth=1
                                        ; =>  This Inner Loop Header: Depth=2
	v_mov_b32_e32 v0, s6
	v_mov_b32_e32 v1, s7
	s_sleep 1
	global_store_dwordx2 v[4:5], v[2:3], off
	s_waitcnt_vscnt null, 0x0
	global_atomic_cmpswap_x2 v[0:1], v49, v[0:3], s[28:29] offset:32 glc
	s_waitcnt vmcnt(0)
	v_cmp_eq_u64_e32 vcc_lo, v[0:1], v[2:3]
	v_mov_b32_e32 v3, v1
	v_mov_b32_e32 v2, v0
	s_or_b32 s9, vcc_lo, s9
	s_andn2_b32 exec_lo, exec_lo, s9
	s_cbranch_execnz .LBB1_121
.LBB1_122:                              ;   in Loop: Header=BB1_2 Depth=1
	s_or_b32 exec_lo, exec_lo, s8
	global_load_dwordx2 v[0:1], v49, s[28:29] offset:16
	s_mov_b32 s9, exec_lo
	s_mov_b32 s8, exec_lo
	v_mbcnt_lo_u32_b32 v2, s9, 0
	v_cmpx_eq_u32_e32 0, v2
	s_cbranch_execz .LBB1_124
; %bb.123:                              ;   in Loop: Header=BB1_2 Depth=1
	s_bcnt1_i32_b32 s9, s9
	v_mov_b32_e32 v48, s9
	s_waitcnt vmcnt(0)
	global_atomic_add_x2 v[0:1], v[48:49], off offset:8
.LBB1_124:                              ;   in Loop: Header=BB1_2 Depth=1
	s_or_b32 exec_lo, exec_lo, s8
	s_waitcnt vmcnt(0)
	global_load_dwordx2 v[2:3], v[0:1], off offset:16
	s_waitcnt vmcnt(0)
	v_cmp_eq_u64_e32 vcc_lo, 0, v[2:3]
	s_cbranch_vccnz .LBB1_126
; %bb.125:                              ;   in Loop: Header=BB1_2 Depth=1
	global_load_dword v48, v[0:1], off offset:24
	s_waitcnt vmcnt(0)
	v_and_b32_e32 v0, 0x7fffff, v48
	s_waitcnt_vscnt null, 0x0
	global_store_dwordx2 v[2:3], v[48:49], off
	v_readfirstlane_b32 m0, v0
	s_sendmsg sendmsg(MSG_INTERRUPT)
.LBB1_126:                              ;   in Loop: Header=BB1_2 Depth=1
	s_or_b32 exec_lo, exec_lo, s5
	v_add_co_u32 v0, vcc_lo, v6, v10
	v_add_co_ci_u32_e32 v1, vcc_lo, 0, v7, vcc_lo
	s_branch .LBB1_130
	.p2align	6
.LBB1_127:                              ;   in Loop: Header=BB1_130 Depth=2
	s_or_b32 exec_lo, exec_lo, s5
	v_readfirstlane_b32 s5, v2
	s_cmp_eq_u32 s5, 0
	s_cbranch_scc1 .LBB1_129
; %bb.128:                              ;   in Loop: Header=BB1_130 Depth=2
	s_sleep 1
	s_cbranch_execnz .LBB1_130
	s_branch .LBB1_132
	.p2align	6
.LBB1_129:                              ;   in Loop: Header=BB1_2 Depth=1
	s_branch .LBB1_132
.LBB1_130:                              ;   Parent Loop BB1_2 Depth=1
                                        ; =>  This Inner Loop Header: Depth=2
	v_mov_b32_e32 v2, 1
	s_and_saveexec_b32 s5, s4
	s_cbranch_execz .LBB1_127
; %bb.131:                              ;   in Loop: Header=BB1_130 Depth=2
	global_load_dword v2, v[8:9], off offset:20 glc dlc
	s_waitcnt vmcnt(0)
	buffer_gl1_inv
	buffer_gl0_inv
	v_and_b32_e32 v2, 1, v2
	s_branch .LBB1_127
.LBB1_132:                              ;   in Loop: Header=BB1_2 Depth=1
	global_load_dwordx2 v[2:3], v[0:1], off
	s_and_saveexec_b32 s5, s4
	s_cbranch_execz .LBB1_136
; %bb.133:                              ;   in Loop: Header=BB1_2 Depth=1
	s_clause 0x2
	global_load_dwordx2 v[0:1], v49, s[28:29] offset:40
	global_load_dwordx2 v[8:9], v49, s[28:29] offset:24 glc dlc
	global_load_dwordx2 v[6:7], v49, s[28:29]
	s_waitcnt vmcnt(2)
	v_add_co_u32 v10, vcc_lo, v0, 1
	v_add_co_ci_u32_e32 v11, vcc_lo, 0, v1, vcc_lo
	v_add_co_u32 v4, vcc_lo, v10, s6
	v_add_co_ci_u32_e32 v5, vcc_lo, s7, v11, vcc_lo
	v_cmp_eq_u64_e32 vcc_lo, 0, v[4:5]
	v_cndmask_b32_e32 v5, v5, v11, vcc_lo
	v_cndmask_b32_e32 v4, v4, v10, vcc_lo
	v_and_b32_e32 v1, v5, v1
	v_and_b32_e32 v0, v4, v0
	v_mul_lo_u32 v1, v1, 24
	v_mul_hi_u32 v10, v0, 24
	v_mul_lo_u32 v0, v0, 24
	v_add_nc_u32_e32 v1, v10, v1
	s_waitcnt vmcnt(0)
	v_add_co_u32 v0, vcc_lo, v6, v0
	v_mov_b32_e32 v6, v8
	v_add_co_ci_u32_e32 v1, vcc_lo, v7, v1, vcc_lo
	v_mov_b32_e32 v7, v9
	global_store_dwordx2 v[0:1], v[8:9], off
	s_waitcnt_vscnt null, 0x0
	global_atomic_cmpswap_x2 v[6:7], v49, v[4:7], s[28:29] offset:24 glc
	s_waitcnt vmcnt(0)
	v_cmp_ne_u64_e32 vcc_lo, v[6:7], v[8:9]
	s_and_b32 exec_lo, exec_lo, vcc_lo
	s_cbranch_execz .LBB1_136
; %bb.134:                              ;   in Loop: Header=BB1_2 Depth=1
	s_mov_b32 s4, 0
.LBB1_135:                              ;   Parent Loop BB1_2 Depth=1
                                        ; =>  This Inner Loop Header: Depth=2
	s_sleep 1
	global_store_dwordx2 v[0:1], v[6:7], off
	s_waitcnt_vscnt null, 0x0
	global_atomic_cmpswap_x2 v[8:9], v49, v[4:7], s[28:29] offset:24 glc
	s_waitcnt vmcnt(0)
	v_cmp_eq_u64_e32 vcc_lo, v[8:9], v[6:7]
	v_mov_b32_e32 v6, v8
	v_mov_b32_e32 v7, v9
	s_or_b32 s4, vcc_lo, s4
	s_andn2_b32 exec_lo, exec_lo, s4
	s_cbranch_execnz .LBB1_135
.LBB1_136:                              ;   in Loop: Header=BB1_2 Depth=1
	s_or_b32 exec_lo, exec_lo, s5
.LBB1_137:                              ;   in Loop: Header=BB1_2 Depth=1
	v_readfirstlane_b32 s4, v64
	s_waitcnt vmcnt(0)
	v_mov_b32_e32 v0, 0
	v_mov_b32_e32 v1, 0
	v_cmp_eq_u32_e64 s4, s4, v64
	s_and_saveexec_b32 s5, s4
	s_cbranch_execz .LBB1_143
; %bb.138:                              ;   in Loop: Header=BB1_2 Depth=1
	global_load_dwordx2 v[6:7], v49, s[28:29] offset:24 glc dlc
	s_waitcnt vmcnt(0)
	buffer_gl1_inv
	buffer_gl0_inv
	s_clause 0x1
	global_load_dwordx2 v[0:1], v49, s[28:29] offset:40
	global_load_dwordx2 v[4:5], v49, s[28:29]
	s_mov_b32 s6, exec_lo
	s_waitcnt vmcnt(1)
	v_and_b32_e32 v1, v1, v7
	v_and_b32_e32 v0, v0, v6
	v_mul_lo_u32 v1, v1, 24
	v_mul_hi_u32 v8, v0, 24
	v_mul_lo_u32 v0, v0, 24
	v_add_nc_u32_e32 v1, v8, v1
	s_waitcnt vmcnt(0)
	v_add_co_u32 v0, vcc_lo, v4, v0
	v_add_co_ci_u32_e32 v1, vcc_lo, v5, v1, vcc_lo
	global_load_dwordx2 v[4:5], v[0:1], off glc dlc
	s_waitcnt vmcnt(0)
	global_atomic_cmpswap_x2 v[0:1], v49, v[4:7], s[28:29] offset:24 glc
	s_waitcnt vmcnt(0)
	buffer_gl1_inv
	buffer_gl0_inv
	v_cmpx_ne_u64_e64 v[0:1], v[6:7]
	s_cbranch_execz .LBB1_142
; %bb.139:                              ;   in Loop: Header=BB1_2 Depth=1
	s_mov_b32 s7, 0
	.p2align	6
.LBB1_140:                              ;   Parent Loop BB1_2 Depth=1
                                        ; =>  This Inner Loop Header: Depth=2
	s_sleep 1
	s_clause 0x1
	global_load_dwordx2 v[4:5], v49, s[28:29] offset:40
	global_load_dwordx2 v[8:9], v49, s[28:29]
	v_mov_b32_e32 v7, v1
	v_mov_b32_e32 v6, v0
	s_waitcnt vmcnt(1)
	v_and_b32_e32 v0, v4, v6
	v_and_b32_e32 v4, v5, v7
	s_waitcnt vmcnt(0)
	v_mad_u64_u32 v[0:1], null, v0, 24, v[8:9]
	v_mad_u64_u32 v[4:5], null, v4, 24, v[1:2]
	v_mov_b32_e32 v1, v4
	global_load_dwordx2 v[4:5], v[0:1], off glc dlc
	s_waitcnt vmcnt(0)
	global_atomic_cmpswap_x2 v[0:1], v49, v[4:7], s[28:29] offset:24 glc
	s_waitcnt vmcnt(0)
	buffer_gl1_inv
	buffer_gl0_inv
	v_cmp_eq_u64_e32 vcc_lo, v[0:1], v[6:7]
	s_or_b32 s7, vcc_lo, s7
	s_andn2_b32 exec_lo, exec_lo, s7
	s_cbranch_execnz .LBB1_140
; %bb.141:                              ;   in Loop: Header=BB1_2 Depth=1
	s_or_b32 exec_lo, exec_lo, s7
.LBB1_142:                              ;   in Loop: Header=BB1_2 Depth=1
	s_or_b32 exec_lo, exec_lo, s6
.LBB1_143:                              ;   in Loop: Header=BB1_2 Depth=1
	s_or_b32 exec_lo, exec_lo, s5
	s_clause 0x1
	global_load_dwordx2 v[4:5], v49, s[28:29] offset:40
	global_load_dwordx4 v[6:9], v49, s[28:29]
	v_readfirstlane_b32 s6, v0
	v_readfirstlane_b32 s7, v1
	s_mov_b32 s5, exec_lo
	s_waitcnt vmcnt(1)
	v_readfirstlane_b32 s8, v4
	v_readfirstlane_b32 s9, v5
	s_and_b64 s[8:9], s[6:7], s[8:9]
	s_mul_i32 s10, s9, 24
	s_mul_hi_u32 s11, s8, 24
	s_mul_i32 s12, s8, 24
	s_add_i32 s11, s11, s10
	s_waitcnt vmcnt(0)
	v_add_co_u32 v10, vcc_lo, v6, s12
	v_add_co_ci_u32_e32 v11, vcc_lo, s11, v7, vcc_lo
	s_and_saveexec_b32 s10, s4
	s_cbranch_execz .LBB1_145
; %bb.144:                              ;   in Loop: Header=BB1_2 Depth=1
	v_mov_b32_e32 v48, s5
	global_store_dwordx4 v[10:11], v[48:51], off offset:8
.LBB1_145:                              ;   in Loop: Header=BB1_2 Depth=1
	s_or_b32 exec_lo, exec_lo, s10
	s_lshl_b64 s[8:9], s[8:9], 12
	v_and_or_b32 v2, 0xffffff1d, v2, 34
	v_add_co_u32 v0, vcc_lo, v8, s8
	v_add_co_ci_u32_e32 v1, vcc_lo, s9, v9, vcc_lo
	s_waitcnt lgkmcnt(0)
	v_ashrrev_i32_e32 v5, 31, v24
	v_lshlrev_b32_e32 v8, 6, v64
	v_mov_b32_e32 v4, v24
	v_readfirstlane_b32 s8, v0
	v_readfirstlane_b32 s9, v1
	v_mov_b32_e32 v12, s24
	v_mov_b32_e32 v13, s25
	;; [unrolled: 1-line block ×4, first 2 shown]
	global_store_dwordx4 v8, v[2:5], s[8:9]
	global_store_dwordx4 v8, v[12:15], s[8:9] offset:16
	global_store_dwordx4 v8, v[12:15], s[8:9] offset:32
	;; [unrolled: 1-line block ×3, first 2 shown]
	s_and_saveexec_b32 s5, s4
	s_cbranch_execz .LBB1_153
; %bb.146:                              ;   in Loop: Header=BB1_2 Depth=1
	s_clause 0x1
	global_load_dwordx2 v[8:9], v49, s[28:29] offset:32 glc dlc
	global_load_dwordx2 v[0:1], v49, s[28:29] offset:40
	s_waitcnt vmcnt(0)
	v_readfirstlane_b32 s8, v0
	v_readfirstlane_b32 s9, v1
	s_and_b64 s[8:9], s[8:9], s[6:7]
	s_mul_i32 s9, s9, 24
	s_mul_hi_u32 s10, s8, 24
	s_mul_i32 s8, s8, 24
	s_add_i32 s10, s10, s9
	v_add_co_u32 v4, vcc_lo, v6, s8
	v_add_co_ci_u32_e32 v5, vcc_lo, s10, v7, vcc_lo
	v_mov_b32_e32 v6, s6
	v_mov_b32_e32 v7, s7
	s_mov_b32 s8, exec_lo
	global_store_dwordx2 v[4:5], v[8:9], off
	s_waitcnt_vscnt null, 0x0
	global_atomic_cmpswap_x2 v[2:3], v49, v[6:9], s[28:29] offset:32 glc
	s_waitcnt vmcnt(0)
	v_cmpx_ne_u64_e64 v[2:3], v[8:9]
	s_cbranch_execz .LBB1_149
; %bb.147:                              ;   in Loop: Header=BB1_2 Depth=1
	s_mov_b32 s9, 0
.LBB1_148:                              ;   Parent Loop BB1_2 Depth=1
                                        ; =>  This Inner Loop Header: Depth=2
	v_mov_b32_e32 v0, s6
	v_mov_b32_e32 v1, s7
	s_sleep 1
	global_store_dwordx2 v[4:5], v[2:3], off
	s_waitcnt_vscnt null, 0x0
	global_atomic_cmpswap_x2 v[0:1], v49, v[0:3], s[28:29] offset:32 glc
	s_waitcnt vmcnt(0)
	v_cmp_eq_u64_e32 vcc_lo, v[0:1], v[2:3]
	v_mov_b32_e32 v3, v1
	v_mov_b32_e32 v2, v0
	s_or_b32 s9, vcc_lo, s9
	s_andn2_b32 exec_lo, exec_lo, s9
	s_cbranch_execnz .LBB1_148
.LBB1_149:                              ;   in Loop: Header=BB1_2 Depth=1
	s_or_b32 exec_lo, exec_lo, s8
	global_load_dwordx2 v[0:1], v49, s[28:29] offset:16
	s_mov_b32 s9, exec_lo
	s_mov_b32 s8, exec_lo
	v_mbcnt_lo_u32_b32 v2, s9, 0
	v_cmpx_eq_u32_e32 0, v2
	s_cbranch_execz .LBB1_151
; %bb.150:                              ;   in Loop: Header=BB1_2 Depth=1
	s_bcnt1_i32_b32 s9, s9
	v_mov_b32_e32 v48, s9
	s_waitcnt vmcnt(0)
	global_atomic_add_x2 v[0:1], v[48:49], off offset:8
.LBB1_151:                              ;   in Loop: Header=BB1_2 Depth=1
	s_or_b32 exec_lo, exec_lo, s8
	s_waitcnt vmcnt(0)
	global_load_dwordx2 v[2:3], v[0:1], off offset:16
	s_waitcnt vmcnt(0)
	v_cmp_eq_u64_e32 vcc_lo, 0, v[2:3]
	s_cbranch_vccnz .LBB1_153
; %bb.152:                              ;   in Loop: Header=BB1_2 Depth=1
	global_load_dword v48, v[0:1], off offset:24
	s_waitcnt vmcnt(0)
	v_and_b32_e32 v0, 0x7fffff, v48
	s_waitcnt_vscnt null, 0x0
	global_store_dwordx2 v[2:3], v[48:49], off
	v_readfirstlane_b32 m0, v0
	s_sendmsg sendmsg(MSG_INTERRUPT)
.LBB1_153:                              ;   in Loop: Header=BB1_2 Depth=1
	s_or_b32 exec_lo, exec_lo, s5
	s_branch .LBB1_157
	.p2align	6
.LBB1_154:                              ;   in Loop: Header=BB1_157 Depth=2
	s_or_b32 exec_lo, exec_lo, s5
	v_readfirstlane_b32 s5, v0
	s_cmp_eq_u32 s5, 0
	s_cbranch_scc1 .LBB1_156
; %bb.155:                              ;   in Loop: Header=BB1_157 Depth=2
	s_sleep 1
	s_cbranch_execnz .LBB1_157
	s_branch .LBB1_159
	.p2align	6
.LBB1_156:                              ;   in Loop: Header=BB1_2 Depth=1
	s_branch .LBB1_159
.LBB1_157:                              ;   Parent Loop BB1_2 Depth=1
                                        ; =>  This Inner Loop Header: Depth=2
	v_mov_b32_e32 v0, 1
	s_and_saveexec_b32 s5, s4
	s_cbranch_execz .LBB1_154
; %bb.158:                              ;   in Loop: Header=BB1_157 Depth=2
	global_load_dword v0, v[10:11], off offset:20 glc dlc
	s_waitcnt vmcnt(0)
	buffer_gl1_inv
	buffer_gl0_inv
	v_and_b32_e32 v0, 1, v0
	s_branch .LBB1_154
.LBB1_159:                              ;   in Loop: Header=BB1_2 Depth=1
	s_and_saveexec_b32 s5, s4
	s_cbranch_execz .LBB1_1
; %bb.160:                              ;   in Loop: Header=BB1_2 Depth=1
	s_clause 0x2
	global_load_dwordx2 v[2:3], v49, s[28:29] offset:40
	global_load_dwordx2 v[6:7], v49, s[28:29] offset:24 glc dlc
	global_load_dwordx2 v[4:5], v49, s[28:29]
	s_waitcnt vmcnt(2)
	v_add_co_u32 v8, vcc_lo, v2, 1
	v_add_co_ci_u32_e32 v9, vcc_lo, 0, v3, vcc_lo
	v_add_co_u32 v0, vcc_lo, v8, s6
	v_add_co_ci_u32_e32 v1, vcc_lo, s7, v9, vcc_lo
	v_cmp_eq_u64_e32 vcc_lo, 0, v[0:1]
	v_cndmask_b32_e32 v1, v1, v9, vcc_lo
	v_cndmask_b32_e32 v0, v0, v8, vcc_lo
	v_and_b32_e32 v3, v1, v3
	v_and_b32_e32 v2, v0, v2
	v_mul_lo_u32 v3, v3, 24
	v_mul_hi_u32 v8, v2, 24
	v_mul_lo_u32 v2, v2, 24
	v_add_nc_u32_e32 v3, v8, v3
	s_waitcnt vmcnt(0)
	v_add_co_u32 v4, vcc_lo, v4, v2
	v_mov_b32_e32 v2, v6
	v_add_co_ci_u32_e32 v5, vcc_lo, v5, v3, vcc_lo
	v_mov_b32_e32 v3, v7
	global_store_dwordx2 v[4:5], v[6:7], off
	s_waitcnt_vscnt null, 0x0
	global_atomic_cmpswap_x2 v[2:3], v49, v[0:3], s[28:29] offset:24 glc
	s_waitcnt vmcnt(0)
	v_cmp_ne_u64_e32 vcc_lo, v[2:3], v[6:7]
	s_and_b32 exec_lo, exec_lo, vcc_lo
	s_cbranch_execz .LBB1_1
; %bb.161:                              ;   in Loop: Header=BB1_2 Depth=1
	s_mov_b32 s4, 0
.LBB1_162:                              ;   Parent Loop BB1_2 Depth=1
                                        ; =>  This Inner Loop Header: Depth=2
	s_sleep 1
	global_store_dwordx2 v[4:5], v[2:3], off
	s_waitcnt_vscnt null, 0x0
	global_atomic_cmpswap_x2 v[6:7], v49, v[0:3], s[28:29] offset:24 glc
	s_waitcnt vmcnt(0)
	v_cmp_eq_u64_e32 vcc_lo, v[6:7], v[2:3]
	v_mov_b32_e32 v2, v6
	v_mov_b32_e32 v3, v7
	s_or_b32 s4, vcc_lo, s4
	s_andn2_b32 exec_lo, exec_lo, s4
	s_cbranch_execnz .LBB1_162
	s_branch .LBB1_1
.LBB1_163:
	s_getpc_b64 s[24:25]
	s_add_u32 s24, s24, .str.8@rel32@lo+4
	s_addc_u32 s25, s25, .str.8@rel32@hi+12
	v_mov_b32_e32 v0, s24
	v_mov_b32_e32 v1, s25
	s_mov_b64 s[8:9], s[22:23]
	s_getpc_b64 s[26:27]
	s_add_u32 s26, s26, _ZNK8migraphx13basic_printerIZNS_4coutEvEUlT_E_ElsEPKc@rel32@lo+4
	s_addc_u32 s27, s27, _ZNK8migraphx13basic_printerIZNS_4coutEvEUlT_E_ElsEPKc@rel32@hi+12
	s_swappc_b64 s[30:31], s[26:27]
	s_getpc_b64 s[4:5]
	s_add_u32 s4, s4, .str.10@rel32@lo+4
	s_addc_u32 s5, s5, .str.10@rel32@hi+12
	v_mov_b32_e32 v0, s4
	v_mov_b32_e32 v1, s5
	s_mov_b64 s[8:9], s[22:23]
	s_swappc_b64 s[30:31], s[26:27]
	v_mov_b32_e32 v0, s24
	v_mov_b32_e32 v1, s25
	s_mov_b64 s[8:9], s[22:23]
	s_swappc_b64 s[30:31], s[26:27]
	flat_load_dwordx2 v[52:53], v[36:37] offset:8
	v_mov_b32_e32 v37, 0
	v_mov_b32_e32 v38, 2
	;; [unrolled: 1-line block ×4, first 2 shown]
	s_mov_b32 s35, 0
	v_mov_b32_e32 v49, v37
	v_mov_b32_e32 v50, v37
	;; [unrolled: 1-line block ×3, first 2 shown]
	s_mov_b32 s24, s35
	s_mov_b32 s25, s35
	;; [unrolled: 1-line block ×5, first 2 shown]
	s_branch .LBB1_165
.LBB1_164:                              ;   in Loop: Header=BB1_165 Depth=1
	s_or_b32 exec_lo, exec_lo, s5
	s_add_i32 s34, s34, 1
	s_cmp_lg_u32 s34, 6
	s_cbranch_scc0 .LBB1_326
.LBB1_165:                              ; =>This Loop Header: Depth=1
                                        ;     Child Loop BB1_170 Depth 2
                                        ;     Child Loop BB1_178 Depth 2
	;; [unrolled: 1-line block ×9, first 2 shown]
                                        ;       Child Loop BB1_199 Depth 3
                                        ;       Child Loop BB1_206 Depth 3
                                        ;       Child Loop BB1_213 Depth 3
                                        ;       Child Loop BB1_220 Depth 3
                                        ;       Child Loop BB1_227 Depth 3
                                        ;       Child Loop BB1_234 Depth 3
                                        ;       Child Loop BB1_241 Depth 3
                                        ;       Child Loop BB1_248 Depth 3
                                        ;       Child Loop BB1_256 Depth 3
                                        ;       Child Loop BB1_265 Depth 3
                                        ;       Child Loop BB1_270 Depth 3
                                        ;     Child Loop BB1_303 Depth 2
                                        ;     Child Loop BB1_311 Depth 2
	;; [unrolled: 1-line block ×4, first 2 shown]
	s_cmp_eq_u32 s34, 0
	s_cbranch_scc1 .LBB1_167
; %bb.166:                              ;   in Loop: Header=BB1_165 Depth=1
	s_getpc_b64 s[4:5]
	s_add_u32 s4, s4, .str.11@rel32@lo+4
	s_addc_u32 s5, s5, .str.11@rel32@hi+12
	v_mov_b32_e32 v0, s4
	v_mov_b32_e32 v1, s5
	s_mov_b64 s[8:9], s[22:23]
	s_getpc_b64 s[6:7]
	s_add_u32 s6, s6, _ZNK8migraphx13basic_printerIZNS_4coutEvEUlT_E_ElsEPKc@rel32@lo+4
	s_addc_u32 s7, s7, _ZNK8migraphx13basic_printerIZNS_4coutEvEUlT_E_ElsEPKc@rel32@hi+12
	s_swappc_b64 s[30:31], s[6:7]
.LBB1_167:                              ;   in Loop: Header=BB1_165 Depth=1
	s_lshl_b64 s[4:5], s[34:35], 2
	v_mov_b32_e32 v4, 0
	s_waitcnt vmcnt(0) lgkmcnt(0)
	v_add_co_u32 v0, vcc_lo, v52, s4
	v_add_co_ci_u32_e32 v1, vcc_lo, s5, v53, vcc_lo
	v_readfirstlane_b32 s4, v64
	v_mov_b32_e32 v5, 0
	flat_load_dword v24, v[0:1]
	v_cmp_eq_u32_e64 s4, s4, v64
	s_and_saveexec_b32 s5, s4
	s_cbranch_execz .LBB1_173
; %bb.168:                              ;   in Loop: Header=BB1_165 Depth=1
	global_load_dwordx2 v[2:3], v37, s[28:29] offset:24 glc dlc
	s_waitcnt vmcnt(0)
	buffer_gl1_inv
	buffer_gl0_inv
	s_clause 0x1
	global_load_dwordx2 v[0:1], v37, s[28:29] offset:40
	global_load_dwordx2 v[4:5], v37, s[28:29]
	s_mov_b32 s6, exec_lo
	s_waitcnt vmcnt(1)
	v_and_b32_e32 v1, v1, v3
	v_and_b32_e32 v0, v0, v2
	v_mul_lo_u32 v1, v1, 24
	v_mul_hi_u32 v6, v0, 24
	v_mul_lo_u32 v0, v0, 24
	v_add_nc_u32_e32 v1, v6, v1
	s_waitcnt vmcnt(0)
	v_add_co_u32 v0, vcc_lo, v4, v0
	v_add_co_ci_u32_e32 v1, vcc_lo, v5, v1, vcc_lo
	global_load_dwordx2 v[0:1], v[0:1], off glc dlc
	s_waitcnt vmcnt(0)
	global_atomic_cmpswap_x2 v[4:5], v37, v[0:3], s[28:29] offset:24 glc
	s_waitcnt vmcnt(0)
	buffer_gl1_inv
	buffer_gl0_inv
	v_cmpx_ne_u64_e64 v[4:5], v[2:3]
	s_cbranch_execz .LBB1_172
; %bb.169:                              ;   in Loop: Header=BB1_165 Depth=1
	s_mov_b32 s7, 0
	.p2align	6
.LBB1_170:                              ;   Parent Loop BB1_165 Depth=1
                                        ; =>  This Inner Loop Header: Depth=2
	s_sleep 1
	s_clause 0x1
	global_load_dwordx2 v[0:1], v37, s[28:29] offset:40
	global_load_dwordx2 v[6:7], v37, s[28:29]
	v_mov_b32_e32 v2, v4
	v_mov_b32_e32 v3, v5
	s_waitcnt vmcnt(1)
	v_and_b32_e32 v0, v0, v2
	v_and_b32_e32 v1, v1, v3
	s_waitcnt vmcnt(0)
	v_mad_u64_u32 v[4:5], null, v0, 24, v[6:7]
	v_mov_b32_e32 v0, v5
	v_mad_u64_u32 v[0:1], null, v1, 24, v[0:1]
	v_mov_b32_e32 v5, v0
	global_load_dwordx2 v[0:1], v[4:5], off glc dlc
	s_waitcnt vmcnt(0)
	global_atomic_cmpswap_x2 v[4:5], v37, v[0:3], s[28:29] offset:24 glc
	s_waitcnt vmcnt(0)
	buffer_gl1_inv
	buffer_gl0_inv
	v_cmp_eq_u64_e32 vcc_lo, v[4:5], v[2:3]
	s_or_b32 s7, vcc_lo, s7
	s_andn2_b32 exec_lo, exec_lo, s7
	s_cbranch_execnz .LBB1_170
; %bb.171:                              ;   in Loop: Header=BB1_165 Depth=1
	s_or_b32 exec_lo, exec_lo, s7
.LBB1_172:                              ;   in Loop: Header=BB1_165 Depth=1
	s_or_b32 exec_lo, exec_lo, s6
.LBB1_173:                              ;   in Loop: Header=BB1_165 Depth=1
	s_or_b32 exec_lo, exec_lo, s5
	s_clause 0x1
	global_load_dwordx2 v[6:7], v37, s[28:29] offset:40
	global_load_dwordx4 v[0:3], v37, s[28:29]
	v_readfirstlane_b32 s6, v4
	v_readfirstlane_b32 s7, v5
	s_mov_b32 s5, exec_lo
	s_waitcnt vmcnt(1)
	v_readfirstlane_b32 s8, v6
	v_readfirstlane_b32 s9, v7
	s_and_b64 s[8:9], s[6:7], s[8:9]
	s_mul_i32 s10, s9, 24
	s_mul_hi_u32 s11, s8, 24
	s_mul_i32 s12, s8, 24
	s_add_i32 s11, s11, s10
	s_waitcnt vmcnt(0)
	v_add_co_u32 v4, vcc_lo, v0, s12
	v_add_co_ci_u32_e32 v5, vcc_lo, s11, v1, vcc_lo
	s_and_saveexec_b32 s10, s4
	s_cbranch_execz .LBB1_175
; %bb.174:                              ;   in Loop: Header=BB1_165 Depth=1
	v_mov_b32_e32 v36, s5
	global_store_dwordx4 v[4:5], v[36:39], off offset:8
.LBB1_175:                              ;   in Loop: Header=BB1_165 Depth=1
	s_or_b32 exec_lo, exec_lo, s10
	s_lshl_b64 s[8:9], s[8:9], 12
	v_mov_b32_e32 v10, s24
	v_add_co_u32 v8, vcc_lo, v2, s8
	v_add_co_ci_u32_e32 v9, vcc_lo, s9, v3, vcc_lo
	v_mov_b32_e32 v11, s25
	v_readfirstlane_b32 s8, v8
	v_mov_b32_e32 v12, s26
	v_readfirstlane_b32 s9, v9
	v_mov_b32_e32 v13, s27
	global_store_dwordx4 v65, v[48:51], s[8:9]
	global_store_dwordx4 v65, v[10:13], s[8:9] offset:16
	global_store_dwordx4 v65, v[10:13], s[8:9] offset:32
	;; [unrolled: 1-line block ×3, first 2 shown]
	s_and_saveexec_b32 s5, s4
	s_cbranch_execz .LBB1_183
; %bb.176:                              ;   in Loop: Header=BB1_165 Depth=1
	s_clause 0x1
	global_load_dwordx2 v[12:13], v37, s[28:29] offset:32 glc dlc
	global_load_dwordx2 v[2:3], v37, s[28:29] offset:40
	v_mov_b32_e32 v10, s6
	v_mov_b32_e32 v11, s7
	s_waitcnt vmcnt(0)
	v_readfirstlane_b32 s8, v2
	v_readfirstlane_b32 s9, v3
	s_and_b64 s[8:9], s[8:9], s[6:7]
	s_mul_i32 s9, s9, 24
	s_mul_hi_u32 s10, s8, 24
	s_mul_i32 s8, s8, 24
	s_add_i32 s10, s10, s9
	v_add_co_u32 v6, vcc_lo, v0, s8
	v_add_co_ci_u32_e32 v7, vcc_lo, s10, v1, vcc_lo
	s_mov_b32 s8, exec_lo
	global_store_dwordx2 v[6:7], v[12:13], off
	s_waitcnt_vscnt null, 0x0
	global_atomic_cmpswap_x2 v[2:3], v37, v[10:13], s[28:29] offset:32 glc
	s_waitcnt vmcnt(0)
	v_cmpx_ne_u64_e64 v[2:3], v[12:13]
	s_cbranch_execz .LBB1_179
; %bb.177:                              ;   in Loop: Header=BB1_165 Depth=1
	s_mov_b32 s9, 0
.LBB1_178:                              ;   Parent Loop BB1_165 Depth=1
                                        ; =>  This Inner Loop Header: Depth=2
	v_mov_b32_e32 v0, s6
	v_mov_b32_e32 v1, s7
	s_sleep 1
	global_store_dwordx2 v[6:7], v[2:3], off
	s_waitcnt_vscnt null, 0x0
	global_atomic_cmpswap_x2 v[0:1], v37, v[0:3], s[28:29] offset:32 glc
	s_waitcnt vmcnt(0)
	v_cmp_eq_u64_e32 vcc_lo, v[0:1], v[2:3]
	v_mov_b32_e32 v3, v1
	v_mov_b32_e32 v2, v0
	s_or_b32 s9, vcc_lo, s9
	s_andn2_b32 exec_lo, exec_lo, s9
	s_cbranch_execnz .LBB1_178
.LBB1_179:                              ;   in Loop: Header=BB1_165 Depth=1
	s_or_b32 exec_lo, exec_lo, s8
	global_load_dwordx2 v[0:1], v37, s[28:29] offset:16
	s_mov_b32 s9, exec_lo
	s_mov_b32 s8, exec_lo
	v_mbcnt_lo_u32_b32 v2, s9, 0
	v_cmpx_eq_u32_e32 0, v2
	s_cbranch_execz .LBB1_181
; %bb.180:                              ;   in Loop: Header=BB1_165 Depth=1
	s_bcnt1_i32_b32 s9, s9
	v_mov_b32_e32 v36, s9
	s_waitcnt vmcnt(0)
	global_atomic_add_x2 v[0:1], v[36:37], off offset:8
.LBB1_181:                              ;   in Loop: Header=BB1_165 Depth=1
	s_or_b32 exec_lo, exec_lo, s8
	s_waitcnt vmcnt(0)
	global_load_dwordx2 v[2:3], v[0:1], off offset:16
	s_waitcnt vmcnt(0)
	v_cmp_eq_u64_e32 vcc_lo, 0, v[2:3]
	s_cbranch_vccnz .LBB1_183
; %bb.182:                              ;   in Loop: Header=BB1_165 Depth=1
	global_load_dword v36, v[0:1], off offset:24
	s_waitcnt vmcnt(0)
	v_and_b32_e32 v0, 0x7fffff, v36
	s_waitcnt_vscnt null, 0x0
	global_store_dwordx2 v[2:3], v[36:37], off
	v_readfirstlane_b32 m0, v0
	s_sendmsg sendmsg(MSG_INTERRUPT)
.LBB1_183:                              ;   in Loop: Header=BB1_165 Depth=1
	s_or_b32 exec_lo, exec_lo, s5
	v_add_co_u32 v0, vcc_lo, v8, v65
	v_add_co_ci_u32_e32 v1, vcc_lo, 0, v9, vcc_lo
	s_branch .LBB1_187
	.p2align	6
.LBB1_184:                              ;   in Loop: Header=BB1_187 Depth=2
	s_or_b32 exec_lo, exec_lo, s5
	v_readfirstlane_b32 s5, v2
	s_cmp_eq_u32 s5, 0
	s_cbranch_scc1 .LBB1_186
; %bb.185:                              ;   in Loop: Header=BB1_187 Depth=2
	s_sleep 1
	s_cbranch_execnz .LBB1_187
	s_branch .LBB1_189
	.p2align	6
.LBB1_186:                              ;   in Loop: Header=BB1_165 Depth=1
	s_branch .LBB1_189
.LBB1_187:                              ;   Parent Loop BB1_165 Depth=1
                                        ; =>  This Inner Loop Header: Depth=2
	v_mov_b32_e32 v2, 1
	s_and_saveexec_b32 s5, s4
	s_cbranch_execz .LBB1_184
; %bb.188:                              ;   in Loop: Header=BB1_187 Depth=2
	global_load_dword v2, v[4:5], off offset:20 glc dlc
	s_waitcnt vmcnt(0)
	buffer_gl1_inv
	buffer_gl0_inv
	v_and_b32_e32 v2, 1, v2
	s_branch .LBB1_184
.LBB1_189:                              ;   in Loop: Header=BB1_165 Depth=1
	global_load_dwordx2 v[0:1], v[0:1], off
	s_and_saveexec_b32 s5, s4
	s_cbranch_execz .LBB1_193
; %bb.190:                              ;   in Loop: Header=BB1_165 Depth=1
	s_clause 0x2
	global_load_dwordx2 v[4:5], v37, s[28:29] offset:40
	global_load_dwordx2 v[8:9], v37, s[28:29] offset:24 glc dlc
	global_load_dwordx2 v[6:7], v37, s[28:29]
	s_waitcnt vmcnt(2)
	v_add_co_u32 v10, vcc_lo, v4, 1
	v_add_co_ci_u32_e32 v11, vcc_lo, 0, v5, vcc_lo
	v_add_co_u32 v2, vcc_lo, v10, s6
	v_add_co_ci_u32_e32 v3, vcc_lo, s7, v11, vcc_lo
	v_cmp_eq_u64_e32 vcc_lo, 0, v[2:3]
	v_cndmask_b32_e32 v3, v3, v11, vcc_lo
	v_cndmask_b32_e32 v2, v2, v10, vcc_lo
	v_and_b32_e32 v5, v3, v5
	v_and_b32_e32 v4, v2, v4
	v_mul_lo_u32 v5, v5, 24
	v_mul_hi_u32 v10, v4, 24
	v_mul_lo_u32 v4, v4, 24
	v_add_nc_u32_e32 v5, v10, v5
	s_waitcnt vmcnt(0)
	v_add_co_u32 v6, vcc_lo, v6, v4
	v_mov_b32_e32 v4, v8
	v_add_co_ci_u32_e32 v7, vcc_lo, v7, v5, vcc_lo
	v_mov_b32_e32 v5, v9
	global_store_dwordx2 v[6:7], v[8:9], off
	s_waitcnt_vscnt null, 0x0
	global_atomic_cmpswap_x2 v[4:5], v37, v[2:5], s[28:29] offset:24 glc
	s_waitcnt vmcnt(0)
	v_cmp_ne_u64_e32 vcc_lo, v[4:5], v[8:9]
	s_and_b32 exec_lo, exec_lo, vcc_lo
	s_cbranch_execz .LBB1_193
; %bb.191:                              ;   in Loop: Header=BB1_165 Depth=1
	s_mov_b32 s4, 0
.LBB1_192:                              ;   Parent Loop BB1_165 Depth=1
                                        ; =>  This Inner Loop Header: Depth=2
	s_sleep 1
	global_store_dwordx2 v[6:7], v[4:5], off
	s_waitcnt_vscnt null, 0x0
	global_atomic_cmpswap_x2 v[8:9], v37, v[2:5], s[28:29] offset:24 glc
	s_waitcnt vmcnt(0)
	v_cmp_eq_u64_e32 vcc_lo, v[8:9], v[4:5]
	v_mov_b32_e32 v4, v8
	v_mov_b32_e32 v5, v9
	s_or_b32 s4, vcc_lo, s4
	s_andn2_b32 exec_lo, exec_lo, s4
	s_cbranch_execnz .LBB1_192
.LBB1_193:                              ;   in Loop: Header=BB1_165 Depth=1
	s_or_b32 exec_lo, exec_lo, s5
	s_and_b32 vcc_lo, exec_lo, s36
	s_cbranch_vccz .LBB1_272
; %bb.194:                              ;   in Loop: Header=BB1_165 Depth=1
	s_waitcnt vmcnt(0)
	v_and_b32_e32 v25, 2, v0
	v_and_b32_e32 v2, -3, v0
	v_mov_b32_e32 v3, v1
	s_mov_b64 s[8:9], 4
	s_getpc_b64 s[6:7]
	s_add_u32 s6, s6, .str.7@rel32@lo+4
	s_addc_u32 s7, s7, .str.7@rel32@hi+12
	s_branch .LBB1_196
.LBB1_195:                              ;   in Loop: Header=BB1_196 Depth=2
	s_or_b32 exec_lo, exec_lo, s5
	s_sub_u32 s8, s8, s10
	s_subb_u32 s9, s9, s11
	s_add_u32 s6, s6, s10
	s_addc_u32 s7, s7, s11
	s_cmp_lg_u64 s[8:9], 0
	s_cbranch_scc0 .LBB1_271
.LBB1_196:                              ;   Parent Loop BB1_165 Depth=1
                                        ; =>  This Loop Header: Depth=2
                                        ;       Child Loop BB1_199 Depth 3
                                        ;       Child Loop BB1_206 Depth 3
	;; [unrolled: 1-line block ×11, first 2 shown]
	v_cmp_lt_u64_e64 s4, s[8:9], 56
	v_cmp_gt_u64_e64 s5, s[8:9], 7
	s_and_b32 s4, s4, exec_lo
	s_cselect_b32 s11, s9, 0
	s_cselect_b32 s10, s8, 56
	s_and_b32 vcc_lo, exec_lo, s5
	s_cbranch_vccnz .LBB1_201
; %bb.197:                              ;   in Loop: Header=BB1_196 Depth=2
	s_waitcnt vmcnt(0)
	v_mov_b32_e32 v4, 0
	v_mov_b32_e32 v5, 0
	s_cmp_eq_u64 s[8:9], 0
	s_mov_b64 s[4:5], 0
	s_cbranch_scc1 .LBB1_200
; %bb.198:                              ;   in Loop: Header=BB1_196 Depth=2
	v_mov_b32_e32 v4, 0
	v_mov_b32_e32 v5, 0
	s_lshl_b64 s[12:13], s[10:11], 3
	s_mov_b64 s[14:15], s[6:7]
.LBB1_199:                              ;   Parent Loop BB1_165 Depth=1
                                        ;     Parent Loop BB1_196 Depth=2
                                        ; =>    This Inner Loop Header: Depth=3
	global_load_ubyte v6, v37, s[14:15]
	s_waitcnt vmcnt(0)
	v_and_b32_e32 v36, 0xffff, v6
	v_lshlrev_b64 v[6:7], s4, v[36:37]
	s_add_u32 s4, s4, 8
	s_addc_u32 s5, s5, 0
	s_add_u32 s14, s14, 1
	s_addc_u32 s15, s15, 0
	s_cmp_lg_u32 s12, s4
	v_or_b32_e32 v4, v6, v4
	v_or_b32_e32 v5, v7, v5
	s_cbranch_scc1 .LBB1_199
.LBB1_200:                              ;   in Loop: Header=BB1_196 Depth=2
	s_mov_b32 s16, 0
	s_mov_b64 s[4:5], s[6:7]
	s_cbranch_execz .LBB1_202
	s_branch .LBB1_203
.LBB1_201:                              ;   in Loop: Header=BB1_196 Depth=2
                                        ; implicit-def: $vgpr4_vgpr5
                                        ; implicit-def: $sgpr16
	s_mov_b64 s[4:5], s[6:7]
.LBB1_202:                              ;   in Loop: Header=BB1_196 Depth=2
	global_load_dwordx2 v[4:5], v37, s[6:7]
	s_add_i32 s16, s10, -8
	s_add_u32 s4, s6, 8
	s_addc_u32 s5, s7, 0
.LBB1_203:                              ;   in Loop: Header=BB1_196 Depth=2
	s_cmp_gt_u32 s16, 7
	s_cbranch_scc1 .LBB1_208
; %bb.204:                              ;   in Loop: Header=BB1_196 Depth=2
	v_mov_b32_e32 v6, 0
	v_mov_b32_e32 v7, 0
	s_cmp_eq_u32 s16, 0
	s_cbranch_scc1 .LBB1_207
; %bb.205:                              ;   in Loop: Header=BB1_196 Depth=2
	s_mov_b64 s[12:13], 0
	s_mov_b64 s[14:15], 0
.LBB1_206:                              ;   Parent Loop BB1_165 Depth=1
                                        ;     Parent Loop BB1_196 Depth=2
                                        ; =>    This Inner Loop Header: Depth=3
	s_add_u32 s18, s4, s14
	s_addc_u32 s19, s5, s15
	s_add_u32 s14, s14, 1
	global_load_ubyte v8, v37, s[18:19]
	s_addc_u32 s15, s15, 0
	s_waitcnt vmcnt(0)
	v_and_b32_e32 v36, 0xffff, v8
	v_lshlrev_b64 v[8:9], s12, v[36:37]
	s_add_u32 s12, s12, 8
	s_addc_u32 s13, s13, 0
	s_cmp_lg_u32 s16, s14
	v_or_b32_e32 v6, v8, v6
	v_or_b32_e32 v7, v9, v7
	s_cbranch_scc1 .LBB1_206
.LBB1_207:                              ;   in Loop: Header=BB1_196 Depth=2
	s_mov_b32 s17, 0
	s_cbranch_execz .LBB1_209
	s_branch .LBB1_210
.LBB1_208:                              ;   in Loop: Header=BB1_196 Depth=2
                                        ; implicit-def: $vgpr6_vgpr7
                                        ; implicit-def: $sgpr17
.LBB1_209:                              ;   in Loop: Header=BB1_196 Depth=2
	global_load_dwordx2 v[6:7], v37, s[4:5]
	s_add_i32 s17, s16, -8
	s_add_u32 s4, s4, 8
	s_addc_u32 s5, s5, 0
.LBB1_210:                              ;   in Loop: Header=BB1_196 Depth=2
	s_cmp_gt_u32 s17, 7
	s_cbranch_scc1 .LBB1_215
; %bb.211:                              ;   in Loop: Header=BB1_196 Depth=2
	v_mov_b32_e32 v8, 0
	v_mov_b32_e32 v9, 0
	s_cmp_eq_u32 s17, 0
	s_cbranch_scc1 .LBB1_214
; %bb.212:                              ;   in Loop: Header=BB1_196 Depth=2
	s_mov_b64 s[12:13], 0
	s_mov_b64 s[14:15], 0
.LBB1_213:                              ;   Parent Loop BB1_165 Depth=1
                                        ;     Parent Loop BB1_196 Depth=2
                                        ; =>    This Inner Loop Header: Depth=3
	s_add_u32 s18, s4, s14
	s_addc_u32 s19, s5, s15
	s_add_u32 s14, s14, 1
	global_load_ubyte v10, v37, s[18:19]
	s_addc_u32 s15, s15, 0
	s_waitcnt vmcnt(0)
	v_and_b32_e32 v36, 0xffff, v10
	v_lshlrev_b64 v[10:11], s12, v[36:37]
	s_add_u32 s12, s12, 8
	s_addc_u32 s13, s13, 0
	s_cmp_lg_u32 s17, s14
	v_or_b32_e32 v8, v10, v8
	v_or_b32_e32 v9, v11, v9
	s_cbranch_scc1 .LBB1_213
.LBB1_214:                              ;   in Loop: Header=BB1_196 Depth=2
	s_mov_b32 s16, 0
	s_cbranch_execz .LBB1_216
	s_branch .LBB1_217
.LBB1_215:                              ;   in Loop: Header=BB1_196 Depth=2
                                        ; implicit-def: $sgpr16
.LBB1_216:                              ;   in Loop: Header=BB1_196 Depth=2
	global_load_dwordx2 v[8:9], v37, s[4:5]
	s_add_i32 s16, s17, -8
	s_add_u32 s4, s4, 8
	s_addc_u32 s5, s5, 0
.LBB1_217:                              ;   in Loop: Header=BB1_196 Depth=2
	s_cmp_gt_u32 s16, 7
	s_cbranch_scc1 .LBB1_222
; %bb.218:                              ;   in Loop: Header=BB1_196 Depth=2
	v_mov_b32_e32 v10, 0
	v_mov_b32_e32 v11, 0
	s_cmp_eq_u32 s16, 0
	s_cbranch_scc1 .LBB1_221
; %bb.219:                              ;   in Loop: Header=BB1_196 Depth=2
	s_mov_b64 s[12:13], 0
	s_mov_b64 s[14:15], 0
.LBB1_220:                              ;   Parent Loop BB1_165 Depth=1
                                        ;     Parent Loop BB1_196 Depth=2
                                        ; =>    This Inner Loop Header: Depth=3
	s_add_u32 s18, s4, s14
	s_addc_u32 s19, s5, s15
	s_add_u32 s14, s14, 1
	global_load_ubyte v12, v37, s[18:19]
	s_addc_u32 s15, s15, 0
	s_waitcnt vmcnt(0)
	v_and_b32_e32 v36, 0xffff, v12
	v_lshlrev_b64 v[12:13], s12, v[36:37]
	s_add_u32 s12, s12, 8
	s_addc_u32 s13, s13, 0
	s_cmp_lg_u32 s16, s14
	v_or_b32_e32 v10, v12, v10
	v_or_b32_e32 v11, v13, v11
	s_cbranch_scc1 .LBB1_220
.LBB1_221:                              ;   in Loop: Header=BB1_196 Depth=2
	s_mov_b32 s17, 0
	s_cbranch_execz .LBB1_223
	s_branch .LBB1_224
.LBB1_222:                              ;   in Loop: Header=BB1_196 Depth=2
                                        ; implicit-def: $vgpr10_vgpr11
                                        ; implicit-def: $sgpr17
.LBB1_223:                              ;   in Loop: Header=BB1_196 Depth=2
	global_load_dwordx2 v[10:11], v37, s[4:5]
	s_add_i32 s17, s16, -8
	s_add_u32 s4, s4, 8
	s_addc_u32 s5, s5, 0
.LBB1_224:                              ;   in Loop: Header=BB1_196 Depth=2
	s_cmp_gt_u32 s17, 7
	s_cbranch_scc1 .LBB1_229
; %bb.225:                              ;   in Loop: Header=BB1_196 Depth=2
	v_mov_b32_e32 v12, 0
	v_mov_b32_e32 v13, 0
	s_cmp_eq_u32 s17, 0
	s_cbranch_scc1 .LBB1_228
; %bb.226:                              ;   in Loop: Header=BB1_196 Depth=2
	s_mov_b64 s[12:13], 0
	s_mov_b64 s[14:15], 0
.LBB1_227:                              ;   Parent Loop BB1_165 Depth=1
                                        ;     Parent Loop BB1_196 Depth=2
                                        ; =>    This Inner Loop Header: Depth=3
	s_add_u32 s18, s4, s14
	s_addc_u32 s19, s5, s15
	s_add_u32 s14, s14, 1
	global_load_ubyte v14, v37, s[18:19]
	s_addc_u32 s15, s15, 0
	s_waitcnt vmcnt(0)
	v_and_b32_e32 v36, 0xffff, v14
	v_lshlrev_b64 v[14:15], s12, v[36:37]
	s_add_u32 s12, s12, 8
	s_addc_u32 s13, s13, 0
	s_cmp_lg_u32 s17, s14
	v_or_b32_e32 v12, v14, v12
	v_or_b32_e32 v13, v15, v13
	s_cbranch_scc1 .LBB1_227
.LBB1_228:                              ;   in Loop: Header=BB1_196 Depth=2
	s_mov_b32 s16, 0
	s_cbranch_execz .LBB1_230
	s_branch .LBB1_231
.LBB1_229:                              ;   in Loop: Header=BB1_196 Depth=2
                                        ; implicit-def: $sgpr16
.LBB1_230:                              ;   in Loop: Header=BB1_196 Depth=2
	global_load_dwordx2 v[12:13], v37, s[4:5]
	s_add_i32 s16, s17, -8
	s_add_u32 s4, s4, 8
	s_addc_u32 s5, s5, 0
.LBB1_231:                              ;   in Loop: Header=BB1_196 Depth=2
	s_cmp_gt_u32 s16, 7
	s_cbranch_scc1 .LBB1_236
; %bb.232:                              ;   in Loop: Header=BB1_196 Depth=2
	v_mov_b32_e32 v14, 0
	v_mov_b32_e32 v15, 0
	s_cmp_eq_u32 s16, 0
	s_cbranch_scc1 .LBB1_235
; %bb.233:                              ;   in Loop: Header=BB1_196 Depth=2
	s_mov_b64 s[12:13], 0
	s_mov_b64 s[14:15], 0
.LBB1_234:                              ;   Parent Loop BB1_165 Depth=1
                                        ;     Parent Loop BB1_196 Depth=2
                                        ; =>    This Inner Loop Header: Depth=3
	s_add_u32 s18, s4, s14
	s_addc_u32 s19, s5, s15
	s_add_u32 s14, s14, 1
	global_load_ubyte v16, v37, s[18:19]
	s_addc_u32 s15, s15, 0
	s_waitcnt vmcnt(0)
	v_and_b32_e32 v36, 0xffff, v16
	v_lshlrev_b64 v[16:17], s12, v[36:37]
	s_add_u32 s12, s12, 8
	s_addc_u32 s13, s13, 0
	s_cmp_lg_u32 s16, s14
	v_or_b32_e32 v14, v16, v14
	v_or_b32_e32 v15, v17, v15
	s_cbranch_scc1 .LBB1_234
.LBB1_235:                              ;   in Loop: Header=BB1_196 Depth=2
	s_mov_b32 s17, 0
	s_cbranch_execz .LBB1_237
	s_branch .LBB1_238
.LBB1_236:                              ;   in Loop: Header=BB1_196 Depth=2
                                        ; implicit-def: $vgpr14_vgpr15
                                        ; implicit-def: $sgpr17
.LBB1_237:                              ;   in Loop: Header=BB1_196 Depth=2
	global_load_dwordx2 v[14:15], v37, s[4:5]
	s_add_i32 s17, s16, -8
	s_add_u32 s4, s4, 8
	s_addc_u32 s5, s5, 0
.LBB1_238:                              ;   in Loop: Header=BB1_196 Depth=2
	s_cmp_gt_u32 s17, 7
	s_cbranch_scc1 .LBB1_243
; %bb.239:                              ;   in Loop: Header=BB1_196 Depth=2
	v_mov_b32_e32 v16, 0
	v_mov_b32_e32 v17, 0
	s_cmp_eq_u32 s17, 0
	s_cbranch_scc1 .LBB1_242
; %bb.240:                              ;   in Loop: Header=BB1_196 Depth=2
	s_mov_b64 s[12:13], 0
	s_mov_b64 s[14:15], s[4:5]
.LBB1_241:                              ;   Parent Loop BB1_165 Depth=1
                                        ;     Parent Loop BB1_196 Depth=2
                                        ; =>    This Inner Loop Header: Depth=3
	global_load_ubyte v18, v37, s[14:15]
	s_add_i32 s17, s17, -1
	s_waitcnt vmcnt(0)
	v_and_b32_e32 v36, 0xffff, v18
	v_lshlrev_b64 v[18:19], s12, v[36:37]
	s_add_u32 s12, s12, 8
	s_addc_u32 s13, s13, 0
	s_add_u32 s14, s14, 1
	s_addc_u32 s15, s15, 0
	s_cmp_lg_u32 s17, 0
	v_or_b32_e32 v16, v18, v16
	v_or_b32_e32 v17, v19, v17
	s_cbranch_scc1 .LBB1_241
.LBB1_242:                              ;   in Loop: Header=BB1_196 Depth=2
	s_cbranch_execz .LBB1_244
	s_branch .LBB1_245
.LBB1_243:                              ;   in Loop: Header=BB1_196 Depth=2
.LBB1_244:                              ;   in Loop: Header=BB1_196 Depth=2
	global_load_dwordx2 v[16:17], v37, s[4:5]
.LBB1_245:                              ;   in Loop: Header=BB1_196 Depth=2
	v_readfirstlane_b32 s4, v64
	v_mov_b32_e32 v22, 0
	v_mov_b32_e32 v23, 0
	v_cmp_eq_u32_e64 s4, s4, v64
	s_and_saveexec_b32 s5, s4
	s_cbranch_execz .LBB1_251
; %bb.246:                              ;   in Loop: Header=BB1_196 Depth=2
	global_load_dwordx2 v[20:21], v37, s[28:29] offset:24 glc dlc
	s_waitcnt vmcnt(0)
	buffer_gl1_inv
	buffer_gl0_inv
	s_clause 0x1
	global_load_dwordx2 v[18:19], v37, s[28:29] offset:40
	global_load_dwordx2 v[22:23], v37, s[28:29]
	s_mov_b32 s12, exec_lo
	s_waitcnt vmcnt(1)
	v_and_b32_e32 v19, v19, v21
	v_and_b32_e32 v18, v18, v20
	v_mul_lo_u32 v19, v19, 24
	v_mul_hi_u32 v26, v18, 24
	v_mul_lo_u32 v18, v18, 24
	v_add_nc_u32_e32 v19, v26, v19
	s_waitcnt vmcnt(0)
	v_add_co_u32 v18, vcc_lo, v22, v18
	v_add_co_ci_u32_e32 v19, vcc_lo, v23, v19, vcc_lo
	global_load_dwordx2 v[18:19], v[18:19], off glc dlc
	s_waitcnt vmcnt(0)
	global_atomic_cmpswap_x2 v[22:23], v37, v[18:21], s[28:29] offset:24 glc
	s_waitcnt vmcnt(0)
	buffer_gl1_inv
	buffer_gl0_inv
	v_cmpx_ne_u64_e64 v[22:23], v[20:21]
	s_cbranch_execz .LBB1_250
; %bb.247:                              ;   in Loop: Header=BB1_196 Depth=2
	s_mov_b32 s13, 0
	.p2align	6
.LBB1_248:                              ;   Parent Loop BB1_165 Depth=1
                                        ;     Parent Loop BB1_196 Depth=2
                                        ; =>    This Inner Loop Header: Depth=3
	s_sleep 1
	s_clause 0x1
	global_load_dwordx2 v[18:19], v37, s[28:29] offset:40
	global_load_dwordx2 v[26:27], v37, s[28:29]
	v_mov_b32_e32 v20, v22
	v_mov_b32_e32 v21, v23
	s_waitcnt vmcnt(1)
	v_and_b32_e32 v18, v18, v20
	v_and_b32_e32 v19, v19, v21
	s_waitcnt vmcnt(0)
	v_mad_u64_u32 v[22:23], null, v18, 24, v[26:27]
	v_mov_b32_e32 v18, v23
	v_mad_u64_u32 v[18:19], null, v19, 24, v[18:19]
	v_mov_b32_e32 v23, v18
	global_load_dwordx2 v[18:19], v[22:23], off glc dlc
	s_waitcnt vmcnt(0)
	global_atomic_cmpswap_x2 v[22:23], v37, v[18:21], s[28:29] offset:24 glc
	s_waitcnt vmcnt(0)
	buffer_gl1_inv
	buffer_gl0_inv
	v_cmp_eq_u64_e32 vcc_lo, v[22:23], v[20:21]
	s_or_b32 s13, vcc_lo, s13
	s_andn2_b32 exec_lo, exec_lo, s13
	s_cbranch_execnz .LBB1_248
; %bb.249:                              ;   in Loop: Header=BB1_196 Depth=2
	s_or_b32 exec_lo, exec_lo, s13
.LBB1_250:                              ;   in Loop: Header=BB1_196 Depth=2
	s_or_b32 exec_lo, exec_lo, s12
.LBB1_251:                              ;   in Loop: Header=BB1_196 Depth=2
	s_or_b32 exec_lo, exec_lo, s5
	s_clause 0x1
	global_load_dwordx2 v[26:27], v37, s[28:29] offset:40
	global_load_dwordx4 v[18:21], v37, s[28:29]
	v_readfirstlane_b32 s12, v22
	v_readfirstlane_b32 s13, v23
	s_mov_b32 s5, exec_lo
	s_waitcnt vmcnt(1)
	v_readfirstlane_b32 s14, v26
	v_readfirstlane_b32 s15, v27
	s_and_b64 s[14:15], s[12:13], s[14:15]
	s_mul_i32 s16, s15, 24
	s_mul_hi_u32 s17, s14, 24
	s_mul_i32 s18, s14, 24
	s_add_i32 s17, s17, s16
	s_waitcnt vmcnt(0)
	v_add_co_u32 v22, vcc_lo, v18, s18
	v_add_co_ci_u32_e32 v23, vcc_lo, s17, v19, vcc_lo
	s_and_saveexec_b32 s16, s4
	s_cbranch_execz .LBB1_253
; %bb.252:                              ;   in Loop: Header=BB1_196 Depth=2
	v_mov_b32_e32 v36, s5
	global_store_dwordx4 v[22:23], v[36:39], off offset:8
.LBB1_253:                              ;   in Loop: Header=BB1_196 Depth=2
	s_or_b32 exec_lo, exec_lo, s16
	s_lshl_b64 s[14:15], s[14:15], 12
	v_cmp_gt_u64_e64 vcc_lo, s[8:9], 56
	v_or_b32_e32 v27, v2, v25
	v_add_co_u32 v20, s5, v20, s14
	v_add_co_ci_u32_e64 v21, s5, s15, v21, s5
	s_lshl_b32 s5, s10, 2
	v_or_b32_e32 v26, 0, v3
	v_cndmask_b32_e32 v2, v27, v2, vcc_lo
	s_add_i32 s5, s5, 28
	v_readfirstlane_b32 s14, v20
	s_and_b32 s5, s5, 0x1e0
	v_cndmask_b32_e32 v3, v26, v3, vcc_lo
	v_readfirstlane_b32 s15, v21
	v_and_or_b32 v2, 0xffffff1f, v2, s5
	global_store_dwordx4 v65, v[2:5], s[14:15]
	global_store_dwordx4 v65, v[6:9], s[14:15] offset:16
	global_store_dwordx4 v65, v[10:13], s[14:15] offset:32
	;; [unrolled: 1-line block ×3, first 2 shown]
	s_and_saveexec_b32 s5, s4
	s_cbranch_execz .LBB1_261
; %bb.254:                              ;   in Loop: Header=BB1_196 Depth=2
	s_clause 0x1
	global_load_dwordx2 v[10:11], v37, s[28:29] offset:32 glc dlc
	global_load_dwordx2 v[2:3], v37, s[28:29] offset:40
	v_mov_b32_e32 v8, s12
	v_mov_b32_e32 v9, s13
	s_waitcnt vmcnt(0)
	v_readfirstlane_b32 s14, v2
	v_readfirstlane_b32 s15, v3
	s_and_b64 s[14:15], s[14:15], s[12:13]
	s_mul_i32 s15, s15, 24
	s_mul_hi_u32 s16, s14, 24
	s_mul_i32 s14, s14, 24
	s_add_i32 s16, s16, s15
	v_add_co_u32 v6, vcc_lo, v18, s14
	v_add_co_ci_u32_e32 v7, vcc_lo, s16, v19, vcc_lo
	s_mov_b32 s14, exec_lo
	global_store_dwordx2 v[6:7], v[10:11], off
	s_waitcnt_vscnt null, 0x0
	global_atomic_cmpswap_x2 v[4:5], v37, v[8:11], s[28:29] offset:32 glc
	s_waitcnt vmcnt(0)
	v_cmpx_ne_u64_e64 v[4:5], v[10:11]
	s_cbranch_execz .LBB1_257
; %bb.255:                              ;   in Loop: Header=BB1_196 Depth=2
	s_mov_b32 s15, 0
.LBB1_256:                              ;   Parent Loop BB1_165 Depth=1
                                        ;     Parent Loop BB1_196 Depth=2
                                        ; =>    This Inner Loop Header: Depth=3
	v_mov_b32_e32 v2, s12
	v_mov_b32_e32 v3, s13
	s_sleep 1
	global_store_dwordx2 v[6:7], v[4:5], off
	s_waitcnt_vscnt null, 0x0
	global_atomic_cmpswap_x2 v[2:3], v37, v[2:5], s[28:29] offset:32 glc
	s_waitcnt vmcnt(0)
	v_cmp_eq_u64_e32 vcc_lo, v[2:3], v[4:5]
	v_mov_b32_e32 v5, v3
	v_mov_b32_e32 v4, v2
	s_or_b32 s15, vcc_lo, s15
	s_andn2_b32 exec_lo, exec_lo, s15
	s_cbranch_execnz .LBB1_256
.LBB1_257:                              ;   in Loop: Header=BB1_196 Depth=2
	s_or_b32 exec_lo, exec_lo, s14
	global_load_dwordx2 v[2:3], v37, s[28:29] offset:16
	s_mov_b32 s15, exec_lo
	s_mov_b32 s14, exec_lo
	v_mbcnt_lo_u32_b32 v4, s15, 0
	v_cmpx_eq_u32_e32 0, v4
	s_cbranch_execz .LBB1_259
; %bb.258:                              ;   in Loop: Header=BB1_196 Depth=2
	s_bcnt1_i32_b32 s15, s15
	v_mov_b32_e32 v36, s15
	s_waitcnt vmcnt(0)
	global_atomic_add_x2 v[2:3], v[36:37], off offset:8
.LBB1_259:                              ;   in Loop: Header=BB1_196 Depth=2
	s_or_b32 exec_lo, exec_lo, s14
	s_waitcnt vmcnt(0)
	global_load_dwordx2 v[4:5], v[2:3], off offset:16
	s_waitcnt vmcnt(0)
	v_cmp_eq_u64_e32 vcc_lo, 0, v[4:5]
	s_cbranch_vccnz .LBB1_261
; %bb.260:                              ;   in Loop: Header=BB1_196 Depth=2
	global_load_dword v36, v[2:3], off offset:24
	s_waitcnt vmcnt(0)
	v_and_b32_e32 v2, 0x7fffff, v36
	s_waitcnt_vscnt null, 0x0
	global_store_dwordx2 v[4:5], v[36:37], off
	v_readfirstlane_b32 m0, v2
	s_sendmsg sendmsg(MSG_INTERRUPT)
.LBB1_261:                              ;   in Loop: Header=BB1_196 Depth=2
	s_or_b32 exec_lo, exec_lo, s5
	v_add_co_u32 v2, vcc_lo, v20, v65
	v_add_co_ci_u32_e32 v3, vcc_lo, 0, v21, vcc_lo
	s_branch .LBB1_265
	.p2align	6
.LBB1_262:                              ;   in Loop: Header=BB1_265 Depth=3
	s_or_b32 exec_lo, exec_lo, s5
	v_readfirstlane_b32 s5, v4
	s_cmp_eq_u32 s5, 0
	s_cbranch_scc1 .LBB1_264
; %bb.263:                              ;   in Loop: Header=BB1_265 Depth=3
	s_sleep 1
	s_cbranch_execnz .LBB1_265
	s_branch .LBB1_267
	.p2align	6
.LBB1_264:                              ;   in Loop: Header=BB1_196 Depth=2
	s_branch .LBB1_267
.LBB1_265:                              ;   Parent Loop BB1_165 Depth=1
                                        ;     Parent Loop BB1_196 Depth=2
                                        ; =>    This Inner Loop Header: Depth=3
	v_mov_b32_e32 v4, 1
	s_and_saveexec_b32 s5, s4
	s_cbranch_execz .LBB1_262
; %bb.266:                              ;   in Loop: Header=BB1_265 Depth=3
	global_load_dword v4, v[22:23], off offset:20 glc dlc
	s_waitcnt vmcnt(0)
	buffer_gl1_inv
	buffer_gl0_inv
	v_and_b32_e32 v4, 1, v4
	s_branch .LBB1_262
.LBB1_267:                              ;   in Loop: Header=BB1_196 Depth=2
	global_load_dwordx4 v[2:5], v[2:3], off
	s_and_saveexec_b32 s5, s4
	s_cbranch_execz .LBB1_195
; %bb.268:                              ;   in Loop: Header=BB1_196 Depth=2
	s_clause 0x2
	global_load_dwordx2 v[6:7], v37, s[28:29] offset:40
	global_load_dwordx2 v[10:11], v37, s[28:29] offset:24 glc dlc
	global_load_dwordx2 v[8:9], v37, s[28:29]
	s_waitcnt vmcnt(2)
	v_add_co_u32 v12, vcc_lo, v6, 1
	v_add_co_ci_u32_e32 v13, vcc_lo, 0, v7, vcc_lo
	v_add_co_u32 v4, vcc_lo, v12, s12
	v_add_co_ci_u32_e32 v5, vcc_lo, s13, v13, vcc_lo
	v_cmp_eq_u64_e32 vcc_lo, 0, v[4:5]
	v_cndmask_b32_e32 v5, v5, v13, vcc_lo
	v_cndmask_b32_e32 v4, v4, v12, vcc_lo
	v_and_b32_e32 v7, v5, v7
	v_and_b32_e32 v6, v4, v6
	v_mul_lo_u32 v7, v7, 24
	v_mul_hi_u32 v12, v6, 24
	v_mul_lo_u32 v6, v6, 24
	v_add_nc_u32_e32 v7, v12, v7
	s_waitcnt vmcnt(0)
	v_add_co_u32 v8, vcc_lo, v8, v6
	v_mov_b32_e32 v6, v10
	v_add_co_ci_u32_e32 v9, vcc_lo, v9, v7, vcc_lo
	v_mov_b32_e32 v7, v11
	global_store_dwordx2 v[8:9], v[10:11], off
	s_waitcnt_vscnt null, 0x0
	global_atomic_cmpswap_x2 v[6:7], v37, v[4:7], s[28:29] offset:24 glc
	s_waitcnt vmcnt(0)
	v_cmp_ne_u64_e32 vcc_lo, v[6:7], v[10:11]
	s_and_b32 exec_lo, exec_lo, vcc_lo
	s_cbranch_execz .LBB1_195
; %bb.269:                              ;   in Loop: Header=BB1_196 Depth=2
	s_mov_b32 s4, 0
.LBB1_270:                              ;   Parent Loop BB1_165 Depth=1
                                        ;     Parent Loop BB1_196 Depth=2
                                        ; =>    This Inner Loop Header: Depth=3
	s_sleep 1
	global_store_dwordx2 v[8:9], v[6:7], off
	s_waitcnt_vscnt null, 0x0
	global_atomic_cmpswap_x2 v[10:11], v37, v[4:7], s[28:29] offset:24 glc
	s_waitcnt vmcnt(0)
	v_cmp_eq_u64_e32 vcc_lo, v[10:11], v[6:7]
	v_mov_b32_e32 v6, v10
	v_mov_b32_e32 v7, v11
	s_or_b32 s4, vcc_lo, s4
	s_andn2_b32 exec_lo, exec_lo, s4
	s_cbranch_execnz .LBB1_270
	s_branch .LBB1_195
.LBB1_271:                              ;   in Loop: Header=BB1_165 Depth=1
	s_branch .LBB1_300
.LBB1_272:                              ;   in Loop: Header=BB1_165 Depth=1
                                        ; implicit-def: $vgpr2_vgpr3
	s_cbranch_execz .LBB1_300
; %bb.273:                              ;   in Loop: Header=BB1_165 Depth=1
	v_readfirstlane_b32 s4, v64
	s_waitcnt vmcnt(0)
	v_mov_b32_e32 v2, 0
	v_mov_b32_e32 v3, 0
	v_cmp_eq_u32_e64 s4, s4, v64
	s_and_saveexec_b32 s5, s4
	s_cbranch_execz .LBB1_279
; %bb.274:                              ;   in Loop: Header=BB1_165 Depth=1
	global_load_dwordx2 v[4:5], v37, s[28:29] offset:24 glc dlc
	s_waitcnt vmcnt(0)
	buffer_gl1_inv
	buffer_gl0_inv
	s_clause 0x1
	global_load_dwordx2 v[2:3], v37, s[28:29] offset:40
	global_load_dwordx2 v[6:7], v37, s[28:29]
	s_mov_b32 s6, exec_lo
	s_waitcnt vmcnt(1)
	v_and_b32_e32 v3, v3, v5
	v_and_b32_e32 v2, v2, v4
	v_mul_lo_u32 v3, v3, 24
	v_mul_hi_u32 v8, v2, 24
	v_mul_lo_u32 v2, v2, 24
	v_add_nc_u32_e32 v3, v8, v3
	s_waitcnt vmcnt(0)
	v_add_co_u32 v2, vcc_lo, v6, v2
	v_add_co_ci_u32_e32 v3, vcc_lo, v7, v3, vcc_lo
	global_load_dwordx2 v[2:3], v[2:3], off glc dlc
	s_waitcnt vmcnt(0)
	global_atomic_cmpswap_x2 v[2:3], v37, v[2:5], s[28:29] offset:24 glc
	s_waitcnt vmcnt(0)
	buffer_gl1_inv
	buffer_gl0_inv
	v_cmpx_ne_u64_e64 v[2:3], v[4:5]
	s_cbranch_execz .LBB1_278
; %bb.275:                              ;   in Loop: Header=BB1_165 Depth=1
	s_mov_b32 s7, 0
	.p2align	6
.LBB1_276:                              ;   Parent Loop BB1_165 Depth=1
                                        ; =>  This Inner Loop Header: Depth=2
	s_sleep 1
	s_clause 0x1
	global_load_dwordx2 v[6:7], v37, s[28:29] offset:40
	global_load_dwordx2 v[8:9], v37, s[28:29]
	v_mov_b32_e32 v5, v3
	v_mov_b32_e32 v4, v2
	s_waitcnt vmcnt(1)
	v_and_b32_e32 v2, v6, v4
	v_and_b32_e32 v6, v7, v5
	s_waitcnt vmcnt(0)
	v_mad_u64_u32 v[2:3], null, v2, 24, v[8:9]
	v_mad_u64_u32 v[6:7], null, v6, 24, v[3:4]
	v_mov_b32_e32 v3, v6
	global_load_dwordx2 v[2:3], v[2:3], off glc dlc
	s_waitcnt vmcnt(0)
	global_atomic_cmpswap_x2 v[2:3], v37, v[2:5], s[28:29] offset:24 glc
	s_waitcnt vmcnt(0)
	buffer_gl1_inv
	buffer_gl0_inv
	v_cmp_eq_u64_e32 vcc_lo, v[2:3], v[4:5]
	s_or_b32 s7, vcc_lo, s7
	s_andn2_b32 exec_lo, exec_lo, s7
	s_cbranch_execnz .LBB1_276
; %bb.277:                              ;   in Loop: Header=BB1_165 Depth=1
	s_or_b32 exec_lo, exec_lo, s7
.LBB1_278:                              ;   in Loop: Header=BB1_165 Depth=1
	s_or_b32 exec_lo, exec_lo, s6
.LBB1_279:                              ;   in Loop: Header=BB1_165 Depth=1
	s_or_b32 exec_lo, exec_lo, s5
	s_clause 0x1
	global_load_dwordx2 v[8:9], v37, s[28:29] offset:40
	global_load_dwordx4 v[4:7], v37, s[28:29]
	v_readfirstlane_b32 s6, v2
	v_readfirstlane_b32 s7, v3
	s_mov_b32 s5, exec_lo
	s_waitcnt vmcnt(1)
	v_readfirstlane_b32 s8, v8
	v_readfirstlane_b32 s9, v9
	s_and_b64 s[8:9], s[6:7], s[8:9]
	s_mul_i32 s10, s9, 24
	s_mul_hi_u32 s11, s8, 24
	s_mul_i32 s12, s8, 24
	s_add_i32 s11, s11, s10
	s_waitcnt vmcnt(0)
	v_add_co_u32 v8, vcc_lo, v4, s12
	v_add_co_ci_u32_e32 v9, vcc_lo, s11, v5, vcc_lo
	s_and_saveexec_b32 s10, s4
	s_cbranch_execz .LBB1_281
; %bb.280:                              ;   in Loop: Header=BB1_165 Depth=1
	v_mov_b32_e32 v36, s5
	global_store_dwordx4 v[8:9], v[36:39], off offset:8
.LBB1_281:                              ;   in Loop: Header=BB1_165 Depth=1
	s_or_b32 exec_lo, exec_lo, s10
	s_lshl_b64 s[8:9], s[8:9], 12
	v_and_or_b32 v0, 0xffffff1f, v0, 32
	v_add_co_u32 v6, vcc_lo, v6, s8
	v_add_co_ci_u32_e32 v7, vcc_lo, s9, v7, vcc_lo
	v_mov_b32_e32 v2, v37
	v_mov_b32_e32 v3, v37
	v_readfirstlane_b32 s8, v6
	v_readfirstlane_b32 s9, v7
	v_mov_b32_e32 v10, s24
	v_mov_b32_e32 v11, s25
	;; [unrolled: 1-line block ×4, first 2 shown]
	global_store_dwordx4 v65, v[0:3], s[8:9]
	global_store_dwordx4 v65, v[10:13], s[8:9] offset:16
	global_store_dwordx4 v65, v[10:13], s[8:9] offset:32
	;; [unrolled: 1-line block ×3, first 2 shown]
	s_and_saveexec_b32 s5, s4
	s_cbranch_execz .LBB1_289
; %bb.282:                              ;   in Loop: Header=BB1_165 Depth=1
	s_clause 0x1
	global_load_dwordx2 v[12:13], v37, s[28:29] offset:32 glc dlc
	global_load_dwordx2 v[0:1], v37, s[28:29] offset:40
	v_mov_b32_e32 v10, s6
	v_mov_b32_e32 v11, s7
	s_waitcnt vmcnt(0)
	v_readfirstlane_b32 s8, v0
	v_readfirstlane_b32 s9, v1
	s_and_b64 s[8:9], s[8:9], s[6:7]
	s_mul_i32 s9, s9, 24
	s_mul_hi_u32 s10, s8, 24
	s_mul_i32 s8, s8, 24
	s_add_i32 s10, s10, s9
	v_add_co_u32 v4, vcc_lo, v4, s8
	v_add_co_ci_u32_e32 v5, vcc_lo, s10, v5, vcc_lo
	s_mov_b32 s8, exec_lo
	global_store_dwordx2 v[4:5], v[12:13], off
	s_waitcnt_vscnt null, 0x0
	global_atomic_cmpswap_x2 v[2:3], v37, v[10:13], s[28:29] offset:32 glc
	s_waitcnt vmcnt(0)
	v_cmpx_ne_u64_e64 v[2:3], v[12:13]
	s_cbranch_execz .LBB1_285
; %bb.283:                              ;   in Loop: Header=BB1_165 Depth=1
	s_mov_b32 s9, 0
.LBB1_284:                              ;   Parent Loop BB1_165 Depth=1
                                        ; =>  This Inner Loop Header: Depth=2
	v_mov_b32_e32 v0, s6
	v_mov_b32_e32 v1, s7
	s_sleep 1
	global_store_dwordx2 v[4:5], v[2:3], off
	s_waitcnt_vscnt null, 0x0
	global_atomic_cmpswap_x2 v[0:1], v37, v[0:3], s[28:29] offset:32 glc
	s_waitcnt vmcnt(0)
	v_cmp_eq_u64_e32 vcc_lo, v[0:1], v[2:3]
	v_mov_b32_e32 v3, v1
	v_mov_b32_e32 v2, v0
	s_or_b32 s9, vcc_lo, s9
	s_andn2_b32 exec_lo, exec_lo, s9
	s_cbranch_execnz .LBB1_284
.LBB1_285:                              ;   in Loop: Header=BB1_165 Depth=1
	s_or_b32 exec_lo, exec_lo, s8
	global_load_dwordx2 v[0:1], v37, s[28:29] offset:16
	s_mov_b32 s9, exec_lo
	s_mov_b32 s8, exec_lo
	v_mbcnt_lo_u32_b32 v2, s9, 0
	v_cmpx_eq_u32_e32 0, v2
	s_cbranch_execz .LBB1_287
; %bb.286:                              ;   in Loop: Header=BB1_165 Depth=1
	s_bcnt1_i32_b32 s9, s9
	v_mov_b32_e32 v36, s9
	s_waitcnt vmcnt(0)
	global_atomic_add_x2 v[0:1], v[36:37], off offset:8
.LBB1_287:                              ;   in Loop: Header=BB1_165 Depth=1
	s_or_b32 exec_lo, exec_lo, s8
	s_waitcnt vmcnt(0)
	global_load_dwordx2 v[2:3], v[0:1], off offset:16
	s_waitcnt vmcnt(0)
	v_cmp_eq_u64_e32 vcc_lo, 0, v[2:3]
	s_cbranch_vccnz .LBB1_289
; %bb.288:                              ;   in Loop: Header=BB1_165 Depth=1
	global_load_dword v36, v[0:1], off offset:24
	s_waitcnt vmcnt(0)
	v_and_b32_e32 v0, 0x7fffff, v36
	s_waitcnt_vscnt null, 0x0
	global_store_dwordx2 v[2:3], v[36:37], off
	v_readfirstlane_b32 m0, v0
	s_sendmsg sendmsg(MSG_INTERRUPT)
.LBB1_289:                              ;   in Loop: Header=BB1_165 Depth=1
	s_or_b32 exec_lo, exec_lo, s5
	v_add_co_u32 v0, vcc_lo, v6, v65
	v_add_co_ci_u32_e32 v1, vcc_lo, 0, v7, vcc_lo
	s_branch .LBB1_293
	.p2align	6
.LBB1_290:                              ;   in Loop: Header=BB1_293 Depth=2
	s_or_b32 exec_lo, exec_lo, s5
	v_readfirstlane_b32 s5, v2
	s_cmp_eq_u32 s5, 0
	s_cbranch_scc1 .LBB1_292
; %bb.291:                              ;   in Loop: Header=BB1_293 Depth=2
	s_sleep 1
	s_cbranch_execnz .LBB1_293
	s_branch .LBB1_295
	.p2align	6
.LBB1_292:                              ;   in Loop: Header=BB1_165 Depth=1
	s_branch .LBB1_295
.LBB1_293:                              ;   Parent Loop BB1_165 Depth=1
                                        ; =>  This Inner Loop Header: Depth=2
	v_mov_b32_e32 v2, 1
	s_and_saveexec_b32 s5, s4
	s_cbranch_execz .LBB1_290
; %bb.294:                              ;   in Loop: Header=BB1_293 Depth=2
	global_load_dword v2, v[8:9], off offset:20 glc dlc
	s_waitcnt vmcnt(0)
	buffer_gl1_inv
	buffer_gl0_inv
	v_and_b32_e32 v2, 1, v2
	s_branch .LBB1_290
.LBB1_295:                              ;   in Loop: Header=BB1_165 Depth=1
	global_load_dwordx2 v[2:3], v[0:1], off
	s_and_saveexec_b32 s5, s4
	s_cbranch_execz .LBB1_299
; %bb.296:                              ;   in Loop: Header=BB1_165 Depth=1
	s_clause 0x2
	global_load_dwordx2 v[0:1], v37, s[28:29] offset:40
	global_load_dwordx2 v[8:9], v37, s[28:29] offset:24 glc dlc
	global_load_dwordx2 v[6:7], v37, s[28:29]
	s_waitcnt vmcnt(2)
	v_add_co_u32 v10, vcc_lo, v0, 1
	v_add_co_ci_u32_e32 v11, vcc_lo, 0, v1, vcc_lo
	v_add_co_u32 v4, vcc_lo, v10, s6
	v_add_co_ci_u32_e32 v5, vcc_lo, s7, v11, vcc_lo
	v_cmp_eq_u64_e32 vcc_lo, 0, v[4:5]
	v_cndmask_b32_e32 v5, v5, v11, vcc_lo
	v_cndmask_b32_e32 v4, v4, v10, vcc_lo
	v_and_b32_e32 v1, v5, v1
	v_and_b32_e32 v0, v4, v0
	v_mul_lo_u32 v1, v1, 24
	v_mul_hi_u32 v10, v0, 24
	v_mul_lo_u32 v0, v0, 24
	v_add_nc_u32_e32 v1, v10, v1
	s_waitcnt vmcnt(0)
	v_add_co_u32 v0, vcc_lo, v6, v0
	v_mov_b32_e32 v6, v8
	v_add_co_ci_u32_e32 v1, vcc_lo, v7, v1, vcc_lo
	v_mov_b32_e32 v7, v9
	global_store_dwordx2 v[0:1], v[8:9], off
	s_waitcnt_vscnt null, 0x0
	global_atomic_cmpswap_x2 v[6:7], v37, v[4:7], s[28:29] offset:24 glc
	s_waitcnt vmcnt(0)
	v_cmp_ne_u64_e32 vcc_lo, v[6:7], v[8:9]
	s_and_b32 exec_lo, exec_lo, vcc_lo
	s_cbranch_execz .LBB1_299
; %bb.297:                              ;   in Loop: Header=BB1_165 Depth=1
	s_mov_b32 s4, 0
.LBB1_298:                              ;   Parent Loop BB1_165 Depth=1
                                        ; =>  This Inner Loop Header: Depth=2
	s_sleep 1
	global_store_dwordx2 v[0:1], v[6:7], off
	s_waitcnt_vscnt null, 0x0
	global_atomic_cmpswap_x2 v[8:9], v37, v[4:7], s[28:29] offset:24 glc
	s_waitcnt vmcnt(0)
	v_cmp_eq_u64_e32 vcc_lo, v[8:9], v[6:7]
	v_mov_b32_e32 v6, v8
	v_mov_b32_e32 v7, v9
	s_or_b32 s4, vcc_lo, s4
	s_andn2_b32 exec_lo, exec_lo, s4
	s_cbranch_execnz .LBB1_298
.LBB1_299:                              ;   in Loop: Header=BB1_165 Depth=1
	s_or_b32 exec_lo, exec_lo, s5
.LBB1_300:                              ;   in Loop: Header=BB1_165 Depth=1
	v_readfirstlane_b32 s4, v64
	s_waitcnt vmcnt(0)
	v_mov_b32_e32 v0, 0
	v_mov_b32_e32 v1, 0
	v_cmp_eq_u32_e64 s4, s4, v64
	s_and_saveexec_b32 s5, s4
	s_cbranch_execz .LBB1_306
; %bb.301:                              ;   in Loop: Header=BB1_165 Depth=1
	global_load_dwordx2 v[6:7], v37, s[28:29] offset:24 glc dlc
	s_waitcnt vmcnt(0)
	buffer_gl1_inv
	buffer_gl0_inv
	s_clause 0x1
	global_load_dwordx2 v[0:1], v37, s[28:29] offset:40
	global_load_dwordx2 v[4:5], v37, s[28:29]
	s_mov_b32 s6, exec_lo
	s_waitcnt vmcnt(1)
	v_and_b32_e32 v1, v1, v7
	v_and_b32_e32 v0, v0, v6
	v_mul_lo_u32 v1, v1, 24
	v_mul_hi_u32 v8, v0, 24
	v_mul_lo_u32 v0, v0, 24
	v_add_nc_u32_e32 v1, v8, v1
	s_waitcnt vmcnt(0)
	v_add_co_u32 v0, vcc_lo, v4, v0
	v_add_co_ci_u32_e32 v1, vcc_lo, v5, v1, vcc_lo
	global_load_dwordx2 v[4:5], v[0:1], off glc dlc
	s_waitcnt vmcnt(0)
	global_atomic_cmpswap_x2 v[0:1], v37, v[4:7], s[28:29] offset:24 glc
	s_waitcnt vmcnt(0)
	buffer_gl1_inv
	buffer_gl0_inv
	v_cmpx_ne_u64_e64 v[0:1], v[6:7]
	s_cbranch_execz .LBB1_305
; %bb.302:                              ;   in Loop: Header=BB1_165 Depth=1
	s_mov_b32 s7, 0
	.p2align	6
.LBB1_303:                              ;   Parent Loop BB1_165 Depth=1
                                        ; =>  This Inner Loop Header: Depth=2
	s_sleep 1
	s_clause 0x1
	global_load_dwordx2 v[4:5], v37, s[28:29] offset:40
	global_load_dwordx2 v[8:9], v37, s[28:29]
	v_mov_b32_e32 v7, v1
	v_mov_b32_e32 v6, v0
	s_waitcnt vmcnt(1)
	v_and_b32_e32 v0, v4, v6
	v_and_b32_e32 v4, v5, v7
	s_waitcnt vmcnt(0)
	v_mad_u64_u32 v[0:1], null, v0, 24, v[8:9]
	v_mad_u64_u32 v[4:5], null, v4, 24, v[1:2]
	v_mov_b32_e32 v1, v4
	global_load_dwordx2 v[4:5], v[0:1], off glc dlc
	s_waitcnt vmcnt(0)
	global_atomic_cmpswap_x2 v[0:1], v37, v[4:7], s[28:29] offset:24 glc
	s_waitcnt vmcnt(0)
	buffer_gl1_inv
	buffer_gl0_inv
	v_cmp_eq_u64_e32 vcc_lo, v[0:1], v[6:7]
	s_or_b32 s7, vcc_lo, s7
	s_andn2_b32 exec_lo, exec_lo, s7
	s_cbranch_execnz .LBB1_303
; %bb.304:                              ;   in Loop: Header=BB1_165 Depth=1
	s_or_b32 exec_lo, exec_lo, s7
.LBB1_305:                              ;   in Loop: Header=BB1_165 Depth=1
	s_or_b32 exec_lo, exec_lo, s6
.LBB1_306:                              ;   in Loop: Header=BB1_165 Depth=1
	s_or_b32 exec_lo, exec_lo, s5
	s_clause 0x1
	global_load_dwordx2 v[4:5], v37, s[28:29] offset:40
	global_load_dwordx4 v[6:9], v37, s[28:29]
	v_readfirstlane_b32 s6, v0
	v_readfirstlane_b32 s7, v1
	s_mov_b32 s5, exec_lo
	s_waitcnt vmcnt(1)
	v_readfirstlane_b32 s8, v4
	v_readfirstlane_b32 s9, v5
	s_and_b64 s[8:9], s[6:7], s[8:9]
	s_mul_i32 s10, s9, 24
	s_mul_hi_u32 s11, s8, 24
	s_mul_i32 s12, s8, 24
	s_add_i32 s11, s11, s10
	s_waitcnt vmcnt(0)
	v_add_co_u32 v10, vcc_lo, v6, s12
	v_add_co_ci_u32_e32 v11, vcc_lo, s11, v7, vcc_lo
	s_and_saveexec_b32 s10, s4
	s_cbranch_execz .LBB1_308
; %bb.307:                              ;   in Loop: Header=BB1_165 Depth=1
	v_mov_b32_e32 v36, s5
	global_store_dwordx4 v[10:11], v[36:39], off offset:8
.LBB1_308:                              ;   in Loop: Header=BB1_165 Depth=1
	s_or_b32 exec_lo, exec_lo, s10
	s_lshl_b64 s[8:9], s[8:9], 12
	v_and_or_b32 v2, 0xffffff1d, v2, 34
	v_add_co_u32 v0, vcc_lo, v8, s8
	v_add_co_ci_u32_e32 v1, vcc_lo, s9, v9, vcc_lo
	s_waitcnt lgkmcnt(0)
	v_ashrrev_i32_e32 v5, 31, v24
	v_mov_b32_e32 v4, v24
	v_readfirstlane_b32 s8, v0
	v_readfirstlane_b32 s9, v1
	v_mov_b32_e32 v12, s24
	v_mov_b32_e32 v13, s25
	v_mov_b32_e32 v14, s26
	v_mov_b32_e32 v15, s27
	global_store_dwordx4 v65, v[2:5], s[8:9]
	global_store_dwordx4 v65, v[12:15], s[8:9] offset:16
	global_store_dwordx4 v65, v[12:15], s[8:9] offset:32
	;; [unrolled: 1-line block ×3, first 2 shown]
	s_and_saveexec_b32 s5, s4
	s_cbranch_execz .LBB1_316
; %bb.309:                              ;   in Loop: Header=BB1_165 Depth=1
	s_clause 0x1
	global_load_dwordx2 v[8:9], v37, s[28:29] offset:32 glc dlc
	global_load_dwordx2 v[0:1], v37, s[28:29] offset:40
	s_waitcnt vmcnt(0)
	v_readfirstlane_b32 s8, v0
	v_readfirstlane_b32 s9, v1
	s_and_b64 s[8:9], s[8:9], s[6:7]
	s_mul_i32 s9, s9, 24
	s_mul_hi_u32 s10, s8, 24
	s_mul_i32 s8, s8, 24
	s_add_i32 s10, s10, s9
	v_add_co_u32 v4, vcc_lo, v6, s8
	v_add_co_ci_u32_e32 v5, vcc_lo, s10, v7, vcc_lo
	v_mov_b32_e32 v6, s6
	v_mov_b32_e32 v7, s7
	s_mov_b32 s8, exec_lo
	global_store_dwordx2 v[4:5], v[8:9], off
	s_waitcnt_vscnt null, 0x0
	global_atomic_cmpswap_x2 v[2:3], v37, v[6:9], s[28:29] offset:32 glc
	s_waitcnt vmcnt(0)
	v_cmpx_ne_u64_e64 v[2:3], v[8:9]
	s_cbranch_execz .LBB1_312
; %bb.310:                              ;   in Loop: Header=BB1_165 Depth=1
	s_mov_b32 s9, 0
.LBB1_311:                              ;   Parent Loop BB1_165 Depth=1
                                        ; =>  This Inner Loop Header: Depth=2
	v_mov_b32_e32 v0, s6
	v_mov_b32_e32 v1, s7
	s_sleep 1
	global_store_dwordx2 v[4:5], v[2:3], off
	s_waitcnt_vscnt null, 0x0
	global_atomic_cmpswap_x2 v[0:1], v37, v[0:3], s[28:29] offset:32 glc
	s_waitcnt vmcnt(0)
	v_cmp_eq_u64_e32 vcc_lo, v[0:1], v[2:3]
	v_mov_b32_e32 v3, v1
	v_mov_b32_e32 v2, v0
	s_or_b32 s9, vcc_lo, s9
	s_andn2_b32 exec_lo, exec_lo, s9
	s_cbranch_execnz .LBB1_311
.LBB1_312:                              ;   in Loop: Header=BB1_165 Depth=1
	s_or_b32 exec_lo, exec_lo, s8
	global_load_dwordx2 v[0:1], v37, s[28:29] offset:16
	s_mov_b32 s9, exec_lo
	s_mov_b32 s8, exec_lo
	v_mbcnt_lo_u32_b32 v2, s9, 0
	v_cmpx_eq_u32_e32 0, v2
	s_cbranch_execz .LBB1_314
; %bb.313:                              ;   in Loop: Header=BB1_165 Depth=1
	s_bcnt1_i32_b32 s9, s9
	v_mov_b32_e32 v36, s9
	s_waitcnt vmcnt(0)
	global_atomic_add_x2 v[0:1], v[36:37], off offset:8
.LBB1_314:                              ;   in Loop: Header=BB1_165 Depth=1
	s_or_b32 exec_lo, exec_lo, s8
	s_waitcnt vmcnt(0)
	global_load_dwordx2 v[2:3], v[0:1], off offset:16
	s_waitcnt vmcnt(0)
	v_cmp_eq_u64_e32 vcc_lo, 0, v[2:3]
	s_cbranch_vccnz .LBB1_316
; %bb.315:                              ;   in Loop: Header=BB1_165 Depth=1
	global_load_dword v36, v[0:1], off offset:24
	s_waitcnt vmcnt(0)
	v_and_b32_e32 v0, 0x7fffff, v36
	s_waitcnt_vscnt null, 0x0
	global_store_dwordx2 v[2:3], v[36:37], off
	v_readfirstlane_b32 m0, v0
	s_sendmsg sendmsg(MSG_INTERRUPT)
.LBB1_316:                              ;   in Loop: Header=BB1_165 Depth=1
	s_or_b32 exec_lo, exec_lo, s5
	s_branch .LBB1_320
	.p2align	6
.LBB1_317:                              ;   in Loop: Header=BB1_320 Depth=2
	s_or_b32 exec_lo, exec_lo, s5
	v_readfirstlane_b32 s5, v0
	s_cmp_eq_u32 s5, 0
	s_cbranch_scc1 .LBB1_319
; %bb.318:                              ;   in Loop: Header=BB1_320 Depth=2
	s_sleep 1
	s_cbranch_execnz .LBB1_320
	s_branch .LBB1_322
	.p2align	6
.LBB1_319:                              ;   in Loop: Header=BB1_165 Depth=1
	s_branch .LBB1_322
.LBB1_320:                              ;   Parent Loop BB1_165 Depth=1
                                        ; =>  This Inner Loop Header: Depth=2
	v_mov_b32_e32 v0, 1
	s_and_saveexec_b32 s5, s4
	s_cbranch_execz .LBB1_317
; %bb.321:                              ;   in Loop: Header=BB1_320 Depth=2
	global_load_dword v0, v[10:11], off offset:20 glc dlc
	s_waitcnt vmcnt(0)
	buffer_gl1_inv
	buffer_gl0_inv
	v_and_b32_e32 v0, 1, v0
	s_branch .LBB1_317
.LBB1_322:                              ;   in Loop: Header=BB1_165 Depth=1
	s_and_saveexec_b32 s5, s4
	s_cbranch_execz .LBB1_164
; %bb.323:                              ;   in Loop: Header=BB1_165 Depth=1
	s_clause 0x2
	global_load_dwordx2 v[2:3], v37, s[28:29] offset:40
	global_load_dwordx2 v[6:7], v37, s[28:29] offset:24 glc dlc
	global_load_dwordx2 v[4:5], v37, s[28:29]
	s_waitcnt vmcnt(2)
	v_add_co_u32 v8, vcc_lo, v2, 1
	v_add_co_ci_u32_e32 v9, vcc_lo, 0, v3, vcc_lo
	v_add_co_u32 v0, vcc_lo, v8, s6
	v_add_co_ci_u32_e32 v1, vcc_lo, s7, v9, vcc_lo
	v_cmp_eq_u64_e32 vcc_lo, 0, v[0:1]
	v_cndmask_b32_e32 v1, v1, v9, vcc_lo
	v_cndmask_b32_e32 v0, v0, v8, vcc_lo
	v_and_b32_e32 v3, v1, v3
	v_and_b32_e32 v2, v0, v2
	v_mul_lo_u32 v3, v3, 24
	v_mul_hi_u32 v8, v2, 24
	v_mul_lo_u32 v2, v2, 24
	v_add_nc_u32_e32 v3, v8, v3
	s_waitcnt vmcnt(0)
	v_add_co_u32 v4, vcc_lo, v4, v2
	v_mov_b32_e32 v2, v6
	v_add_co_ci_u32_e32 v5, vcc_lo, v5, v3, vcc_lo
	v_mov_b32_e32 v3, v7
	global_store_dwordx2 v[4:5], v[6:7], off
	s_waitcnt_vscnt null, 0x0
	global_atomic_cmpswap_x2 v[2:3], v37, v[0:3], s[28:29] offset:24 glc
	s_waitcnt vmcnt(0)
	v_cmp_ne_u64_e32 vcc_lo, v[2:3], v[6:7]
	s_and_b32 exec_lo, exec_lo, vcc_lo
	s_cbranch_execz .LBB1_164
; %bb.324:                              ;   in Loop: Header=BB1_165 Depth=1
	s_mov_b32 s4, 0
.LBB1_325:                              ;   Parent Loop BB1_165 Depth=1
                                        ; =>  This Inner Loop Header: Depth=2
	s_sleep 1
	global_store_dwordx2 v[4:5], v[2:3], off
	s_waitcnt_vscnt null, 0x0
	global_atomic_cmpswap_x2 v[6:7], v37, v[0:3], s[28:29] offset:24 glc
	s_waitcnt vmcnt(0)
	v_cmp_eq_u64_e32 vcc_lo, v[6:7], v[2:3]
	v_mov_b32_e32 v2, v6
	v_mov_b32_e32 v3, v7
	s_or_b32 s4, vcc_lo, s4
	s_andn2_b32 exec_lo, exec_lo, s4
	s_cbranch_execnz .LBB1_325
	s_branch .LBB1_164
.LBB1_326:
	v_readlane_b32 s30, v40, 0
	v_readlane_b32 s31, v40, 1
	;; [unrolled: 1-line block ×3, first 2 shown]
	s_or_saveexec_b32 s5, -1
	buffer_load_dword v40, off, s[0:3], s33 ; 4-byte Folded Reload
	s_mov_b32 exec_lo, s5
	s_addk_i32 s32, 0xfe00
	s_mov_b32 s33, s4
	s_waitcnt vmcnt(0) lgkmcnt(0)
	s_setpc_b64 s[30:31]
.Lfunc_end1:
	.size	_ZN8migraphx4testlsIKNS_13basic_printerIZNS_4coutEvEUlT_E_EEEERS3_S7_RKNS0_10expressionINS0_14lhs_expressionIRNS_5arrayIiLj6EEENS0_3nopEEESC_NS0_5equalEEE, .Lfunc_end1-_ZN8migraphx4testlsIKNS_13basic_printerIZNS_4coutEvEUlT_E_EEEERS3_S7_RKNS0_10expressionINS0_14lhs_expressionIRNS_5arrayIiLj6EEENS0_3nopEEESC_NS0_5equalEEE
                                        ; -- End function
	.section	.AMDGPU.csdata,"",@progbits
; Function info:
; codeLenInByte = 12088
; NumSgprs: 39
; NumVgprs: 66
; ScratchSize: 16
; MemoryBound: 0
	.text
	.p2align	2                               ; -- Begin function _ZNK8migraphx13basic_printerIZNS_4coutEvEUlT_E_ElsEc
	.type	_ZNK8migraphx13basic_printerIZNS_4coutEvEUlT_E_ElsEc,@function
_ZNK8migraphx13basic_printerIZNS_4coutEvEUlT_E_ElsEc: ; @_ZNK8migraphx13basic_printerIZNS_4coutEvEUlT_E_ElsEc
; %bb.0:
	s_waitcnt vmcnt(0) expcnt(0) lgkmcnt(0)
	s_load_dwordx2 s[6:7], s[8:9], 0x50
	v_mbcnt_lo_u32_b32 v33, -1, 0
	v_mov_b32_e32 v7, 0
	v_mov_b32_e32 v8, 0
	v_readfirstlane_b32 s4, v33
	v_cmp_eq_u32_e64 s4, s4, v33
	s_and_saveexec_b32 s5, s4
	s_cbranch_execz .LBB2_6
; %bb.1:
	v_mov_b32_e32 v1, 0
	s_mov_b32 s8, exec_lo
	s_waitcnt lgkmcnt(0)
	global_load_dwordx2 v[4:5], v1, s[6:7] offset:24 glc dlc
	s_waitcnt vmcnt(0)
	buffer_gl1_inv
	buffer_gl0_inv
	s_clause 0x1
	global_load_dwordx2 v[2:3], v1, s[6:7] offset:40
	global_load_dwordx2 v[6:7], v1, s[6:7]
	s_waitcnt vmcnt(1)
	v_and_b32_e32 v3, v3, v5
	v_and_b32_e32 v2, v2, v4
	v_mul_lo_u32 v3, v3, 24
	v_mul_hi_u32 v8, v2, 24
	v_mul_lo_u32 v2, v2, 24
	v_add_nc_u32_e32 v3, v8, v3
	s_waitcnt vmcnt(0)
	v_add_co_u32 v2, vcc_lo, v6, v2
	v_add_co_ci_u32_e32 v3, vcc_lo, v7, v3, vcc_lo
	global_load_dwordx2 v[2:3], v[2:3], off glc dlc
	s_waitcnt vmcnt(0)
	global_atomic_cmpswap_x2 v[7:8], v1, v[2:5], s[6:7] offset:24 glc
	s_waitcnt vmcnt(0)
	buffer_gl1_inv
	buffer_gl0_inv
	v_cmpx_ne_u64_e64 v[7:8], v[4:5]
	s_cbranch_execz .LBB2_5
; %bb.2:
	s_mov_b32 s9, 0
	.p2align	6
.LBB2_3:                                ; =>This Inner Loop Header: Depth=1
	s_sleep 1
	s_clause 0x1
	global_load_dwordx2 v[2:3], v1, s[6:7] offset:40
	global_load_dwordx2 v[9:10], v1, s[6:7]
	v_mov_b32_e32 v4, v7
	v_mov_b32_e32 v5, v8
	s_waitcnt vmcnt(1)
	v_and_b32_e32 v2, v2, v4
	v_and_b32_e32 v3, v3, v5
	s_waitcnt vmcnt(0)
	v_mad_u64_u32 v[6:7], null, v2, 24, v[9:10]
	v_mov_b32_e32 v2, v7
	v_mad_u64_u32 v[2:3], null, v3, 24, v[2:3]
	v_mov_b32_e32 v7, v2
	global_load_dwordx2 v[2:3], v[6:7], off glc dlc
	s_waitcnt vmcnt(0)
	global_atomic_cmpswap_x2 v[7:8], v1, v[2:5], s[6:7] offset:24 glc
	s_waitcnt vmcnt(0)
	buffer_gl1_inv
	buffer_gl0_inv
	v_cmp_eq_u64_e32 vcc_lo, v[7:8], v[4:5]
	s_or_b32 s9, vcc_lo, s9
	s_andn2_b32 exec_lo, exec_lo, s9
	s_cbranch_execnz .LBB2_3
; %bb.4:
	s_or_b32 exec_lo, exec_lo, s9
.LBB2_5:
	s_or_b32 exec_lo, exec_lo, s8
.LBB2_6:
	s_or_b32 exec_lo, exec_lo, s5
	v_mov_b32_e32 v6, 0
	v_readfirstlane_b32 s8, v7
	v_readfirstlane_b32 s9, v8
	s_mov_b32 s5, exec_lo
	s_waitcnt lgkmcnt(0)
	s_clause 0x1
	global_load_dwordx2 v[9:10], v6, s[6:7] offset:40
	global_load_dwordx4 v[1:4], v6, s[6:7]
	s_waitcnt vmcnt(1)
	v_readfirstlane_b32 s10, v9
	v_readfirstlane_b32 s11, v10
	s_and_b64 s[10:11], s[8:9], s[10:11]
	s_mul_i32 s12, s11, 24
	s_mul_hi_u32 s13, s10, 24
	s_mul_i32 s14, s10, 24
	s_add_i32 s13, s13, s12
	s_waitcnt vmcnt(0)
	v_add_co_u32 v9, vcc_lo, v1, s14
	v_add_co_ci_u32_e32 v10, vcc_lo, s13, v2, vcc_lo
	s_and_saveexec_b32 s12, s4
	s_cbranch_execz .LBB2_8
; %bb.7:
	v_mov_b32_e32 v5, s5
	v_mov_b32_e32 v7, 2
	;; [unrolled: 1-line block ×3, first 2 shown]
	global_store_dwordx4 v[9:10], v[5:8], off offset:8
.LBB2_8:
	s_or_b32 exec_lo, exec_lo, s12
	s_lshl_b64 s[10:11], s[10:11], 12
	v_lshlrev_b32_e32 v32, 6, v33
	v_add_co_u32 v3, vcc_lo, v3, s10
	v_add_co_ci_u32_e32 v4, vcc_lo, s11, v4, vcc_lo
	s_mov_b32 s12, 0
	v_add_co_u32 v11, vcc_lo, v3, v32
	s_mov_b32 s15, s12
	s_mov_b32 s13, s12
	;; [unrolled: 1-line block ×3, first 2 shown]
	v_mov_b32_e32 v5, 33
	v_mov_b32_e32 v7, v6
	;; [unrolled: 1-line block ×3, first 2 shown]
	v_readfirstlane_b32 s10, v3
	v_readfirstlane_b32 s11, v4
	v_mov_b32_e32 v16, s15
	v_add_co_ci_u32_e32 v12, vcc_lo, 0, v4, vcc_lo
	v_mov_b32_e32 v15, s14
	v_mov_b32_e32 v14, s13
	;; [unrolled: 1-line block ×3, first 2 shown]
	global_store_dwordx4 v32, v[5:8], s[10:11]
	global_store_dwordx4 v32, v[13:16], s[10:11] offset:16
	global_store_dwordx4 v32, v[13:16], s[10:11] offset:32
	;; [unrolled: 1-line block ×3, first 2 shown]
	s_and_saveexec_b32 s5, s4
	s_cbranch_execz .LBB2_16
; %bb.9:
	v_mov_b32_e32 v7, 0
	v_mov_b32_e32 v13, s8
	;; [unrolled: 1-line block ×3, first 2 shown]
	s_mov_b32 s10, exec_lo
	s_clause 0x1
	global_load_dwordx2 v[15:16], v7, s[6:7] offset:32 glc dlc
	global_load_dwordx2 v[3:4], v7, s[6:7] offset:40
	s_waitcnt vmcnt(0)
	v_and_b32_e32 v4, s9, v4
	v_and_b32_e32 v3, s8, v3
	v_mul_lo_u32 v4, v4, 24
	v_mul_hi_u32 v5, v3, 24
	v_mul_lo_u32 v3, v3, 24
	v_add_nc_u32_e32 v4, v5, v4
	v_add_co_u32 v5, vcc_lo, v1, v3
	v_add_co_ci_u32_e32 v6, vcc_lo, v2, v4, vcc_lo
	global_store_dwordx2 v[5:6], v[15:16], off
	s_waitcnt_vscnt null, 0x0
	global_atomic_cmpswap_x2 v[3:4], v7, v[13:16], s[6:7] offset:32 glc
	s_waitcnt vmcnt(0)
	v_cmpx_ne_u64_e64 v[3:4], v[15:16]
	s_cbranch_execz .LBB2_12
; %bb.10:
	s_mov_b32 s11, 0
.LBB2_11:                               ; =>This Inner Loop Header: Depth=1
	v_mov_b32_e32 v1, s8
	v_mov_b32_e32 v2, s9
	s_sleep 1
	global_store_dwordx2 v[5:6], v[3:4], off
	s_waitcnt_vscnt null, 0x0
	global_atomic_cmpswap_x2 v[1:2], v7, v[1:4], s[6:7] offset:32 glc
	s_waitcnt vmcnt(0)
	v_cmp_eq_u64_e32 vcc_lo, v[1:2], v[3:4]
	v_mov_b32_e32 v4, v2
	v_mov_b32_e32 v3, v1
	s_or_b32 s11, vcc_lo, s11
	s_andn2_b32 exec_lo, exec_lo, s11
	s_cbranch_execnz .LBB2_11
.LBB2_12:
	s_or_b32 exec_lo, exec_lo, s10
	v_mov_b32_e32 v4, 0
	s_mov_b32 s11, exec_lo
	s_mov_b32 s10, exec_lo
	v_mbcnt_lo_u32_b32 v3, s11, 0
	global_load_dwordx2 v[1:2], v4, s[6:7] offset:16
	v_cmpx_eq_u32_e32 0, v3
	s_cbranch_execz .LBB2_14
; %bb.13:
	s_bcnt1_i32_b32 s11, s11
	v_mov_b32_e32 v3, s11
	s_waitcnt vmcnt(0)
	global_atomic_add_x2 v[1:2], v[3:4], off offset:8
.LBB2_14:
	s_or_b32 exec_lo, exec_lo, s10
	s_waitcnt vmcnt(0)
	global_load_dwordx2 v[3:4], v[1:2], off offset:16
	s_waitcnt vmcnt(0)
	v_cmp_eq_u64_e32 vcc_lo, 0, v[3:4]
	s_cbranch_vccnz .LBB2_16
; %bb.15:
	global_load_dword v1, v[1:2], off offset:24
	v_mov_b32_e32 v2, 0
	s_waitcnt vmcnt(0)
	v_and_b32_e32 v5, 0x7fffff, v1
	s_waitcnt_vscnt null, 0x0
	global_store_dwordx2 v[3:4], v[1:2], off
	v_readfirstlane_b32 m0, v5
	s_sendmsg sendmsg(MSG_INTERRUPT)
.LBB2_16:
	s_or_b32 exec_lo, exec_lo, s5
	s_branch .LBB2_20
	.p2align	6
.LBB2_17:                               ;   in Loop: Header=BB2_20 Depth=1
	s_or_b32 exec_lo, exec_lo, s5
	v_readfirstlane_b32 s5, v1
	s_cmp_eq_u32 s5, 0
	s_cbranch_scc1 .LBB2_19
; %bb.18:                               ;   in Loop: Header=BB2_20 Depth=1
	s_sleep 1
	s_cbranch_execnz .LBB2_20
	s_branch .LBB2_22
	.p2align	6
.LBB2_19:
	s_branch .LBB2_22
.LBB2_20:                               ; =>This Inner Loop Header: Depth=1
	v_mov_b32_e32 v1, 1
	s_and_saveexec_b32 s5, s4
	s_cbranch_execz .LBB2_17
; %bb.21:                               ;   in Loop: Header=BB2_20 Depth=1
	global_load_dword v1, v[9:10], off offset:20 glc dlc
	s_waitcnt vmcnt(0)
	buffer_gl1_inv
	buffer_gl0_inv
	v_and_b32_e32 v1, 1, v1
	s_branch .LBB2_17
.LBB2_22:
	global_load_dwordx2 v[1:2], v[11:12], off
	s_and_saveexec_b32 s5, s4
	s_cbranch_execz .LBB2_26
; %bb.23:
	v_mov_b32_e32 v9, 0
	s_clause 0x2
	global_load_dwordx2 v[5:6], v9, s[6:7] offset:40
	global_load_dwordx2 v[10:11], v9, s[6:7] offset:24 glc dlc
	global_load_dwordx2 v[7:8], v9, s[6:7]
	s_waitcnt vmcnt(2)
	v_add_co_u32 v12, vcc_lo, v5, 1
	v_add_co_ci_u32_e32 v13, vcc_lo, 0, v6, vcc_lo
	v_add_co_u32 v3, vcc_lo, v12, s8
	v_add_co_ci_u32_e32 v4, vcc_lo, s9, v13, vcc_lo
	v_cmp_eq_u64_e32 vcc_lo, 0, v[3:4]
	v_cndmask_b32_e32 v4, v4, v13, vcc_lo
	v_cndmask_b32_e32 v3, v3, v12, vcc_lo
	v_and_b32_e32 v6, v4, v6
	v_and_b32_e32 v5, v3, v5
	v_mul_lo_u32 v6, v6, 24
	v_mul_hi_u32 v12, v5, 24
	v_mul_lo_u32 v5, v5, 24
	v_add_nc_u32_e32 v6, v12, v6
	s_waitcnt vmcnt(0)
	v_add_co_u32 v7, vcc_lo, v7, v5
	v_mov_b32_e32 v5, v10
	v_add_co_ci_u32_e32 v8, vcc_lo, v8, v6, vcc_lo
	v_mov_b32_e32 v6, v11
	global_store_dwordx2 v[7:8], v[10:11], off
	s_waitcnt_vscnt null, 0x0
	global_atomic_cmpswap_x2 v[5:6], v9, v[3:6], s[6:7] offset:24 glc
	s_waitcnt vmcnt(0)
	v_cmp_ne_u64_e32 vcc_lo, v[5:6], v[10:11]
	s_and_b32 exec_lo, exec_lo, vcc_lo
	s_cbranch_execz .LBB2_26
; %bb.24:
	s_mov_b32 s4, 0
.LBB2_25:                               ; =>This Inner Loop Header: Depth=1
	s_sleep 1
	global_store_dwordx2 v[7:8], v[5:6], off
	s_waitcnt_vscnt null, 0x0
	global_atomic_cmpswap_x2 v[10:11], v9, v[3:6], s[6:7] offset:24 glc
	s_waitcnt vmcnt(0)
	v_cmp_eq_u64_e32 vcc_lo, v[10:11], v[5:6]
	v_mov_b32_e32 v5, v10
	v_mov_b32_e32 v6, v11
	s_or_b32 s4, vcc_lo, s4
	s_andn2_b32 exec_lo, exec_lo, s4
	s_cbranch_execnz .LBB2_25
.LBB2_26:
	s_or_b32 exec_lo, exec_lo, s5
	s_getpc_b64 s[8:9]
	s_add_u32 s8, s8, .str.6@rel32@lo+4
	s_addc_u32 s9, s9, .str.6@rel32@hi+12
	s_cmp_lg_u64 s[8:9], 0
	s_cbranch_scc0 .LBB2_105
; %bb.27:
	s_waitcnt vmcnt(0)
	v_and_b32_e32 v34, 2, v1
	v_mov_b32_e32 v7, 0
	v_and_b32_e32 v3, -3, v1
	v_mov_b32_e32 v4, v2
	v_mov_b32_e32 v8, 2
	;; [unrolled: 1-line block ×3, first 2 shown]
	s_mov_b64 s[10:11], 3
	s_branch .LBB2_29
.LBB2_28:                               ;   in Loop: Header=BB2_29 Depth=1
	s_or_b32 exec_lo, exec_lo, s5
	s_sub_u32 s10, s10, s12
	s_subb_u32 s11, s11, s13
	s_add_u32 s8, s8, s12
	s_addc_u32 s9, s9, s13
	s_cmp_lg_u64 s[10:11], 0
	s_cbranch_scc0 .LBB2_104
.LBB2_29:                               ; =>This Loop Header: Depth=1
                                        ;     Child Loop BB2_38 Depth 2
                                        ;     Child Loop BB2_34 Depth 2
	;; [unrolled: 1-line block ×11, first 2 shown]
	v_cmp_lt_u64_e64 s4, s[10:11], 56
	v_cmp_gt_u64_e64 s5, s[10:11], 7
                                        ; implicit-def: $vgpr12_vgpr13
                                        ; implicit-def: $sgpr18
	s_and_b32 s4, s4, exec_lo
	s_cselect_b32 s13, s11, 0
	s_cselect_b32 s12, s10, 56
	s_and_b32 vcc_lo, exec_lo, s5
	s_mov_b32 s4, -1
	s_cbranch_vccz .LBB2_36
; %bb.30:                               ;   in Loop: Header=BB2_29 Depth=1
	s_andn2_b32 vcc_lo, exec_lo, s4
	s_mov_b64 s[4:5], s[8:9]
	s_cbranch_vccz .LBB2_40
.LBB2_31:                               ;   in Loop: Header=BB2_29 Depth=1
	s_cmp_gt_u32 s18, 7
	s_cbranch_scc1 .LBB2_41
.LBB2_32:                               ;   in Loop: Header=BB2_29 Depth=1
	v_mov_b32_e32 v14, 0
	v_mov_b32_e32 v15, 0
	s_cmp_eq_u32 s18, 0
	s_cbranch_scc1 .LBB2_35
; %bb.33:                               ;   in Loop: Header=BB2_29 Depth=1
	s_mov_b64 s[14:15], 0
	s_mov_b64 s[16:17], 0
.LBB2_34:                               ;   Parent Loop BB2_29 Depth=1
                                        ; =>  This Inner Loop Header: Depth=2
	s_add_u32 s20, s4, s16
	s_addc_u32 s21, s5, s17
	s_add_u32 s16, s16, 1
	global_load_ubyte v5, v7, s[20:21]
	s_addc_u32 s17, s17, 0
	s_waitcnt vmcnt(0)
	v_and_b32_e32 v6, 0xffff, v5
	v_lshlrev_b64 v[5:6], s14, v[6:7]
	s_add_u32 s14, s14, 8
	s_addc_u32 s15, s15, 0
	s_cmp_lg_u32 s18, s16
	v_or_b32_e32 v14, v5, v14
	v_or_b32_e32 v15, v6, v15
	s_cbranch_scc1 .LBB2_34
.LBB2_35:                               ;   in Loop: Header=BB2_29 Depth=1
	s_mov_b32 s19, 0
	s_cbranch_execz .LBB2_42
	s_branch .LBB2_43
.LBB2_36:                               ;   in Loop: Header=BB2_29 Depth=1
	v_mov_b32_e32 v12, 0
	v_mov_b32_e32 v13, 0
	s_cmp_eq_u64 s[10:11], 0
	s_mov_b64 s[4:5], 0
	s_cbranch_scc1 .LBB2_39
; %bb.37:                               ;   in Loop: Header=BB2_29 Depth=1
	v_mov_b32_e32 v12, 0
	v_mov_b32_e32 v13, 0
	s_lshl_b64 s[14:15], s[12:13], 3
	s_mov_b64 s[16:17], s[8:9]
.LBB2_38:                               ;   Parent Loop BB2_29 Depth=1
                                        ; =>  This Inner Loop Header: Depth=2
	global_load_ubyte v5, v7, s[16:17]
	s_waitcnt vmcnt(0)
	v_and_b32_e32 v6, 0xffff, v5
	v_lshlrev_b64 v[5:6], s4, v[6:7]
	s_add_u32 s4, s4, 8
	s_addc_u32 s5, s5, 0
	s_add_u32 s16, s16, 1
	s_addc_u32 s17, s17, 0
	s_cmp_lg_u32 s14, s4
	v_or_b32_e32 v12, v5, v12
	v_or_b32_e32 v13, v6, v13
	s_cbranch_scc1 .LBB2_38
.LBB2_39:                               ;   in Loop: Header=BB2_29 Depth=1
	s_mov_b32 s18, 0
	s_mov_b64 s[4:5], s[8:9]
	s_cbranch_execnz .LBB2_31
.LBB2_40:                               ;   in Loop: Header=BB2_29 Depth=1
	global_load_dwordx2 v[12:13], v7, s[8:9]
	s_add_i32 s18, s12, -8
	s_add_u32 s4, s8, 8
	s_addc_u32 s5, s9, 0
	s_cmp_gt_u32 s18, 7
	s_cbranch_scc0 .LBB2_32
.LBB2_41:                               ;   in Loop: Header=BB2_29 Depth=1
                                        ; implicit-def: $vgpr14_vgpr15
                                        ; implicit-def: $sgpr19
.LBB2_42:                               ;   in Loop: Header=BB2_29 Depth=1
	global_load_dwordx2 v[14:15], v7, s[4:5]
	s_add_i32 s19, s18, -8
	s_add_u32 s4, s4, 8
	s_addc_u32 s5, s5, 0
.LBB2_43:                               ;   in Loop: Header=BB2_29 Depth=1
	s_cmp_gt_u32 s19, 7
	s_cbranch_scc1 .LBB2_48
; %bb.44:                               ;   in Loop: Header=BB2_29 Depth=1
	v_mov_b32_e32 v16, 0
	v_mov_b32_e32 v17, 0
	s_cmp_eq_u32 s19, 0
	s_cbranch_scc1 .LBB2_47
; %bb.45:                               ;   in Loop: Header=BB2_29 Depth=1
	s_mov_b64 s[14:15], 0
	s_mov_b64 s[16:17], 0
.LBB2_46:                               ;   Parent Loop BB2_29 Depth=1
                                        ; =>  This Inner Loop Header: Depth=2
	s_add_u32 s20, s4, s16
	s_addc_u32 s21, s5, s17
	s_add_u32 s16, s16, 1
	global_load_ubyte v5, v7, s[20:21]
	s_addc_u32 s17, s17, 0
	s_waitcnt vmcnt(0)
	v_and_b32_e32 v6, 0xffff, v5
	v_lshlrev_b64 v[5:6], s14, v[6:7]
	s_add_u32 s14, s14, 8
	s_addc_u32 s15, s15, 0
	s_cmp_lg_u32 s19, s16
	v_or_b32_e32 v16, v5, v16
	v_or_b32_e32 v17, v6, v17
	s_cbranch_scc1 .LBB2_46
.LBB2_47:                               ;   in Loop: Header=BB2_29 Depth=1
	s_mov_b32 s18, 0
	s_cbranch_execz .LBB2_49
	s_branch .LBB2_50
.LBB2_48:                               ;   in Loop: Header=BB2_29 Depth=1
                                        ; implicit-def: $sgpr18
.LBB2_49:                               ;   in Loop: Header=BB2_29 Depth=1
	global_load_dwordx2 v[16:17], v7, s[4:5]
	s_add_i32 s18, s19, -8
	s_add_u32 s4, s4, 8
	s_addc_u32 s5, s5, 0
.LBB2_50:                               ;   in Loop: Header=BB2_29 Depth=1
	s_cmp_gt_u32 s18, 7
	s_cbranch_scc1 .LBB2_55
; %bb.51:                               ;   in Loop: Header=BB2_29 Depth=1
	v_mov_b32_e32 v18, 0
	v_mov_b32_e32 v19, 0
	s_cmp_eq_u32 s18, 0
	s_cbranch_scc1 .LBB2_54
; %bb.52:                               ;   in Loop: Header=BB2_29 Depth=1
	s_mov_b64 s[14:15], 0
	s_mov_b64 s[16:17], 0
.LBB2_53:                               ;   Parent Loop BB2_29 Depth=1
                                        ; =>  This Inner Loop Header: Depth=2
	s_add_u32 s20, s4, s16
	s_addc_u32 s21, s5, s17
	s_add_u32 s16, s16, 1
	global_load_ubyte v5, v7, s[20:21]
	s_addc_u32 s17, s17, 0
	s_waitcnt vmcnt(0)
	v_and_b32_e32 v6, 0xffff, v5
	v_lshlrev_b64 v[5:6], s14, v[6:7]
	s_add_u32 s14, s14, 8
	s_addc_u32 s15, s15, 0
	s_cmp_lg_u32 s18, s16
	v_or_b32_e32 v18, v5, v18
	v_or_b32_e32 v19, v6, v19
	s_cbranch_scc1 .LBB2_53
.LBB2_54:                               ;   in Loop: Header=BB2_29 Depth=1
	s_mov_b32 s19, 0
	s_cbranch_execz .LBB2_56
	s_branch .LBB2_57
.LBB2_55:                               ;   in Loop: Header=BB2_29 Depth=1
                                        ; implicit-def: $vgpr18_vgpr19
                                        ; implicit-def: $sgpr19
.LBB2_56:                               ;   in Loop: Header=BB2_29 Depth=1
	global_load_dwordx2 v[18:19], v7, s[4:5]
	s_add_i32 s19, s18, -8
	s_add_u32 s4, s4, 8
	s_addc_u32 s5, s5, 0
.LBB2_57:                               ;   in Loop: Header=BB2_29 Depth=1
	s_cmp_gt_u32 s19, 7
	s_cbranch_scc1 .LBB2_62
; %bb.58:                               ;   in Loop: Header=BB2_29 Depth=1
	v_mov_b32_e32 v20, 0
	v_mov_b32_e32 v21, 0
	s_cmp_eq_u32 s19, 0
	s_cbranch_scc1 .LBB2_61
; %bb.59:                               ;   in Loop: Header=BB2_29 Depth=1
	s_mov_b64 s[14:15], 0
	s_mov_b64 s[16:17], 0
.LBB2_60:                               ;   Parent Loop BB2_29 Depth=1
                                        ; =>  This Inner Loop Header: Depth=2
	s_add_u32 s20, s4, s16
	s_addc_u32 s21, s5, s17
	s_add_u32 s16, s16, 1
	global_load_ubyte v5, v7, s[20:21]
	s_addc_u32 s17, s17, 0
	s_waitcnt vmcnt(0)
	v_and_b32_e32 v6, 0xffff, v5
	v_lshlrev_b64 v[5:6], s14, v[6:7]
	s_add_u32 s14, s14, 8
	s_addc_u32 s15, s15, 0
	s_cmp_lg_u32 s19, s16
	v_or_b32_e32 v20, v5, v20
	v_or_b32_e32 v21, v6, v21
	s_cbranch_scc1 .LBB2_60
.LBB2_61:                               ;   in Loop: Header=BB2_29 Depth=1
	s_mov_b32 s18, 0
	s_cbranch_execz .LBB2_63
	s_branch .LBB2_64
.LBB2_62:                               ;   in Loop: Header=BB2_29 Depth=1
                                        ; implicit-def: $sgpr18
.LBB2_63:                               ;   in Loop: Header=BB2_29 Depth=1
	global_load_dwordx2 v[20:21], v7, s[4:5]
	s_add_i32 s18, s19, -8
	s_add_u32 s4, s4, 8
	s_addc_u32 s5, s5, 0
.LBB2_64:                               ;   in Loop: Header=BB2_29 Depth=1
	s_cmp_gt_u32 s18, 7
	s_cbranch_scc1 .LBB2_69
; %bb.65:                               ;   in Loop: Header=BB2_29 Depth=1
	v_mov_b32_e32 v22, 0
	v_mov_b32_e32 v23, 0
	s_cmp_eq_u32 s18, 0
	s_cbranch_scc1 .LBB2_68
; %bb.66:                               ;   in Loop: Header=BB2_29 Depth=1
	s_mov_b64 s[14:15], 0
	s_mov_b64 s[16:17], 0
.LBB2_67:                               ;   Parent Loop BB2_29 Depth=1
                                        ; =>  This Inner Loop Header: Depth=2
	s_add_u32 s20, s4, s16
	s_addc_u32 s21, s5, s17
	s_add_u32 s16, s16, 1
	global_load_ubyte v5, v7, s[20:21]
	s_addc_u32 s17, s17, 0
	s_waitcnt vmcnt(0)
	v_and_b32_e32 v6, 0xffff, v5
	v_lshlrev_b64 v[5:6], s14, v[6:7]
	s_add_u32 s14, s14, 8
	s_addc_u32 s15, s15, 0
	s_cmp_lg_u32 s18, s16
	v_or_b32_e32 v22, v5, v22
	v_or_b32_e32 v23, v6, v23
	s_cbranch_scc1 .LBB2_67
.LBB2_68:                               ;   in Loop: Header=BB2_29 Depth=1
	s_mov_b32 s19, 0
	s_cbranch_execz .LBB2_70
	s_branch .LBB2_71
.LBB2_69:                               ;   in Loop: Header=BB2_29 Depth=1
                                        ; implicit-def: $vgpr22_vgpr23
                                        ; implicit-def: $sgpr19
.LBB2_70:                               ;   in Loop: Header=BB2_29 Depth=1
	global_load_dwordx2 v[22:23], v7, s[4:5]
	s_add_i32 s19, s18, -8
	s_add_u32 s4, s4, 8
	s_addc_u32 s5, s5, 0
.LBB2_71:                               ;   in Loop: Header=BB2_29 Depth=1
	s_cmp_gt_u32 s19, 7
	s_cbranch_scc1 .LBB2_76
; %bb.72:                               ;   in Loop: Header=BB2_29 Depth=1
	v_mov_b32_e32 v24, 0
	v_mov_b32_e32 v25, 0
	s_cmp_eq_u32 s19, 0
	s_cbranch_scc1 .LBB2_75
; %bb.73:                               ;   in Loop: Header=BB2_29 Depth=1
	s_mov_b64 s[14:15], 0
	s_mov_b64 s[16:17], s[4:5]
.LBB2_74:                               ;   Parent Loop BB2_29 Depth=1
                                        ; =>  This Inner Loop Header: Depth=2
	global_load_ubyte v5, v7, s[16:17]
	s_add_i32 s19, s19, -1
	s_waitcnt vmcnt(0)
	v_and_b32_e32 v6, 0xffff, v5
	v_lshlrev_b64 v[5:6], s14, v[6:7]
	s_add_u32 s14, s14, 8
	s_addc_u32 s15, s15, 0
	s_add_u32 s16, s16, 1
	s_addc_u32 s17, s17, 0
	s_cmp_lg_u32 s19, 0
	v_or_b32_e32 v24, v5, v24
	v_or_b32_e32 v25, v6, v25
	s_cbranch_scc1 .LBB2_74
.LBB2_75:                               ;   in Loop: Header=BB2_29 Depth=1
	s_cbranch_execz .LBB2_77
	s_branch .LBB2_78
.LBB2_76:                               ;   in Loop: Header=BB2_29 Depth=1
.LBB2_77:                               ;   in Loop: Header=BB2_29 Depth=1
	global_load_dwordx2 v[24:25], v7, s[4:5]
.LBB2_78:                               ;   in Loop: Header=BB2_29 Depth=1
	v_readfirstlane_b32 s4, v33
	s_waitcnt vmcnt(0)
	v_mov_b32_e32 v5, 0
	v_mov_b32_e32 v6, 0
	v_cmp_eq_u32_e64 s4, s4, v33
	s_and_saveexec_b32 s5, s4
	s_cbranch_execz .LBB2_84
; %bb.79:                               ;   in Loop: Header=BB2_29 Depth=1
	global_load_dwordx2 v[28:29], v7, s[6:7] offset:24 glc dlc
	s_waitcnt vmcnt(0)
	buffer_gl1_inv
	buffer_gl0_inv
	s_clause 0x1
	global_load_dwordx2 v[5:6], v7, s[6:7] offset:40
	global_load_dwordx2 v[10:11], v7, s[6:7]
	s_mov_b32 s14, exec_lo
	s_waitcnt vmcnt(1)
	v_and_b32_e32 v6, v6, v29
	v_and_b32_e32 v5, v5, v28
	v_mul_lo_u32 v6, v6, 24
	v_mul_hi_u32 v26, v5, 24
	v_mul_lo_u32 v5, v5, 24
	v_add_nc_u32_e32 v6, v26, v6
	s_waitcnt vmcnt(0)
	v_add_co_u32 v5, vcc_lo, v10, v5
	v_add_co_ci_u32_e32 v6, vcc_lo, v11, v6, vcc_lo
	global_load_dwordx2 v[26:27], v[5:6], off glc dlc
	s_waitcnt vmcnt(0)
	global_atomic_cmpswap_x2 v[5:6], v7, v[26:29], s[6:7] offset:24 glc
	s_waitcnt vmcnt(0)
	buffer_gl1_inv
	buffer_gl0_inv
	v_cmpx_ne_u64_e64 v[5:6], v[28:29]
	s_cbranch_execz .LBB2_83
; %bb.80:                               ;   in Loop: Header=BB2_29 Depth=1
	s_mov_b32 s15, 0
	.p2align	6
.LBB2_81:                               ;   Parent Loop BB2_29 Depth=1
                                        ; =>  This Inner Loop Header: Depth=2
	s_sleep 1
	s_clause 0x1
	global_load_dwordx2 v[10:11], v7, s[6:7] offset:40
	global_load_dwordx2 v[26:27], v7, s[6:7]
	v_mov_b32_e32 v29, v6
	v_mov_b32_e32 v28, v5
	s_waitcnt vmcnt(1)
	v_and_b32_e32 v5, v10, v28
	v_and_b32_e32 v10, v11, v29
	s_waitcnt vmcnt(0)
	v_mad_u64_u32 v[5:6], null, v5, 24, v[26:27]
	v_mad_u64_u32 v[10:11], null, v10, 24, v[6:7]
	v_mov_b32_e32 v6, v10
	global_load_dwordx2 v[26:27], v[5:6], off glc dlc
	s_waitcnt vmcnt(0)
	global_atomic_cmpswap_x2 v[5:6], v7, v[26:29], s[6:7] offset:24 glc
	s_waitcnt vmcnt(0)
	buffer_gl1_inv
	buffer_gl0_inv
	v_cmp_eq_u64_e32 vcc_lo, v[5:6], v[28:29]
	s_or_b32 s15, vcc_lo, s15
	s_andn2_b32 exec_lo, exec_lo, s15
	s_cbranch_execnz .LBB2_81
; %bb.82:                               ;   in Loop: Header=BB2_29 Depth=1
	s_or_b32 exec_lo, exec_lo, s15
.LBB2_83:                               ;   in Loop: Header=BB2_29 Depth=1
	s_or_b32 exec_lo, exec_lo, s14
.LBB2_84:                               ;   in Loop: Header=BB2_29 Depth=1
	s_or_b32 exec_lo, exec_lo, s5
	s_clause 0x1
	global_load_dwordx2 v[10:11], v7, s[6:7] offset:40
	global_load_dwordx4 v[26:29], v7, s[6:7]
	v_readfirstlane_b32 s14, v5
	v_readfirstlane_b32 s15, v6
	s_mov_b32 s5, exec_lo
	s_waitcnt vmcnt(1)
	v_readfirstlane_b32 s16, v10
	v_readfirstlane_b32 s17, v11
	s_and_b64 s[16:17], s[14:15], s[16:17]
	s_mul_i32 s18, s17, 24
	s_mul_hi_u32 s19, s16, 24
	s_mul_i32 s20, s16, 24
	s_add_i32 s19, s19, s18
	s_waitcnt vmcnt(0)
	v_add_co_u32 v30, vcc_lo, v26, s20
	v_add_co_ci_u32_e32 v31, vcc_lo, s19, v27, vcc_lo
	s_and_saveexec_b32 s18, s4
	s_cbranch_execz .LBB2_86
; %bb.85:                               ;   in Loop: Header=BB2_29 Depth=1
	v_mov_b32_e32 v6, s5
	global_store_dwordx4 v[30:31], v[6:9], off offset:8
.LBB2_86:                               ;   in Loop: Header=BB2_29 Depth=1
	s_or_b32 exec_lo, exec_lo, s18
	s_lshl_b64 s[16:17], s[16:17], 12
	v_cmp_gt_u64_e64 vcc_lo, s[10:11], 56
	v_or_b32_e32 v6, v3, v34
	v_add_co_u32 v28, s5, v28, s16
	v_add_co_ci_u32_e64 v29, s5, s17, v29, s5
	s_lshl_b32 s5, s12, 2
	v_or_b32_e32 v5, 0, v4
	v_cndmask_b32_e32 v3, v6, v3, vcc_lo
	s_add_i32 s5, s5, 28
	v_readfirstlane_b32 s16, v28
	s_and_b32 s5, s5, 0x1e0
	v_cndmask_b32_e32 v11, v5, v4, vcc_lo
	v_readfirstlane_b32 s17, v29
	v_and_or_b32 v10, 0xffffff1f, v3, s5
	global_store_dwordx4 v32, v[10:13], s[16:17]
	global_store_dwordx4 v32, v[14:17], s[16:17] offset:16
	global_store_dwordx4 v32, v[18:21], s[16:17] offset:32
	;; [unrolled: 1-line block ×3, first 2 shown]
	s_and_saveexec_b32 s5, s4
	s_cbranch_execz .LBB2_94
; %bb.87:                               ;   in Loop: Header=BB2_29 Depth=1
	s_clause 0x1
	global_load_dwordx2 v[14:15], v7, s[6:7] offset:32 glc dlc
	global_load_dwordx2 v[3:4], v7, s[6:7] offset:40
	v_mov_b32_e32 v12, s14
	v_mov_b32_e32 v13, s15
	s_waitcnt vmcnt(0)
	v_readfirstlane_b32 s16, v3
	v_readfirstlane_b32 s17, v4
	s_and_b64 s[16:17], s[16:17], s[14:15]
	s_mul_i32 s17, s17, 24
	s_mul_hi_u32 s18, s16, 24
	s_mul_i32 s16, s16, 24
	s_add_i32 s18, s18, s17
	v_add_co_u32 v10, vcc_lo, v26, s16
	v_add_co_ci_u32_e32 v11, vcc_lo, s18, v27, vcc_lo
	s_mov_b32 s16, exec_lo
	global_store_dwordx2 v[10:11], v[14:15], off
	s_waitcnt_vscnt null, 0x0
	global_atomic_cmpswap_x2 v[5:6], v7, v[12:15], s[6:7] offset:32 glc
	s_waitcnt vmcnt(0)
	v_cmpx_ne_u64_e64 v[5:6], v[14:15]
	s_cbranch_execz .LBB2_90
; %bb.88:                               ;   in Loop: Header=BB2_29 Depth=1
	s_mov_b32 s17, 0
.LBB2_89:                               ;   Parent Loop BB2_29 Depth=1
                                        ; =>  This Inner Loop Header: Depth=2
	v_mov_b32_e32 v3, s14
	v_mov_b32_e32 v4, s15
	s_sleep 1
	global_store_dwordx2 v[10:11], v[5:6], off
	s_waitcnt_vscnt null, 0x0
	global_atomic_cmpswap_x2 v[3:4], v7, v[3:6], s[6:7] offset:32 glc
	s_waitcnt vmcnt(0)
	v_cmp_eq_u64_e32 vcc_lo, v[3:4], v[5:6]
	v_mov_b32_e32 v6, v4
	v_mov_b32_e32 v5, v3
	s_or_b32 s17, vcc_lo, s17
	s_andn2_b32 exec_lo, exec_lo, s17
	s_cbranch_execnz .LBB2_89
.LBB2_90:                               ;   in Loop: Header=BB2_29 Depth=1
	s_or_b32 exec_lo, exec_lo, s16
	global_load_dwordx2 v[3:4], v7, s[6:7] offset:16
	s_mov_b32 s17, exec_lo
	s_mov_b32 s16, exec_lo
	v_mbcnt_lo_u32_b32 v5, s17, 0
	v_cmpx_eq_u32_e32 0, v5
	s_cbranch_execz .LBB2_92
; %bb.91:                               ;   in Loop: Header=BB2_29 Depth=1
	s_bcnt1_i32_b32 s17, s17
	v_mov_b32_e32 v6, s17
	s_waitcnt vmcnt(0)
	global_atomic_add_x2 v[3:4], v[6:7], off offset:8
.LBB2_92:                               ;   in Loop: Header=BB2_29 Depth=1
	s_or_b32 exec_lo, exec_lo, s16
	s_waitcnt vmcnt(0)
	global_load_dwordx2 v[10:11], v[3:4], off offset:16
	s_waitcnt vmcnt(0)
	v_cmp_eq_u64_e32 vcc_lo, 0, v[10:11]
	s_cbranch_vccnz .LBB2_94
; %bb.93:                               ;   in Loop: Header=BB2_29 Depth=1
	global_load_dword v6, v[3:4], off offset:24
	s_waitcnt vmcnt(0)
	v_and_b32_e32 v3, 0x7fffff, v6
	s_waitcnt_vscnt null, 0x0
	global_store_dwordx2 v[10:11], v[6:7], off
	v_readfirstlane_b32 m0, v3
	s_sendmsg sendmsg(MSG_INTERRUPT)
.LBB2_94:                               ;   in Loop: Header=BB2_29 Depth=1
	s_or_b32 exec_lo, exec_lo, s5
	v_add_co_u32 v3, vcc_lo, v28, v32
	v_add_co_ci_u32_e32 v4, vcc_lo, 0, v29, vcc_lo
	s_branch .LBB2_98
	.p2align	6
.LBB2_95:                               ;   in Loop: Header=BB2_98 Depth=2
	s_or_b32 exec_lo, exec_lo, s5
	v_readfirstlane_b32 s5, v5
	s_cmp_eq_u32 s5, 0
	s_cbranch_scc1 .LBB2_97
; %bb.96:                               ;   in Loop: Header=BB2_98 Depth=2
	s_sleep 1
	s_cbranch_execnz .LBB2_98
	s_branch .LBB2_100
	.p2align	6
.LBB2_97:                               ;   in Loop: Header=BB2_29 Depth=1
	s_branch .LBB2_100
.LBB2_98:                               ;   Parent Loop BB2_29 Depth=1
                                        ; =>  This Inner Loop Header: Depth=2
	v_mov_b32_e32 v5, 1
	s_and_saveexec_b32 s5, s4
	s_cbranch_execz .LBB2_95
; %bb.99:                               ;   in Loop: Header=BB2_98 Depth=2
	global_load_dword v5, v[30:31], off offset:20 glc dlc
	s_waitcnt vmcnt(0)
	buffer_gl1_inv
	buffer_gl0_inv
	v_and_b32_e32 v5, 1, v5
	s_branch .LBB2_95
.LBB2_100:                              ;   in Loop: Header=BB2_29 Depth=1
	global_load_dwordx4 v[3:6], v[3:4], off
	s_and_saveexec_b32 s5, s4
	s_cbranch_execz .LBB2_28
; %bb.101:                              ;   in Loop: Header=BB2_29 Depth=1
	s_clause 0x2
	global_load_dwordx2 v[5:6], v7, s[6:7] offset:40
	global_load_dwordx2 v[14:15], v7, s[6:7] offset:24 glc dlc
	global_load_dwordx2 v[12:13], v7, s[6:7]
	s_waitcnt vmcnt(2)
	v_add_co_u32 v16, vcc_lo, v5, 1
	v_add_co_ci_u32_e32 v17, vcc_lo, 0, v6, vcc_lo
	v_add_co_u32 v10, vcc_lo, v16, s14
	v_add_co_ci_u32_e32 v11, vcc_lo, s15, v17, vcc_lo
	v_cmp_eq_u64_e32 vcc_lo, 0, v[10:11]
	v_cndmask_b32_e32 v11, v11, v17, vcc_lo
	v_cndmask_b32_e32 v10, v10, v16, vcc_lo
	v_and_b32_e32 v6, v11, v6
	v_and_b32_e32 v5, v10, v5
	v_mul_lo_u32 v6, v6, 24
	v_mul_hi_u32 v16, v5, 24
	v_mul_lo_u32 v5, v5, 24
	v_add_nc_u32_e32 v6, v16, v6
	s_waitcnt vmcnt(0)
	v_add_co_u32 v5, vcc_lo, v12, v5
	v_mov_b32_e32 v12, v14
	v_add_co_ci_u32_e32 v6, vcc_lo, v13, v6, vcc_lo
	v_mov_b32_e32 v13, v15
	global_store_dwordx2 v[5:6], v[14:15], off
	s_waitcnt_vscnt null, 0x0
	global_atomic_cmpswap_x2 v[12:13], v7, v[10:13], s[6:7] offset:24 glc
	s_waitcnt vmcnt(0)
	v_cmp_ne_u64_e32 vcc_lo, v[12:13], v[14:15]
	s_and_b32 exec_lo, exec_lo, vcc_lo
	s_cbranch_execz .LBB2_28
; %bb.102:                              ;   in Loop: Header=BB2_29 Depth=1
	s_mov_b32 s4, 0
.LBB2_103:                              ;   Parent Loop BB2_29 Depth=1
                                        ; =>  This Inner Loop Header: Depth=2
	s_sleep 1
	global_store_dwordx2 v[5:6], v[12:13], off
	s_waitcnt_vscnt null, 0x0
	global_atomic_cmpswap_x2 v[14:15], v7, v[10:13], s[6:7] offset:24 glc
	s_waitcnt vmcnt(0)
	v_cmp_eq_u64_e32 vcc_lo, v[14:15], v[12:13]
	v_mov_b32_e32 v12, v14
	v_mov_b32_e32 v13, v15
	s_or_b32 s4, vcc_lo, s4
	s_andn2_b32 exec_lo, exec_lo, s4
	s_cbranch_execnz .LBB2_103
	s_branch .LBB2_28
.LBB2_104:
	s_branch .LBB2_133
.LBB2_105:
                                        ; implicit-def: $vgpr3_vgpr4
	s_cbranch_execz .LBB2_133
; %bb.106:
	v_readfirstlane_b32 s4, v33
	v_mov_b32_e32 v9, 0
	v_mov_b32_e32 v10, 0
	v_cmp_eq_u32_e64 s4, s4, v33
	s_and_saveexec_b32 s5, s4
	s_cbranch_execz .LBB2_112
; %bb.107:
	s_waitcnt vmcnt(0)
	v_mov_b32_e32 v3, 0
	s_mov_b32 s8, exec_lo
	global_load_dwordx2 v[6:7], v3, s[6:7] offset:24 glc dlc
	s_waitcnt vmcnt(0)
	buffer_gl1_inv
	buffer_gl0_inv
	s_clause 0x1
	global_load_dwordx2 v[4:5], v3, s[6:7] offset:40
	global_load_dwordx2 v[8:9], v3, s[6:7]
	s_waitcnt vmcnt(1)
	v_and_b32_e32 v5, v5, v7
	v_and_b32_e32 v4, v4, v6
	v_mul_lo_u32 v5, v5, 24
	v_mul_hi_u32 v10, v4, 24
	v_mul_lo_u32 v4, v4, 24
	v_add_nc_u32_e32 v5, v10, v5
	s_waitcnt vmcnt(0)
	v_add_co_u32 v4, vcc_lo, v8, v4
	v_add_co_ci_u32_e32 v5, vcc_lo, v9, v5, vcc_lo
	global_load_dwordx2 v[4:5], v[4:5], off glc dlc
	s_waitcnt vmcnt(0)
	global_atomic_cmpswap_x2 v[9:10], v3, v[4:7], s[6:7] offset:24 glc
	s_waitcnt vmcnt(0)
	buffer_gl1_inv
	buffer_gl0_inv
	v_cmpx_ne_u64_e64 v[9:10], v[6:7]
	s_cbranch_execz .LBB2_111
; %bb.108:
	s_mov_b32 s9, 0
	.p2align	6
.LBB2_109:                              ; =>This Inner Loop Header: Depth=1
	s_sleep 1
	s_clause 0x1
	global_load_dwordx2 v[4:5], v3, s[6:7] offset:40
	global_load_dwordx2 v[11:12], v3, s[6:7]
	v_mov_b32_e32 v6, v9
	v_mov_b32_e32 v7, v10
	s_waitcnt vmcnt(1)
	v_and_b32_e32 v4, v4, v6
	v_and_b32_e32 v5, v5, v7
	s_waitcnt vmcnt(0)
	v_mad_u64_u32 v[8:9], null, v4, 24, v[11:12]
	v_mov_b32_e32 v4, v9
	v_mad_u64_u32 v[4:5], null, v5, 24, v[4:5]
	v_mov_b32_e32 v9, v4
	global_load_dwordx2 v[4:5], v[8:9], off glc dlc
	s_waitcnt vmcnt(0)
	global_atomic_cmpswap_x2 v[9:10], v3, v[4:7], s[6:7] offset:24 glc
	s_waitcnt vmcnt(0)
	buffer_gl1_inv
	buffer_gl0_inv
	v_cmp_eq_u64_e32 vcc_lo, v[9:10], v[6:7]
	s_or_b32 s9, vcc_lo, s9
	s_andn2_b32 exec_lo, exec_lo, s9
	s_cbranch_execnz .LBB2_109
; %bb.110:
	s_or_b32 exec_lo, exec_lo, s9
.LBB2_111:
	s_or_b32 exec_lo, exec_lo, s8
.LBB2_112:
	s_or_b32 exec_lo, exec_lo, s5
	s_waitcnt vmcnt(0)
	v_mov_b32_e32 v3, 0
	v_readfirstlane_b32 s8, v9
	v_readfirstlane_b32 s9, v10
	s_mov_b32 s5, exec_lo
	s_clause 0x1
	global_load_dwordx2 v[11:12], v3, s[6:7] offset:40
	global_load_dwordx4 v[5:8], v3, s[6:7]
	s_waitcnt vmcnt(1)
	v_readfirstlane_b32 s10, v11
	v_readfirstlane_b32 s11, v12
	s_and_b64 s[10:11], s[8:9], s[10:11]
	s_mul_i32 s12, s11, 24
	s_mul_hi_u32 s13, s10, 24
	s_mul_i32 s14, s10, 24
	s_add_i32 s13, s13, s12
	s_waitcnt vmcnt(0)
	v_add_co_u32 v9, vcc_lo, v5, s14
	v_add_co_ci_u32_e32 v10, vcc_lo, s13, v6, vcc_lo
	s_and_saveexec_b32 s12, s4
	s_cbranch_execz .LBB2_114
; %bb.113:
	v_mov_b32_e32 v11, s5
	v_mov_b32_e32 v12, v3
	;; [unrolled: 1-line block ×4, first 2 shown]
	global_store_dwordx4 v[9:10], v[11:14], off offset:8
.LBB2_114:
	s_or_b32 exec_lo, exec_lo, s12
	s_lshl_b64 s[10:11], s[10:11], 12
	s_mov_b32 s12, 0
	v_add_co_u32 v7, vcc_lo, v7, s10
	v_add_co_ci_u32_e32 v8, vcc_lo, s11, v8, vcc_lo
	s_mov_b32 s13, s12
	v_readfirstlane_b32 s10, v7
	v_add_co_u32 v7, vcc_lo, v7, v32
	s_mov_b32 s14, s12
	s_mov_b32 s15, s12
	v_and_or_b32 v1, 0xffffff1f, v1, 32
	v_mov_b32_e32 v4, v3
	v_readfirstlane_b32 s11, v8
	v_mov_b32_e32 v11, s12
	v_add_co_ci_u32_e32 v8, vcc_lo, 0, v8, vcc_lo
	v_mov_b32_e32 v12, s13
	v_mov_b32_e32 v13, s14
	;; [unrolled: 1-line block ×3, first 2 shown]
	global_store_dwordx4 v32, v[1:4], s[10:11]
	global_store_dwordx4 v32, v[11:14], s[10:11] offset:16
	global_store_dwordx4 v32, v[11:14], s[10:11] offset:32
	;; [unrolled: 1-line block ×3, first 2 shown]
	s_and_saveexec_b32 s5, s4
	s_cbranch_execz .LBB2_122
; %bb.115:
	v_mov_b32_e32 v11, 0
	v_mov_b32_e32 v12, s8
	;; [unrolled: 1-line block ×3, first 2 shown]
	s_clause 0x1
	global_load_dwordx2 v[14:15], v11, s[6:7] offset:32 glc dlc
	global_load_dwordx2 v[1:2], v11, s[6:7] offset:40
	s_waitcnt vmcnt(0)
	v_readfirstlane_b32 s10, v1
	v_readfirstlane_b32 s11, v2
	s_and_b64 s[10:11], s[10:11], s[8:9]
	s_mul_i32 s11, s11, 24
	s_mul_hi_u32 s12, s10, 24
	s_mul_i32 s10, s10, 24
	s_add_i32 s12, s12, s11
	v_add_co_u32 v5, vcc_lo, v5, s10
	v_add_co_ci_u32_e32 v6, vcc_lo, s12, v6, vcc_lo
	s_mov_b32 s10, exec_lo
	global_store_dwordx2 v[5:6], v[14:15], off
	s_waitcnt_vscnt null, 0x0
	global_atomic_cmpswap_x2 v[3:4], v11, v[12:15], s[6:7] offset:32 glc
	s_waitcnt vmcnt(0)
	v_cmpx_ne_u64_e64 v[3:4], v[14:15]
	s_cbranch_execz .LBB2_118
; %bb.116:
	s_mov_b32 s11, 0
.LBB2_117:                              ; =>This Inner Loop Header: Depth=1
	v_mov_b32_e32 v1, s8
	v_mov_b32_e32 v2, s9
	s_sleep 1
	global_store_dwordx2 v[5:6], v[3:4], off
	s_waitcnt_vscnt null, 0x0
	global_atomic_cmpswap_x2 v[1:2], v11, v[1:4], s[6:7] offset:32 glc
	s_waitcnt vmcnt(0)
	v_cmp_eq_u64_e32 vcc_lo, v[1:2], v[3:4]
	v_mov_b32_e32 v4, v2
	v_mov_b32_e32 v3, v1
	s_or_b32 s11, vcc_lo, s11
	s_andn2_b32 exec_lo, exec_lo, s11
	s_cbranch_execnz .LBB2_117
.LBB2_118:
	s_or_b32 exec_lo, exec_lo, s10
	v_mov_b32_e32 v4, 0
	s_mov_b32 s11, exec_lo
	s_mov_b32 s10, exec_lo
	v_mbcnt_lo_u32_b32 v3, s11, 0
	global_load_dwordx2 v[1:2], v4, s[6:7] offset:16
	v_cmpx_eq_u32_e32 0, v3
	s_cbranch_execz .LBB2_120
; %bb.119:
	s_bcnt1_i32_b32 s11, s11
	v_mov_b32_e32 v3, s11
	s_waitcnt vmcnt(0)
	global_atomic_add_x2 v[1:2], v[3:4], off offset:8
.LBB2_120:
	s_or_b32 exec_lo, exec_lo, s10
	s_waitcnt vmcnt(0)
	global_load_dwordx2 v[3:4], v[1:2], off offset:16
	s_waitcnt vmcnt(0)
	v_cmp_eq_u64_e32 vcc_lo, 0, v[3:4]
	s_cbranch_vccnz .LBB2_122
; %bb.121:
	global_load_dword v1, v[1:2], off offset:24
	v_mov_b32_e32 v2, 0
	s_waitcnt vmcnt(0)
	v_and_b32_e32 v5, 0x7fffff, v1
	s_waitcnt_vscnt null, 0x0
	global_store_dwordx2 v[3:4], v[1:2], off
	v_readfirstlane_b32 m0, v5
	s_sendmsg sendmsg(MSG_INTERRUPT)
.LBB2_122:
	s_or_b32 exec_lo, exec_lo, s5
	s_branch .LBB2_126
	.p2align	6
.LBB2_123:                              ;   in Loop: Header=BB2_126 Depth=1
	s_or_b32 exec_lo, exec_lo, s5
	v_readfirstlane_b32 s5, v1
	s_cmp_eq_u32 s5, 0
	s_cbranch_scc1 .LBB2_125
; %bb.124:                              ;   in Loop: Header=BB2_126 Depth=1
	s_sleep 1
	s_cbranch_execnz .LBB2_126
	s_branch .LBB2_128
	.p2align	6
.LBB2_125:
	s_branch .LBB2_128
.LBB2_126:                              ; =>This Inner Loop Header: Depth=1
	v_mov_b32_e32 v1, 1
	s_and_saveexec_b32 s5, s4
	s_cbranch_execz .LBB2_123
; %bb.127:                              ;   in Loop: Header=BB2_126 Depth=1
	global_load_dword v1, v[9:10], off offset:20 glc dlc
	s_waitcnt vmcnt(0)
	buffer_gl1_inv
	buffer_gl0_inv
	v_and_b32_e32 v1, 1, v1
	s_branch .LBB2_123
.LBB2_128:
	global_load_dwordx2 v[3:4], v[7:8], off
	s_and_saveexec_b32 s5, s4
	s_cbranch_execz .LBB2_132
; %bb.129:
	v_mov_b32_e32 v9, 0
	s_clause 0x2
	global_load_dwordx2 v[1:2], v9, s[6:7] offset:40
	global_load_dwordx2 v[10:11], v9, s[6:7] offset:24 glc dlc
	global_load_dwordx2 v[7:8], v9, s[6:7]
	s_waitcnt vmcnt(2)
	v_add_co_u32 v12, vcc_lo, v1, 1
	v_add_co_ci_u32_e32 v13, vcc_lo, 0, v2, vcc_lo
	v_add_co_u32 v5, vcc_lo, v12, s8
	v_add_co_ci_u32_e32 v6, vcc_lo, s9, v13, vcc_lo
	v_cmp_eq_u64_e32 vcc_lo, 0, v[5:6]
	v_cndmask_b32_e32 v6, v6, v13, vcc_lo
	v_cndmask_b32_e32 v5, v5, v12, vcc_lo
	v_and_b32_e32 v2, v6, v2
	v_and_b32_e32 v1, v5, v1
	v_mul_lo_u32 v2, v2, 24
	v_mul_hi_u32 v12, v1, 24
	v_mul_lo_u32 v1, v1, 24
	v_add_nc_u32_e32 v2, v12, v2
	s_waitcnt vmcnt(0)
	v_add_co_u32 v1, vcc_lo, v7, v1
	v_mov_b32_e32 v7, v10
	v_add_co_ci_u32_e32 v2, vcc_lo, v8, v2, vcc_lo
	v_mov_b32_e32 v8, v11
	global_store_dwordx2 v[1:2], v[10:11], off
	s_waitcnt_vscnt null, 0x0
	global_atomic_cmpswap_x2 v[7:8], v9, v[5:8], s[6:7] offset:24 glc
	s_waitcnt vmcnt(0)
	v_cmp_ne_u64_e32 vcc_lo, v[7:8], v[10:11]
	s_and_b32 exec_lo, exec_lo, vcc_lo
	s_cbranch_execz .LBB2_132
; %bb.130:
	s_mov_b32 s4, 0
.LBB2_131:                              ; =>This Inner Loop Header: Depth=1
	s_sleep 1
	global_store_dwordx2 v[1:2], v[7:8], off
	s_waitcnt_vscnt null, 0x0
	global_atomic_cmpswap_x2 v[10:11], v9, v[5:8], s[6:7] offset:24 glc
	s_waitcnt vmcnt(0)
	v_cmp_eq_u64_e32 vcc_lo, v[10:11], v[7:8]
	v_mov_b32_e32 v7, v10
	v_mov_b32_e32 v8, v11
	s_or_b32 s4, vcc_lo, s4
	s_andn2_b32 exec_lo, exec_lo, s4
	s_cbranch_execnz .LBB2_131
.LBB2_132:
	s_or_b32 exec_lo, exec_lo, s5
.LBB2_133:
	v_readfirstlane_b32 s4, v33
	s_waitcnt vmcnt(0)
	v_mov_b32_e32 v1, 0
	v_mov_b32_e32 v2, 0
	v_cmp_eq_u32_e64 s4, s4, v33
	s_and_saveexec_b32 s5, s4
	s_cbranch_execz .LBB2_139
; %bb.134:
	v_mov_b32_e32 v5, 0
	s_mov_b32 s8, exec_lo
	global_load_dwordx2 v[8:9], v5, s[6:7] offset:24 glc dlc
	s_waitcnt vmcnt(0)
	buffer_gl1_inv
	buffer_gl0_inv
	s_clause 0x1
	global_load_dwordx2 v[1:2], v5, s[6:7] offset:40
	global_load_dwordx2 v[6:7], v5, s[6:7]
	s_waitcnt vmcnt(1)
	v_and_b32_e32 v2, v2, v9
	v_and_b32_e32 v1, v1, v8
	v_mul_lo_u32 v2, v2, 24
	v_mul_hi_u32 v10, v1, 24
	v_mul_lo_u32 v1, v1, 24
	v_add_nc_u32_e32 v2, v10, v2
	s_waitcnt vmcnt(0)
	v_add_co_u32 v1, vcc_lo, v6, v1
	v_add_co_ci_u32_e32 v2, vcc_lo, v7, v2, vcc_lo
	global_load_dwordx2 v[6:7], v[1:2], off glc dlc
	s_waitcnt vmcnt(0)
	global_atomic_cmpswap_x2 v[1:2], v5, v[6:9], s[6:7] offset:24 glc
	s_waitcnt vmcnt(0)
	buffer_gl1_inv
	buffer_gl0_inv
	v_cmpx_ne_u64_e64 v[1:2], v[8:9]
	s_cbranch_execz .LBB2_138
; %bb.135:
	s_mov_b32 s9, 0
	.p2align	6
.LBB2_136:                              ; =>This Inner Loop Header: Depth=1
	s_sleep 1
	s_clause 0x1
	global_load_dwordx2 v[6:7], v5, s[6:7] offset:40
	global_load_dwordx2 v[10:11], v5, s[6:7]
	v_mov_b32_e32 v9, v2
	v_mov_b32_e32 v8, v1
	s_waitcnt vmcnt(1)
	v_and_b32_e32 v1, v6, v8
	v_and_b32_e32 v6, v7, v9
	s_waitcnt vmcnt(0)
	v_mad_u64_u32 v[1:2], null, v1, 24, v[10:11]
	v_mad_u64_u32 v[6:7], null, v6, 24, v[2:3]
	v_mov_b32_e32 v2, v6
	global_load_dwordx2 v[6:7], v[1:2], off glc dlc
	s_waitcnt vmcnt(0)
	global_atomic_cmpswap_x2 v[1:2], v5, v[6:9], s[6:7] offset:24 glc
	s_waitcnt vmcnt(0)
	buffer_gl1_inv
	buffer_gl0_inv
	v_cmp_eq_u64_e32 vcc_lo, v[1:2], v[8:9]
	s_or_b32 s9, vcc_lo, s9
	s_andn2_b32 exec_lo, exec_lo, s9
	s_cbranch_execnz .LBB2_136
; %bb.137:
	s_or_b32 exec_lo, exec_lo, s9
.LBB2_138:
	s_or_b32 exec_lo, exec_lo, s8
.LBB2_139:
	s_or_b32 exec_lo, exec_lo, s5
	v_mov_b32_e32 v6, 0
	v_readfirstlane_b32 s8, v1
	v_readfirstlane_b32 s9, v2
	s_mov_b32 s5, exec_lo
	s_clause 0x1
	global_load_dwordx2 v[11:12], v6, s[6:7] offset:40
	global_load_dwordx4 v[7:10], v6, s[6:7]
	s_waitcnt vmcnt(1)
	v_readfirstlane_b32 s10, v11
	v_readfirstlane_b32 s11, v12
	s_and_b64 s[10:11], s[8:9], s[10:11]
	s_mul_i32 s12, s11, 24
	s_mul_hi_u32 s13, s10, 24
	s_mul_i32 s14, s10, 24
	s_add_i32 s13, s13, s12
	s_waitcnt vmcnt(0)
	v_add_co_u32 v11, vcc_lo, v7, s14
	v_add_co_ci_u32_e32 v12, vcc_lo, s13, v8, vcc_lo
	s_and_saveexec_b32 s12, s4
	s_cbranch_execz .LBB2_141
; %bb.140:
	v_mov_b32_e32 v5, s5
	v_mov_b32_e32 v14, v6
	;; [unrolled: 1-line block ×5, first 2 shown]
	global_store_dwordx4 v[11:12], v[13:16], off offset:8
.LBB2_141:
	s_or_b32 exec_lo, exec_lo, s12
	s_lshl_b64 s[10:11], s[10:11], 12
	s_mov_b32 s12, 0
	v_add_co_u32 v1, vcc_lo, v9, s10
	v_add_co_ci_u32_e32 v2, vcc_lo, s11, v10, vcc_lo
	s_mov_b32 s15, s12
	s_mov_b32 s13, s12
	;; [unrolled: 1-line block ×3, first 2 shown]
	v_bfe_i32 v5, v0, 0, 16
	v_and_or_b32 v3, 0xffffff1d, v3, 34
	v_readfirstlane_b32 s10, v1
	v_readfirstlane_b32 s11, v2
	v_mov_b32_e32 v16, s15
	v_mov_b32_e32 v15, s14
	;; [unrolled: 1-line block ×4, first 2 shown]
	global_store_dwordx4 v32, v[3:6], s[10:11]
	global_store_dwordx4 v32, v[13:16], s[10:11] offset:16
	global_store_dwordx4 v32, v[13:16], s[10:11] offset:32
	global_store_dwordx4 v32, v[13:16], s[10:11] offset:48
	s_and_saveexec_b32 s5, s4
	s_cbranch_execz .LBB2_149
; %bb.142:
	v_mov_b32_e32 v6, 0
	s_clause 0x1
	global_load_dwordx2 v[9:10], v6, s[6:7] offset:32 glc dlc
	global_load_dwordx2 v[0:1], v6, s[6:7] offset:40
	s_waitcnt vmcnt(0)
	v_readfirstlane_b32 s10, v0
	v_readfirstlane_b32 s11, v1
	s_and_b64 s[10:11], s[10:11], s[8:9]
	s_mul_i32 s11, s11, 24
	s_mul_hi_u32 s12, s10, 24
	s_mul_i32 s10, s10, 24
	s_add_i32 s12, s12, s11
	v_add_co_u32 v4, vcc_lo, v7, s10
	v_add_co_ci_u32_e32 v5, vcc_lo, s12, v8, vcc_lo
	v_mov_b32_e32 v7, s8
	v_mov_b32_e32 v8, s9
	s_mov_b32 s10, exec_lo
	global_store_dwordx2 v[4:5], v[9:10], off
	s_waitcnt_vscnt null, 0x0
	global_atomic_cmpswap_x2 v[2:3], v6, v[7:10], s[6:7] offset:32 glc
	s_waitcnt vmcnt(0)
	v_cmpx_ne_u64_e64 v[2:3], v[9:10]
	s_cbranch_execz .LBB2_145
; %bb.143:
	s_mov_b32 s11, 0
.LBB2_144:                              ; =>This Inner Loop Header: Depth=1
	v_mov_b32_e32 v0, s8
	v_mov_b32_e32 v1, s9
	s_sleep 1
	global_store_dwordx2 v[4:5], v[2:3], off
	s_waitcnt_vscnt null, 0x0
	global_atomic_cmpswap_x2 v[0:1], v6, v[0:3], s[6:7] offset:32 glc
	s_waitcnt vmcnt(0)
	v_cmp_eq_u64_e32 vcc_lo, v[0:1], v[2:3]
	v_mov_b32_e32 v3, v1
	v_mov_b32_e32 v2, v0
	s_or_b32 s11, vcc_lo, s11
	s_andn2_b32 exec_lo, exec_lo, s11
	s_cbranch_execnz .LBB2_144
.LBB2_145:
	s_or_b32 exec_lo, exec_lo, s10
	v_mov_b32_e32 v3, 0
	s_mov_b32 s11, exec_lo
	s_mov_b32 s10, exec_lo
	v_mbcnt_lo_u32_b32 v2, s11, 0
	global_load_dwordx2 v[0:1], v3, s[6:7] offset:16
	v_cmpx_eq_u32_e32 0, v2
	s_cbranch_execz .LBB2_147
; %bb.146:
	s_bcnt1_i32_b32 s11, s11
	v_mov_b32_e32 v2, s11
	s_waitcnt vmcnt(0)
	global_atomic_add_x2 v[0:1], v[2:3], off offset:8
.LBB2_147:
	s_or_b32 exec_lo, exec_lo, s10
	s_waitcnt vmcnt(0)
	global_load_dwordx2 v[2:3], v[0:1], off offset:16
	s_waitcnt vmcnt(0)
	v_cmp_eq_u64_e32 vcc_lo, 0, v[2:3]
	s_cbranch_vccnz .LBB2_149
; %bb.148:
	global_load_dword v0, v[0:1], off offset:24
	v_mov_b32_e32 v1, 0
	s_waitcnt vmcnt(0)
	v_and_b32_e32 v4, 0x7fffff, v0
	s_waitcnt_vscnt null, 0x0
	global_store_dwordx2 v[2:3], v[0:1], off
	v_readfirstlane_b32 m0, v4
	s_sendmsg sendmsg(MSG_INTERRUPT)
.LBB2_149:
	s_or_b32 exec_lo, exec_lo, s5
	s_branch .LBB2_153
	.p2align	6
.LBB2_150:                              ;   in Loop: Header=BB2_153 Depth=1
	s_or_b32 exec_lo, exec_lo, s5
	v_readfirstlane_b32 s5, v0
	s_cmp_eq_u32 s5, 0
	s_cbranch_scc1 .LBB2_152
; %bb.151:                              ;   in Loop: Header=BB2_153 Depth=1
	s_sleep 1
	s_cbranch_execnz .LBB2_153
	s_branch .LBB2_155
	.p2align	6
.LBB2_152:
	s_branch .LBB2_155
.LBB2_153:                              ; =>This Inner Loop Header: Depth=1
	v_mov_b32_e32 v0, 1
	s_and_saveexec_b32 s5, s4
	s_cbranch_execz .LBB2_150
; %bb.154:                              ;   in Loop: Header=BB2_153 Depth=1
	global_load_dword v0, v[11:12], off offset:20 glc dlc
	s_waitcnt vmcnt(0)
	buffer_gl1_inv
	buffer_gl0_inv
	v_and_b32_e32 v0, 1, v0
	s_branch .LBB2_150
.LBB2_155:
	s_and_saveexec_b32 s5, s4
	s_cbranch_execz .LBB2_159
; %bb.156:
	v_mov_b32_e32 v6, 0
	s_clause 0x2
	global_load_dwordx2 v[2:3], v6, s[6:7] offset:40
	global_load_dwordx2 v[7:8], v6, s[6:7] offset:24 glc dlc
	global_load_dwordx2 v[4:5], v6, s[6:7]
	s_waitcnt vmcnt(2)
	v_add_co_u32 v9, vcc_lo, v2, 1
	v_add_co_ci_u32_e32 v10, vcc_lo, 0, v3, vcc_lo
	v_add_co_u32 v0, vcc_lo, v9, s8
	v_add_co_ci_u32_e32 v1, vcc_lo, s9, v10, vcc_lo
	v_cmp_eq_u64_e32 vcc_lo, 0, v[0:1]
	v_cndmask_b32_e32 v1, v1, v10, vcc_lo
	v_cndmask_b32_e32 v0, v0, v9, vcc_lo
	v_and_b32_e32 v3, v1, v3
	v_and_b32_e32 v2, v0, v2
	v_mul_lo_u32 v3, v3, 24
	v_mul_hi_u32 v9, v2, 24
	v_mul_lo_u32 v2, v2, 24
	v_add_nc_u32_e32 v3, v9, v3
	s_waitcnt vmcnt(0)
	v_add_co_u32 v4, vcc_lo, v4, v2
	v_mov_b32_e32 v2, v7
	v_add_co_ci_u32_e32 v5, vcc_lo, v5, v3, vcc_lo
	v_mov_b32_e32 v3, v8
	global_store_dwordx2 v[4:5], v[7:8], off
	s_waitcnt_vscnt null, 0x0
	global_atomic_cmpswap_x2 v[2:3], v6, v[0:3], s[6:7] offset:24 glc
	s_waitcnt vmcnt(0)
	v_cmp_ne_u64_e32 vcc_lo, v[2:3], v[7:8]
	s_and_b32 exec_lo, exec_lo, vcc_lo
	s_cbranch_execz .LBB2_159
; %bb.157:
	s_mov_b32 s4, 0
.LBB2_158:                              ; =>This Inner Loop Header: Depth=1
	s_sleep 1
	global_store_dwordx2 v[4:5], v[2:3], off
	s_waitcnt_vscnt null, 0x0
	global_atomic_cmpswap_x2 v[7:8], v6, v[0:3], s[6:7] offset:24 glc
	s_waitcnt vmcnt(0)
	v_cmp_eq_u64_e32 vcc_lo, v[7:8], v[2:3]
	v_mov_b32_e32 v2, v7
	v_mov_b32_e32 v3, v8
	s_or_b32 s4, vcc_lo, s4
	s_andn2_b32 exec_lo, exec_lo, s4
	s_cbranch_execnz .LBB2_158
.LBB2_159:
	s_or_b32 exec_lo, exec_lo, s5
	s_waitcnt lgkmcnt(0)
	s_setpc_b64 s[30:31]
.Lfunc_end2:
	.size	_ZNK8migraphx13basic_printerIZNS_4coutEvEUlT_E_ElsEc, .Lfunc_end2-_ZNK8migraphx13basic_printerIZNS_4coutEvEUlT_E_ElsEc
                                        ; -- End function
	.section	.AMDGPU.csdata,"",@progbits
; Function info:
; codeLenInByte = 5964
; NumSgprs: 34
; NumVgprs: 35
; ScratchSize: 0
; MemoryBound: 0
	.text
	.p2align	2                               ; -- Begin function _ZN8migraphx4test4failEv
	.type	_ZN8migraphx4test4failEv,@function
_ZN8migraphx4test4failEv:               ; @_ZN8migraphx4test4failEv
; %bb.0:
	s_waitcnt vmcnt(0) expcnt(0) lgkmcnt(0)
	v_mov_b32_e32 v0, 0
	s_clause 0x1
	global_load_dword v1, v0, s[8:9] offset:18
	global_load_ushort v2, v0, s[8:9] offset:22
	s_clause 0x1
	s_load_dwordx2 s[4:5], s[8:9], 0x0
	s_load_dword s6, s[8:9], 0x8
	s_waitcnt vmcnt(1)
	v_cmp_ne_u16_e32 vcc_lo, 0, v1
	v_cmp_ne_u16_sdwa s7, v1, v0 src0_sel:WORD_1 src1_sel:DWORD
	s_cmp_lg_u32 vcc_lo, 0
	s_waitcnt vmcnt(0)
	v_cmp_ne_u16_e32 vcc_lo, 0, v2
	s_waitcnt lgkmcnt(0)
	s_addc_u32 s10, s4, 0
	s_cmp_lg_u32 s7, 0
	s_addc_u32 s7, s5, 0
	s_cmp_lg_u32 vcc_lo, 0
	s_mul_i32 s7, s7, s10
	s_addc_u32 s10, s6, 0
	s_mul_i32 s7, s7, s10
	s_cmp_lg_u32 s7, 1
	s_cbranch_scc1 .LBB3_3
; %bb.1:
	s_cmp_lt_u32 s14, s6
	s_cselect_b32 s6, 16, 22
	s_add_u32 s6, s8, s6
	s_addc_u32 s7, s9, 0
	s_cmp_lt_u32 s13, s5
	s_cselect_b32 s5, 14, 20
	s_add_u32 s10, s8, s5
	s_addc_u32 s11, s9, 0
	s_clause 0x1
	global_load_ushort v1, v0, s[6:7]
	global_load_ushort v2, v0, s[10:11]
	s_cmp_lt_u32 s12, s4
	s_cselect_b32 s4, 12, 18
	s_add_u32 s4, s8, s4
	s_addc_u32 s5, s9, 0
	global_load_ushort v0, v0, s[4:5]
	s_waitcnt vmcnt(1)
	v_mul_lo_u32 v1, v2, v1
	s_waitcnt vmcnt(0)
	v_mul_lo_u32 v0, v1, v0
	v_cmp_lt_u32_e32 vcc_lo, 32, v0
	s_cbranch_vccnz .LBB3_3
; %bb.2:
	s_endpgm
.LBB3_3:
	s_trap 2
.Lfunc_end3:
	.size	_ZN8migraphx4test4failEv, .Lfunc_end3-_ZN8migraphx4test4failEv
                                        ; -- End function
	.section	.AMDGPU.csdata,"",@progbits
; Function info:
; codeLenInByte = 232
; NumSgprs: 17
; NumVgprs: 3
; ScratchSize: 0
; MemoryBound: 0
	.text
	.p2align	2                               ; -- Begin function _ZL22merge_first_all_largerRN8migraphx4test12test_managerE
	.type	_ZL22merge_first_all_largerRN8migraphx4test12test_managerE,@function
_ZL22merge_first_all_largerRN8migraphx4test12test_managerE: ; @_ZL22merge_first_all_largerRN8migraphx4test12test_managerE
; %bb.0:
	s_waitcnt vmcnt(0) expcnt(0) lgkmcnt(0)
	s_mov_b32 s4, s33
	s_mov_b32 s33, s32
	s_or_saveexec_b32 s5, -1
	buffer_store_dword v41, off, s[0:3], s33 offset:88 ; 4-byte Folded Spill
	s_mov_b32 exec_lo, s5
	v_writelane_b32 v41, s4, 2
	v_writelane_b32 v41, s30, 0
	s_addk_i32 s32, 0xc00
	v_writelane_b32 v41, s31, 1
	v_mov_b32_e32 v66, v0
	v_mov_b32_e32 v0, 4
	;; [unrolled: 1-line block ×5, first 2 shown]
	buffer_store_dword v0, off, s[0:3], s33
	buffer_store_dword v1, off, s[0:3], s33 offset:4
	v_mov_b32_e32 v0, 6
	v_mov_b32_e32 v1, 1
	;; [unrolled: 1-line block ×4, first 2 shown]
	buffer_store_dword v0, off, s[0:3], s33 offset:8
	buffer_store_dword v1, off, s[0:3], s33 offset:12
	;; [unrolled: 1-line block ×7, first 2 shown]
	v_lshrrev_b32_e64 v3, 5, s33
	v_mov_b32_e32 v4, 0
	s_mov_b32 s4, 0
	buffer_store_dword v2, off, s[0:3], s33 offset:36
	buffer_store_dword v2, off, s[0:3], s33 offset:40
	;; [unrolled: 1-line block ×3, first 2 shown]
	v_add_nc_u32_e32 v3, 24, v3
                                        ; implicit-def: $sgpr5
                                        ; implicit-def: $sgpr7
                                        ; implicit-def: $sgpr6
	s_inst_prefetch 0x1
	s_branch .LBB4_2
	.p2align	6
.LBB4_1:                                ;   in Loop: Header=BB4_2 Depth=1
	s_or_b32 exec_lo, exec_lo, s10
	s_and_b32 s10, exec_lo, s7
	s_or_b32 s4, s10, s4
	s_andn2_b32 s5, s5, exec_lo
	s_and_b32 s10, s6, exec_lo
	s_or_b32 s5, s5, s10
	s_andn2_b32 exec_lo, exec_lo, s4
	s_cbranch_execz .LBB4_4
.LBB4_2:                                ; =>This Inner Loop Header: Depth=1
	v_mov_b32_e32 v1, v4
	v_mov_b32_e32 v0, v3
	s_or_b32 s6, s6, exec_lo
	s_or_b32 s7, s7, exec_lo
	s_mov_b32 s10, exec_lo
                                        ; implicit-def: $vgpr4
                                        ; implicit-def: $vgpr3
	v_cmpx_ne_u32_e32 12, v2
	s_cbranch_execz .LBB4_1
; %bb.3:                                ;   in Loop: Header=BB4_2 Depth=1
	v_lshrrev_b32_e64 v4, 5, s33
	v_lshrrev_b32_e64 v5, 5, s33
	s_andn2_b32 s7, s7, exec_lo
	s_andn2_b32 s6, s6, exec_lo
	v_add_nc_u32_e32 v4, 12, v4
	v_add_nc_u32_e32 v3, v4, v2
	;; [unrolled: 1-line block ×3, first 2 shown]
	s_clause 0x1
	buffer_load_dword v3, v3, s[0:3], 0 offen
	buffer_load_dword v5, v4, s[0:3], 0 offen
	s_waitcnt vmcnt(0)
	v_cmp_ge_i32_e32 vcc_lo, v3, v5
	v_cndmask_b32_e64 v4, 0, 1, vcc_lo
	v_cmp_lt_i32_e32 vcc_lo, v3, v5
	v_min_i32_e32 v5, v3, v5
	v_add_nc_u32_e32 v3, 4, v0
	v_lshl_add_u32 v4, v4, 2, v1
	v_cndmask_b32_e64 v6, 0, 1, vcc_lo
	buffer_store_dword v5, v0, s[0:3], 0 offen
	v_cmp_eq_u32_e32 vcc_lo, 12, v4
	v_lshl_add_u32 v2, v6, 2, v2
	s_and_b32 s11, vcc_lo, exec_lo
	s_or_b32 s7, s7, s11
	s_branch .LBB4_1
.LBB4_4:
	s_inst_prefetch 0x2
	s_or_b32 exec_lo, exec_lo, s4
	s_xor_b32 s4, s5, -1
	s_and_saveexec_b32 s5, s4
	s_xor_b32 s4, exec_lo, s5
	s_cbranch_execz .LBB4_9
; %bb.5:
	s_mov_b32 s5, exec_lo
	v_cmpx_ne_u32_e32 12, v2
	s_cbranch_execz .LBB4_8
; %bb.6:
	v_lshrrev_b32_e64 v5, 5, s33
	s_mov_b32 s6, 0
	s_mov_b32 s7, 0
	v_add_nc_u32_e32 v5, 12, v5
	v_add_nc_u32_e32 v4, v5, v2
	v_sub_nc_u32_e32 v2, 12, v2
.LBB4_7:                                ; =>This Inner Loop Header: Depth=1
	v_add_nc_u32_e32 v5, s7, v4
	v_add_nc_u32_e32 v6, s7, v3
	s_add_i32 s7, s7, 4
	v_cmp_eq_u32_e32 vcc_lo, s7, v2
	buffer_load_dword v5, v5, s[0:3], 0 offen
	s_or_b32 s6, vcc_lo, s6
	s_waitcnt vmcnt(0)
	buffer_store_dword v5, v6, s[0:3], 0 offen
	s_andn2_b32 exec_lo, exec_lo, s6
	s_cbranch_execnz .LBB4_7
.LBB4_8:
	s_or_b32 exec_lo, exec_lo, s5
.LBB4_9:
	s_andn2_saveexec_b32 s4, s4
	s_cbranch_execz .LBB4_13
; %bb.10:
	v_lshrrev_b32_e64 v3, 5, s33
	s_mov_b32 s5, 0
	s_mov_b32 s6, 0
	v_add_nc_u32_e32 v2, v3, v1
	v_sub_nc_u32_e32 v1, 12, v1
.LBB4_11:                               ; =>This Inner Loop Header: Depth=1
	v_add_nc_u32_e32 v3, s6, v2
	v_add_nc_u32_e32 v4, s6, v0
	s_add_i32 s6, s6, 4
	v_cmp_eq_u32_e32 vcc_lo, s6, v1
	buffer_load_dword v3, v3, s[0:3], 0 offen
	s_or_b32 s5, vcc_lo, s5
	s_waitcnt vmcnt(0)
	buffer_store_dword v3, v4, s[0:3], 0 offen
	s_andn2_b32 exec_lo, exec_lo, s5
	s_cbranch_execnz .LBB4_11
; %bb.12:
	s_or_b32 exec_lo, exec_lo, s5
.LBB4_13:
	s_or_b32 exec_lo, exec_lo, s4
	s_clause 0x5
	buffer_load_dword v0, off, s[0:3], s33 offset:28
	buffer_load_dword v1, off, s[0:3], s33 offset:32
	;; [unrolled: 1-line block ×6, first 2 shown]
	v_mov_b32_e32 v6, 1
	s_mov_b64 s[4:5], src_private_base
	buffer_store_dword v6, off, s[0:3], s33 offset:48
	v_mov_b32_e32 v6, 5
	s_waitcnt vmcnt(5)
	v_cmp_ne_u32_e32 vcc_lo, 2, v0
	v_cndmask_b32_e64 v0, 0, 1, vcc_lo
	s_waitcnt vmcnt(4)
	v_cmp_ne_u32_e32 vcc_lo, 3, v1
	v_lshlrev_b16 v0, 1, v0
	v_cndmask_b32_e64 v1, 0, 1, vcc_lo
	s_waitcnt vmcnt(3)
	v_cmp_ne_u32_e32 vcc_lo, 4, v2
	v_lshlrev_b16 v1, 2, v1
	v_cndmask_b32_e64 v2, 0, 1, vcc_lo
	s_waitcnt vmcnt(2)
	v_cmp_ne_u32_e32 vcc_lo, 1, v3
	v_lshlrev_b16 v2, 3, v2
	v_cndmask_b32_e64 v3, 0, 1, vcc_lo
	s_waitcnt vmcnt(1)
	v_cmp_ne_u32_e32 vcc_lo, 5, v4
	v_or_b32_e32 v1, v2, v1
	v_or_b32_e32 v0, v3, v0
	v_mov_b32_e32 v3, 2
	v_mov_b32_e32 v2, 3
	v_and_b32_e32 v0, 3, v0
	buffer_store_dword v3, off, s[0:3], s33 offset:52
	v_mov_b32_e32 v3, 4
	buffer_store_dword v2, off, s[0:3], s33 offset:56
	buffer_store_dword v3, off, s[0:3], s33 offset:60
	buffer_store_dword v6, off, s[0:3], s33 offset:64
	v_or_b32_e32 v0, v0, v1
	v_mov_b32_e32 v1, 6
	v_mov_b32_e32 v2, s5
	s_waitcnt vmcnt(0)
	v_cmp_ne_u32_e64 s5, 6, v5
	v_and_b32_e32 v0, 15, v0
	buffer_store_dword v1, off, s[0:3], s33 offset:68
	v_lshrrev_b32_e64 v1, 5, s33
	buffer_store_dword v2, off, s[0:3], s33 offset:76
	buffer_store_dword v2, off, s[0:3], s33 offset:84
	v_cmp_ne_u16_e64 s4, 0, v0
	v_lshrrev_b32_e64 v0, 5, s33
	v_add_nc_u32_e32 v1, 24, v1
	s_or_b32 s4, s4, vcc_lo
	v_add_nc_u32_e32 v0, 48, v0
	s_or_b32 s4, s4, s5
	buffer_store_dword v1, off, s[0:3], s33 offset:72
	buffer_store_dword v0, off, s[0:3], s33 offset:80
	s_and_saveexec_b32 s5, s4
	s_xor_b32 s37, exec_lo, s5
	s_cbranch_execz .LBB4_1532
; %bb.14:
	v_and_b32_e32 v0, 0x3ff, v31
	s_mov_b32 s40, exec_lo
	v_cmpx_eq_u32_e32 0, v0
	s_cbranch_execz .LBB4_1531
; %bb.15:
	s_load_dwordx2 s[6:7], s[8:9], 0x50
	v_mbcnt_lo_u32_b32 v32, -1, 0
	v_mov_b32_e32 v6, 0
	v_mov_b32_e32 v7, 0
	v_readfirstlane_b32 s4, v32
	v_cmp_eq_u32_e64 s4, s4, v32
	s_and_saveexec_b32 s5, s4
	s_cbranch_execz .LBB4_21
; %bb.16:
	v_mov_b32_e32 v0, 0
	s_mov_b32 s10, exec_lo
	s_waitcnt lgkmcnt(0)
	global_load_dwordx2 v[3:4], v0, s[6:7] offset:24 glc dlc
	s_waitcnt vmcnt(0)
	buffer_gl1_inv
	buffer_gl0_inv
	s_clause 0x1
	global_load_dwordx2 v[1:2], v0, s[6:7] offset:40
	global_load_dwordx2 v[5:6], v0, s[6:7]
	s_waitcnt vmcnt(1)
	v_and_b32_e32 v2, v2, v4
	v_and_b32_e32 v1, v1, v3
	v_mul_lo_u32 v2, v2, 24
	v_mul_hi_u32 v7, v1, 24
	v_mul_lo_u32 v1, v1, 24
	v_add_nc_u32_e32 v2, v7, v2
	s_waitcnt vmcnt(0)
	v_add_co_u32 v1, vcc_lo, v5, v1
	v_add_co_ci_u32_e32 v2, vcc_lo, v6, v2, vcc_lo
	global_load_dwordx2 v[1:2], v[1:2], off glc dlc
	s_waitcnt vmcnt(0)
	global_atomic_cmpswap_x2 v[6:7], v0, v[1:4], s[6:7] offset:24 glc
	s_waitcnt vmcnt(0)
	buffer_gl1_inv
	buffer_gl0_inv
	v_cmpx_ne_u64_e64 v[6:7], v[3:4]
	s_cbranch_execz .LBB4_20
; %bb.17:
	s_mov_b32 s11, 0
	.p2align	6
.LBB4_18:                               ; =>This Inner Loop Header: Depth=1
	s_sleep 1
	s_clause 0x1
	global_load_dwordx2 v[1:2], v0, s[6:7] offset:40
	global_load_dwordx2 v[8:9], v0, s[6:7]
	v_mov_b32_e32 v3, v6
	v_mov_b32_e32 v4, v7
	s_waitcnt vmcnt(1)
	v_and_b32_e32 v1, v1, v3
	v_and_b32_e32 v2, v2, v4
	s_waitcnt vmcnt(0)
	v_mad_u64_u32 v[5:6], null, v1, 24, v[8:9]
	v_mov_b32_e32 v1, v6
	v_mad_u64_u32 v[1:2], null, v2, 24, v[1:2]
	v_mov_b32_e32 v6, v1
	global_load_dwordx2 v[1:2], v[5:6], off glc dlc
	s_waitcnt vmcnt(0)
	global_atomic_cmpswap_x2 v[6:7], v0, v[1:4], s[6:7] offset:24 glc
	s_waitcnt vmcnt(0)
	buffer_gl1_inv
	buffer_gl0_inv
	v_cmp_eq_u64_e32 vcc_lo, v[6:7], v[3:4]
	s_or_b32 s11, vcc_lo, s11
	s_andn2_b32 exec_lo, exec_lo, s11
	s_cbranch_execnz .LBB4_18
; %bb.19:
	s_or_b32 exec_lo, exec_lo, s11
.LBB4_20:
	s_or_b32 exec_lo, exec_lo, s10
.LBB4_21:
	s_or_b32 exec_lo, exec_lo, s5
	v_mov_b32_e32 v5, 0
	v_readfirstlane_b32 s10, v6
	v_readfirstlane_b32 s11, v7
	s_mov_b32 s5, exec_lo
	s_waitcnt lgkmcnt(0)
	s_clause 0x1
	global_load_dwordx2 v[8:9], v5, s[6:7] offset:40
	global_load_dwordx4 v[0:3], v5, s[6:7]
	s_waitcnt vmcnt(1)
	v_readfirstlane_b32 s16, v8
	v_readfirstlane_b32 s17, v9
	s_and_b64 s[16:17], s[10:11], s[16:17]
	s_mul_i32 s15, s17, 24
	s_mul_hi_u32 s18, s16, 24
	s_mul_i32 s19, s16, 24
	s_add_i32 s18, s18, s15
	s_waitcnt vmcnt(0)
	v_add_co_u32 v8, vcc_lo, v0, s19
	v_add_co_ci_u32_e32 v9, vcc_lo, s18, v1, vcc_lo
	s_and_saveexec_b32 s15, s4
	s_cbranch_execz .LBB4_23
; %bb.22:
	v_mov_b32_e32 v4, s5
	v_mov_b32_e32 v6, 2
	;; [unrolled: 1-line block ×3, first 2 shown]
	global_store_dwordx4 v[8:9], v[4:7], off offset:8
.LBB4_23:
	s_or_b32 exec_lo, exec_lo, s15
	s_lshl_b64 s[16:17], s[16:17], 12
	v_lshlrev_b32_e32 v31, 6, v32
	v_add_co_u32 v2, vcc_lo, v2, s16
	v_add_co_ci_u32_e32 v3, vcc_lo, s17, v3, vcc_lo
	s_mov_b32 s16, 0
	v_add_co_u32 v10, vcc_lo, v2, v31
	s_mov_b32 s17, s16
	s_mov_b32 s18, s16
	;; [unrolled: 1-line block ×3, first 2 shown]
	v_mov_b32_e32 v4, 33
	v_mov_b32_e32 v6, v5
	;; [unrolled: 1-line block ×3, first 2 shown]
	v_readfirstlane_b32 s20, v2
	v_readfirstlane_b32 s21, v3
	v_mov_b32_e32 v12, s16
	v_add_co_ci_u32_e32 v11, vcc_lo, 0, v3, vcc_lo
	v_mov_b32_e32 v13, s17
	v_mov_b32_e32 v14, s18
	;; [unrolled: 1-line block ×3, first 2 shown]
	global_store_dwordx4 v31, v[4:7], s[20:21]
	global_store_dwordx4 v31, v[12:15], s[20:21] offset:16
	global_store_dwordx4 v31, v[12:15], s[20:21] offset:32
	global_store_dwordx4 v31, v[12:15], s[20:21] offset:48
	s_and_saveexec_b32 s5, s4
	s_cbranch_execz .LBB4_30
; %bb.24:
	v_mov_b32_e32 v6, 0
	v_mov_b32_e32 v12, s10
	;; [unrolled: 1-line block ×3, first 2 shown]
	s_mov_b32 s15, exec_lo
	s_clause 0x1
	global_load_dwordx2 v[14:15], v6, s[6:7] offset:32 glc dlc
	global_load_dwordx2 v[2:3], v6, s[6:7] offset:40
	s_waitcnt vmcnt(0)
	v_and_b32_e32 v3, s11, v3
	v_and_b32_e32 v2, s10, v2
	v_mul_lo_u32 v3, v3, 24
	v_mul_hi_u32 v4, v2, 24
	v_mul_lo_u32 v2, v2, 24
	v_add_nc_u32_e32 v3, v4, v3
	v_add_co_u32 v4, vcc_lo, v0, v2
	v_add_co_ci_u32_e32 v5, vcc_lo, v1, v3, vcc_lo
	global_store_dwordx2 v[4:5], v[14:15], off
	s_waitcnt_vscnt null, 0x0
	global_atomic_cmpswap_x2 v[2:3], v6, v[12:15], s[6:7] offset:32 glc
	s_waitcnt vmcnt(0)
	v_cmpx_ne_u64_e64 v[2:3], v[14:15]
	s_cbranch_execz .LBB4_26
.LBB4_25:                               ; =>This Inner Loop Header: Depth=1
	v_mov_b32_e32 v0, s10
	v_mov_b32_e32 v1, s11
	s_sleep 1
	global_store_dwordx2 v[4:5], v[2:3], off
	s_waitcnt_vscnt null, 0x0
	global_atomic_cmpswap_x2 v[0:1], v6, v[0:3], s[6:7] offset:32 glc
	s_waitcnt vmcnt(0)
	v_cmp_eq_u64_e32 vcc_lo, v[0:1], v[2:3]
	v_mov_b32_e32 v3, v1
	v_mov_b32_e32 v2, v0
	s_or_b32 s16, vcc_lo, s16
	s_andn2_b32 exec_lo, exec_lo, s16
	s_cbranch_execnz .LBB4_25
.LBB4_26:
	s_or_b32 exec_lo, exec_lo, s15
	v_mov_b32_e32 v3, 0
	s_mov_b32 s16, exec_lo
	s_mov_b32 s15, exec_lo
	v_mbcnt_lo_u32_b32 v2, s16, 0
	global_load_dwordx2 v[0:1], v3, s[6:7] offset:16
	v_cmpx_eq_u32_e32 0, v2
	s_cbranch_execz .LBB4_28
; %bb.27:
	s_bcnt1_i32_b32 s16, s16
	v_mov_b32_e32 v2, s16
	s_waitcnt vmcnt(0)
	global_atomic_add_x2 v[0:1], v[2:3], off offset:8
.LBB4_28:
	s_or_b32 exec_lo, exec_lo, s15
	s_waitcnt vmcnt(0)
	global_load_dwordx2 v[2:3], v[0:1], off offset:16
	s_waitcnt vmcnt(0)
	v_cmp_eq_u64_e32 vcc_lo, 0, v[2:3]
	s_cbranch_vccnz .LBB4_30
; %bb.29:
	global_load_dword v0, v[0:1], off offset:24
	v_mov_b32_e32 v1, 0
	s_waitcnt vmcnt(0)
	v_and_b32_e32 v4, 0x7fffff, v0
	s_waitcnt_vscnt null, 0x0
	global_store_dwordx2 v[2:3], v[0:1], off
	v_readfirstlane_b32 m0, v4
	s_sendmsg sendmsg(MSG_INTERRUPT)
.LBB4_30:
	s_or_b32 exec_lo, exec_lo, s5
	s_branch .LBB4_34
	.p2align	6
.LBB4_31:                               ;   in Loop: Header=BB4_34 Depth=1
	s_or_b32 exec_lo, exec_lo, s5
	v_readfirstlane_b32 s5, v0
	s_cmp_eq_u32 s5, 0
	s_cbranch_scc1 .LBB4_33
; %bb.32:                               ;   in Loop: Header=BB4_34 Depth=1
	s_sleep 1
	s_cbranch_execnz .LBB4_34
	s_branch .LBB4_36
	.p2align	6
.LBB4_33:
	s_branch .LBB4_36
.LBB4_34:                               ; =>This Inner Loop Header: Depth=1
	v_mov_b32_e32 v0, 1
	s_and_saveexec_b32 s5, s4
	s_cbranch_execz .LBB4_31
; %bb.35:                               ;   in Loop: Header=BB4_34 Depth=1
	global_load_dword v0, v[8:9], off offset:20 glc dlc
	s_waitcnt vmcnt(0)
	buffer_gl1_inv
	buffer_gl0_inv
	v_and_b32_e32 v0, 1, v0
	s_branch .LBB4_31
.LBB4_36:
	global_load_dwordx2 v[4:5], v[10:11], off
	s_and_saveexec_b32 s5, s4
	s_cbranch_execz .LBB4_40
; %bb.37:
	v_mov_b32_e32 v8, 0
	s_clause 0x2
	global_load_dwordx2 v[2:3], v8, s[6:7] offset:40
	global_load_dwordx2 v[9:10], v8, s[6:7] offset:24 glc dlc
	global_load_dwordx2 v[6:7], v8, s[6:7]
	s_waitcnt vmcnt(2)
	v_add_co_u32 v11, vcc_lo, v2, 1
	v_add_co_ci_u32_e32 v12, vcc_lo, 0, v3, vcc_lo
	v_add_co_u32 v0, vcc_lo, v11, s10
	v_add_co_ci_u32_e32 v1, vcc_lo, s11, v12, vcc_lo
	v_cmp_eq_u64_e32 vcc_lo, 0, v[0:1]
	v_cndmask_b32_e32 v1, v1, v12, vcc_lo
	v_cndmask_b32_e32 v0, v0, v11, vcc_lo
	v_and_b32_e32 v3, v1, v3
	v_and_b32_e32 v2, v0, v2
	v_mul_lo_u32 v3, v3, 24
	v_mul_hi_u32 v11, v2, 24
	v_mul_lo_u32 v2, v2, 24
	v_add_nc_u32_e32 v3, v11, v3
	s_waitcnt vmcnt(0)
	v_add_co_u32 v6, vcc_lo, v6, v2
	v_mov_b32_e32 v2, v9
	v_add_co_ci_u32_e32 v7, vcc_lo, v7, v3, vcc_lo
	v_mov_b32_e32 v3, v10
	global_store_dwordx2 v[6:7], v[9:10], off
	s_waitcnt_vscnt null, 0x0
	global_atomic_cmpswap_x2 v[2:3], v8, v[0:3], s[6:7] offset:24 glc
	s_waitcnt vmcnt(0)
	v_cmp_ne_u64_e32 vcc_lo, v[2:3], v[9:10]
	s_and_b32 exec_lo, exec_lo, vcc_lo
	s_cbranch_execz .LBB4_40
; %bb.38:
	s_mov_b32 s4, 0
.LBB4_39:                               ; =>This Inner Loop Header: Depth=1
	s_sleep 1
	global_store_dwordx2 v[6:7], v[2:3], off
	s_waitcnt_vscnt null, 0x0
	global_atomic_cmpswap_x2 v[9:10], v8, v[0:3], s[6:7] offset:24 glc
	s_waitcnt vmcnt(0)
	v_cmp_eq_u64_e32 vcc_lo, v[9:10], v[2:3]
	v_mov_b32_e32 v2, v9
	v_mov_b32_e32 v3, v10
	s_or_b32 s4, vcc_lo, s4
	s_andn2_b32 exec_lo, exec_lo, s4
	s_cbranch_execnz .LBB4_39
.LBB4_40:
	s_or_b32 exec_lo, exec_lo, s5
	s_getpc_b64 s[10:11]
	s_add_u32 s10, s10, .str.5@rel32@lo+4
	s_addc_u32 s11, s11, .str.5@rel32@hi+12
	s_cmp_lg_u64 s[10:11], 0
	s_cselect_b32 s15, -1, 0
	s_and_b32 vcc_lo, exec_lo, s15
	s_cbranch_vccz .LBB4_119
; %bb.41:
	s_waitcnt vmcnt(0)
	v_and_b32_e32 v28, 2, v4
	v_mov_b32_e32 v7, 0
	v_and_b32_e32 v0, -3, v4
	v_mov_b32_e32 v1, v5
	v_mov_b32_e32 v8, 2
	;; [unrolled: 1-line block ×3, first 2 shown]
	s_mov_b64 s[16:17], 3
	s_branch .LBB4_43
.LBB4_42:                               ;   in Loop: Header=BB4_43 Depth=1
	s_or_b32 exec_lo, exec_lo, s5
	s_sub_u32 s16, s16, s18
	s_subb_u32 s17, s17, s19
	s_add_u32 s10, s10, s18
	s_addc_u32 s11, s11, s19
	s_cmp_lg_u64 s[16:17], 0
	s_cbranch_scc0 .LBB4_118
.LBB4_43:                               ; =>This Loop Header: Depth=1
                                        ;     Child Loop BB4_52 Depth 2
                                        ;     Child Loop BB4_48 Depth 2
	;; [unrolled: 1-line block ×11, first 2 shown]
	v_cmp_lt_u64_e64 s4, s[16:17], 56
	v_cmp_gt_u64_e64 s5, s[16:17], 7
                                        ; implicit-def: $vgpr2_vgpr3
                                        ; implicit-def: $sgpr24
	s_and_b32 s4, s4, exec_lo
	s_cselect_b32 s19, s17, 0
	s_cselect_b32 s18, s16, 56
	s_and_b32 vcc_lo, exec_lo, s5
	s_mov_b32 s4, -1
	s_cbranch_vccz .LBB4_50
; %bb.44:                               ;   in Loop: Header=BB4_43 Depth=1
	s_andn2_b32 vcc_lo, exec_lo, s4
	s_mov_b64 s[4:5], s[10:11]
	s_cbranch_vccz .LBB4_54
.LBB4_45:                               ;   in Loop: Header=BB4_43 Depth=1
	s_cmp_gt_u32 s24, 7
	s_cbranch_scc1 .LBB4_55
.LBB4_46:                               ;   in Loop: Header=BB4_43 Depth=1
	v_mov_b32_e32 v10, 0
	v_mov_b32_e32 v11, 0
	s_cmp_eq_u32 s24, 0
	s_cbranch_scc1 .LBB4_49
; %bb.47:                               ;   in Loop: Header=BB4_43 Depth=1
	s_mov_b64 s[20:21], 0
	s_mov_b64 s[22:23], 0
.LBB4_48:                               ;   Parent Loop BB4_43 Depth=1
                                        ; =>  This Inner Loop Header: Depth=2
	s_add_u32 s26, s4, s22
	s_addc_u32 s27, s5, s23
	s_add_u32 s22, s22, 1
	global_load_ubyte v6, v7, s[26:27]
	s_addc_u32 s23, s23, 0
	s_waitcnt vmcnt(0)
	v_and_b32_e32 v6, 0xffff, v6
	v_lshlrev_b64 v[12:13], s20, v[6:7]
	s_add_u32 s20, s20, 8
	s_addc_u32 s21, s21, 0
	s_cmp_lg_u32 s24, s22
	v_or_b32_e32 v10, v12, v10
	v_or_b32_e32 v11, v13, v11
	s_cbranch_scc1 .LBB4_48
.LBB4_49:                               ;   in Loop: Header=BB4_43 Depth=1
	s_mov_b32 s25, 0
	s_cbranch_execz .LBB4_56
	s_branch .LBB4_57
.LBB4_50:                               ;   in Loop: Header=BB4_43 Depth=1
	s_waitcnt vmcnt(0)
	v_mov_b32_e32 v2, 0
	v_mov_b32_e32 v3, 0
	s_cmp_eq_u64 s[16:17], 0
	s_mov_b64 s[4:5], 0
	s_cbranch_scc1 .LBB4_53
; %bb.51:                               ;   in Loop: Header=BB4_43 Depth=1
	v_mov_b32_e32 v2, 0
	v_mov_b32_e32 v3, 0
	s_lshl_b64 s[20:21], s[18:19], 3
	s_mov_b64 s[22:23], s[10:11]
.LBB4_52:                               ;   Parent Loop BB4_43 Depth=1
                                        ; =>  This Inner Loop Header: Depth=2
	global_load_ubyte v6, v7, s[22:23]
	s_waitcnt vmcnt(0)
	v_and_b32_e32 v6, 0xffff, v6
	v_lshlrev_b64 v[10:11], s4, v[6:7]
	s_add_u32 s4, s4, 8
	s_addc_u32 s5, s5, 0
	s_add_u32 s22, s22, 1
	s_addc_u32 s23, s23, 0
	s_cmp_lg_u32 s20, s4
	v_or_b32_e32 v2, v10, v2
	v_or_b32_e32 v3, v11, v3
	s_cbranch_scc1 .LBB4_52
.LBB4_53:                               ;   in Loop: Header=BB4_43 Depth=1
	s_mov_b32 s24, 0
	s_mov_b64 s[4:5], s[10:11]
	s_cbranch_execnz .LBB4_45
.LBB4_54:                               ;   in Loop: Header=BB4_43 Depth=1
	global_load_dwordx2 v[2:3], v7, s[10:11]
	s_add_i32 s24, s18, -8
	s_add_u32 s4, s10, 8
	s_addc_u32 s5, s11, 0
	s_cmp_gt_u32 s24, 7
	s_cbranch_scc0 .LBB4_46
.LBB4_55:                               ;   in Loop: Header=BB4_43 Depth=1
                                        ; implicit-def: $vgpr10_vgpr11
                                        ; implicit-def: $sgpr25
.LBB4_56:                               ;   in Loop: Header=BB4_43 Depth=1
	global_load_dwordx2 v[10:11], v7, s[4:5]
	s_add_i32 s25, s24, -8
	s_add_u32 s4, s4, 8
	s_addc_u32 s5, s5, 0
.LBB4_57:                               ;   in Loop: Header=BB4_43 Depth=1
	s_cmp_gt_u32 s25, 7
	s_cbranch_scc1 .LBB4_62
; %bb.58:                               ;   in Loop: Header=BB4_43 Depth=1
	v_mov_b32_e32 v12, 0
	v_mov_b32_e32 v13, 0
	s_cmp_eq_u32 s25, 0
	s_cbranch_scc1 .LBB4_61
; %bb.59:                               ;   in Loop: Header=BB4_43 Depth=1
	s_mov_b64 s[20:21], 0
	s_mov_b64 s[22:23], 0
.LBB4_60:                               ;   Parent Loop BB4_43 Depth=1
                                        ; =>  This Inner Loop Header: Depth=2
	s_add_u32 s26, s4, s22
	s_addc_u32 s27, s5, s23
	s_add_u32 s22, s22, 1
	global_load_ubyte v6, v7, s[26:27]
	s_addc_u32 s23, s23, 0
	s_waitcnt vmcnt(0)
	v_and_b32_e32 v6, 0xffff, v6
	v_lshlrev_b64 v[14:15], s20, v[6:7]
	s_add_u32 s20, s20, 8
	s_addc_u32 s21, s21, 0
	s_cmp_lg_u32 s25, s22
	v_or_b32_e32 v12, v14, v12
	v_or_b32_e32 v13, v15, v13
	s_cbranch_scc1 .LBB4_60
.LBB4_61:                               ;   in Loop: Header=BB4_43 Depth=1
	s_mov_b32 s24, 0
	s_cbranch_execz .LBB4_63
	s_branch .LBB4_64
.LBB4_62:                               ;   in Loop: Header=BB4_43 Depth=1
                                        ; implicit-def: $sgpr24
.LBB4_63:                               ;   in Loop: Header=BB4_43 Depth=1
	global_load_dwordx2 v[12:13], v7, s[4:5]
	s_add_i32 s24, s25, -8
	s_add_u32 s4, s4, 8
	s_addc_u32 s5, s5, 0
.LBB4_64:                               ;   in Loop: Header=BB4_43 Depth=1
	s_cmp_gt_u32 s24, 7
	s_cbranch_scc1 .LBB4_69
; %bb.65:                               ;   in Loop: Header=BB4_43 Depth=1
	v_mov_b32_e32 v14, 0
	v_mov_b32_e32 v15, 0
	s_cmp_eq_u32 s24, 0
	s_cbranch_scc1 .LBB4_68
; %bb.66:                               ;   in Loop: Header=BB4_43 Depth=1
	s_mov_b64 s[20:21], 0
	s_mov_b64 s[22:23], 0
.LBB4_67:                               ;   Parent Loop BB4_43 Depth=1
                                        ; =>  This Inner Loop Header: Depth=2
	s_add_u32 s26, s4, s22
	s_addc_u32 s27, s5, s23
	s_add_u32 s22, s22, 1
	global_load_ubyte v6, v7, s[26:27]
	s_addc_u32 s23, s23, 0
	s_waitcnt vmcnt(0)
	v_and_b32_e32 v6, 0xffff, v6
	v_lshlrev_b64 v[16:17], s20, v[6:7]
	s_add_u32 s20, s20, 8
	s_addc_u32 s21, s21, 0
	s_cmp_lg_u32 s24, s22
	v_or_b32_e32 v14, v16, v14
	v_or_b32_e32 v15, v17, v15
	s_cbranch_scc1 .LBB4_67
.LBB4_68:                               ;   in Loop: Header=BB4_43 Depth=1
	s_mov_b32 s25, 0
	s_cbranch_execz .LBB4_70
	s_branch .LBB4_71
.LBB4_69:                               ;   in Loop: Header=BB4_43 Depth=1
                                        ; implicit-def: $vgpr14_vgpr15
                                        ; implicit-def: $sgpr25
.LBB4_70:                               ;   in Loop: Header=BB4_43 Depth=1
	global_load_dwordx2 v[14:15], v7, s[4:5]
	s_add_i32 s25, s24, -8
	s_add_u32 s4, s4, 8
	s_addc_u32 s5, s5, 0
.LBB4_71:                               ;   in Loop: Header=BB4_43 Depth=1
	s_cmp_gt_u32 s25, 7
	s_cbranch_scc1 .LBB4_76
; %bb.72:                               ;   in Loop: Header=BB4_43 Depth=1
	v_mov_b32_e32 v16, 0
	v_mov_b32_e32 v17, 0
	s_cmp_eq_u32 s25, 0
	s_cbranch_scc1 .LBB4_75
; %bb.73:                               ;   in Loop: Header=BB4_43 Depth=1
	s_mov_b64 s[20:21], 0
	s_mov_b64 s[22:23], 0
.LBB4_74:                               ;   Parent Loop BB4_43 Depth=1
                                        ; =>  This Inner Loop Header: Depth=2
	s_add_u32 s26, s4, s22
	s_addc_u32 s27, s5, s23
	s_add_u32 s22, s22, 1
	global_load_ubyte v6, v7, s[26:27]
	s_addc_u32 s23, s23, 0
	s_waitcnt vmcnt(0)
	v_and_b32_e32 v6, 0xffff, v6
	v_lshlrev_b64 v[18:19], s20, v[6:7]
	s_add_u32 s20, s20, 8
	s_addc_u32 s21, s21, 0
	s_cmp_lg_u32 s25, s22
	v_or_b32_e32 v16, v18, v16
	v_or_b32_e32 v17, v19, v17
	s_cbranch_scc1 .LBB4_74
.LBB4_75:                               ;   in Loop: Header=BB4_43 Depth=1
	s_mov_b32 s24, 0
	s_cbranch_execz .LBB4_77
	s_branch .LBB4_78
.LBB4_76:                               ;   in Loop: Header=BB4_43 Depth=1
                                        ; implicit-def: $sgpr24
.LBB4_77:                               ;   in Loop: Header=BB4_43 Depth=1
	global_load_dwordx2 v[16:17], v7, s[4:5]
	s_add_i32 s24, s25, -8
	s_add_u32 s4, s4, 8
	s_addc_u32 s5, s5, 0
.LBB4_78:                               ;   in Loop: Header=BB4_43 Depth=1
	s_cmp_gt_u32 s24, 7
	s_cbranch_scc1 .LBB4_83
; %bb.79:                               ;   in Loop: Header=BB4_43 Depth=1
	v_mov_b32_e32 v18, 0
	v_mov_b32_e32 v19, 0
	s_cmp_eq_u32 s24, 0
	s_cbranch_scc1 .LBB4_82
; %bb.80:                               ;   in Loop: Header=BB4_43 Depth=1
	s_mov_b64 s[20:21], 0
	s_mov_b64 s[22:23], 0
.LBB4_81:                               ;   Parent Loop BB4_43 Depth=1
                                        ; =>  This Inner Loop Header: Depth=2
	s_add_u32 s26, s4, s22
	s_addc_u32 s27, s5, s23
	s_add_u32 s22, s22, 1
	global_load_ubyte v6, v7, s[26:27]
	s_addc_u32 s23, s23, 0
	s_waitcnt vmcnt(0)
	v_and_b32_e32 v6, 0xffff, v6
	v_lshlrev_b64 v[20:21], s20, v[6:7]
	s_add_u32 s20, s20, 8
	s_addc_u32 s21, s21, 0
	s_cmp_lg_u32 s24, s22
	v_or_b32_e32 v18, v20, v18
	v_or_b32_e32 v19, v21, v19
	s_cbranch_scc1 .LBB4_81
.LBB4_82:                               ;   in Loop: Header=BB4_43 Depth=1
	s_mov_b32 s25, 0
	s_cbranch_execz .LBB4_84
	s_branch .LBB4_85
.LBB4_83:                               ;   in Loop: Header=BB4_43 Depth=1
                                        ; implicit-def: $vgpr18_vgpr19
                                        ; implicit-def: $sgpr25
.LBB4_84:                               ;   in Loop: Header=BB4_43 Depth=1
	global_load_dwordx2 v[18:19], v7, s[4:5]
	s_add_i32 s25, s24, -8
	s_add_u32 s4, s4, 8
	s_addc_u32 s5, s5, 0
.LBB4_85:                               ;   in Loop: Header=BB4_43 Depth=1
	s_cmp_gt_u32 s25, 7
	s_cbranch_scc1 .LBB4_90
; %bb.86:                               ;   in Loop: Header=BB4_43 Depth=1
	v_mov_b32_e32 v20, 0
	v_mov_b32_e32 v21, 0
	s_cmp_eq_u32 s25, 0
	s_cbranch_scc1 .LBB4_89
; %bb.87:                               ;   in Loop: Header=BB4_43 Depth=1
	s_mov_b64 s[20:21], 0
	s_mov_b64 s[22:23], s[4:5]
.LBB4_88:                               ;   Parent Loop BB4_43 Depth=1
                                        ; =>  This Inner Loop Header: Depth=2
	global_load_ubyte v6, v7, s[22:23]
	s_add_i32 s25, s25, -1
	s_waitcnt vmcnt(0)
	v_and_b32_e32 v6, 0xffff, v6
	v_lshlrev_b64 v[22:23], s20, v[6:7]
	s_add_u32 s20, s20, 8
	s_addc_u32 s21, s21, 0
	s_add_u32 s22, s22, 1
	s_addc_u32 s23, s23, 0
	s_cmp_lg_u32 s25, 0
	v_or_b32_e32 v20, v22, v20
	v_or_b32_e32 v21, v23, v21
	s_cbranch_scc1 .LBB4_88
.LBB4_89:                               ;   in Loop: Header=BB4_43 Depth=1
	s_cbranch_execz .LBB4_91
	s_branch .LBB4_92
.LBB4_90:                               ;   in Loop: Header=BB4_43 Depth=1
.LBB4_91:                               ;   in Loop: Header=BB4_43 Depth=1
	global_load_dwordx2 v[20:21], v7, s[4:5]
.LBB4_92:                               ;   in Loop: Header=BB4_43 Depth=1
	v_readfirstlane_b32 s4, v32
	v_mov_b32_e32 v26, 0
	v_mov_b32_e32 v27, 0
	v_cmp_eq_u32_e64 s4, s4, v32
	s_and_saveexec_b32 s5, s4
	s_cbranch_execz .LBB4_98
; %bb.93:                               ;   in Loop: Header=BB4_43 Depth=1
	global_load_dwordx2 v[24:25], v7, s[6:7] offset:24 glc dlc
	s_waitcnt vmcnt(0)
	buffer_gl1_inv
	buffer_gl0_inv
	s_clause 0x1
	global_load_dwordx2 v[22:23], v7, s[6:7] offset:40
	global_load_dwordx2 v[26:27], v7, s[6:7]
	s_mov_b32 s20, exec_lo
	s_waitcnt vmcnt(1)
	v_and_b32_e32 v6, v23, v25
	v_and_b32_e32 v22, v22, v24
	v_mul_lo_u32 v6, v6, 24
	v_mul_hi_u32 v23, v22, 24
	v_mul_lo_u32 v22, v22, 24
	v_add_nc_u32_e32 v6, v23, v6
	s_waitcnt vmcnt(0)
	v_add_co_u32 v22, vcc_lo, v26, v22
	v_add_co_ci_u32_e32 v23, vcc_lo, v27, v6, vcc_lo
	global_load_dwordx2 v[22:23], v[22:23], off glc dlc
	s_waitcnt vmcnt(0)
	global_atomic_cmpswap_x2 v[26:27], v7, v[22:25], s[6:7] offset:24 glc
	s_waitcnt vmcnt(0)
	buffer_gl1_inv
	buffer_gl0_inv
	v_cmpx_ne_u64_e64 v[26:27], v[24:25]
	s_cbranch_execz .LBB4_97
; %bb.94:                               ;   in Loop: Header=BB4_43 Depth=1
	s_mov_b32 s21, 0
	.p2align	6
.LBB4_95:                               ;   Parent Loop BB4_43 Depth=1
                                        ; =>  This Inner Loop Header: Depth=2
	s_sleep 1
	s_clause 0x1
	global_load_dwordx2 v[22:23], v7, s[6:7] offset:40
	global_load_dwordx2 v[29:30], v7, s[6:7]
	v_mov_b32_e32 v24, v26
	v_mov_b32_e32 v25, v27
	s_waitcnt vmcnt(1)
	v_and_b32_e32 v6, v22, v24
	v_and_b32_e32 v22, v23, v25
	s_waitcnt vmcnt(0)
	v_mad_u64_u32 v[26:27], null, v6, 24, v[29:30]
	v_mov_b32_e32 v6, v27
	v_mad_u64_u32 v[22:23], null, v22, 24, v[6:7]
	v_mov_b32_e32 v27, v22
	global_load_dwordx2 v[22:23], v[26:27], off glc dlc
	s_waitcnt vmcnt(0)
	global_atomic_cmpswap_x2 v[26:27], v7, v[22:25], s[6:7] offset:24 glc
	s_waitcnt vmcnt(0)
	buffer_gl1_inv
	buffer_gl0_inv
	v_cmp_eq_u64_e32 vcc_lo, v[26:27], v[24:25]
	s_or_b32 s21, vcc_lo, s21
	s_andn2_b32 exec_lo, exec_lo, s21
	s_cbranch_execnz .LBB4_95
; %bb.96:                               ;   in Loop: Header=BB4_43 Depth=1
	s_or_b32 exec_lo, exec_lo, s21
.LBB4_97:                               ;   in Loop: Header=BB4_43 Depth=1
	s_or_b32 exec_lo, exec_lo, s20
.LBB4_98:                               ;   in Loop: Header=BB4_43 Depth=1
	s_or_b32 exec_lo, exec_lo, s5
	s_clause 0x1
	global_load_dwordx2 v[29:30], v7, s[6:7] offset:40
	global_load_dwordx4 v[22:25], v7, s[6:7]
	v_readfirstlane_b32 s20, v26
	v_readfirstlane_b32 s21, v27
	s_mov_b32 s5, exec_lo
	s_waitcnt vmcnt(1)
	v_readfirstlane_b32 s22, v29
	v_readfirstlane_b32 s23, v30
	s_and_b64 s[22:23], s[20:21], s[22:23]
	s_mul_i32 s24, s23, 24
	s_mul_hi_u32 s25, s22, 24
	s_mul_i32 s26, s22, 24
	s_add_i32 s25, s25, s24
	s_waitcnt vmcnt(0)
	v_add_co_u32 v26, vcc_lo, v22, s26
	v_add_co_ci_u32_e32 v27, vcc_lo, s25, v23, vcc_lo
	s_and_saveexec_b32 s24, s4
	s_cbranch_execz .LBB4_100
; %bb.99:                               ;   in Loop: Header=BB4_43 Depth=1
	v_mov_b32_e32 v6, s5
	global_store_dwordx4 v[26:27], v[6:9], off offset:8
.LBB4_100:                              ;   in Loop: Header=BB4_43 Depth=1
	s_or_b32 exec_lo, exec_lo, s24
	s_lshl_b64 s[22:23], s[22:23], 12
	v_cmp_gt_u64_e64 vcc_lo, s[16:17], 56
	v_or_b32_e32 v29, v0, v28
	v_add_co_u32 v24, s5, v24, s22
	v_add_co_ci_u32_e64 v25, s5, s23, v25, s5
	s_lshl_b32 s5, s18, 2
	v_or_b32_e32 v6, 0, v1
	v_cndmask_b32_e32 v0, v29, v0, vcc_lo
	s_add_i32 s5, s5, 28
	v_readfirstlane_b32 s22, v24
	s_and_b32 s5, s5, 0x1e0
	v_cndmask_b32_e32 v1, v6, v1, vcc_lo
	v_readfirstlane_b32 s23, v25
	v_and_or_b32 v0, 0xffffff1f, v0, s5
	global_store_dwordx4 v31, v[0:3], s[22:23]
	global_store_dwordx4 v31, v[10:13], s[22:23] offset:16
	global_store_dwordx4 v31, v[14:17], s[22:23] offset:32
	;; [unrolled: 1-line block ×3, first 2 shown]
	s_and_saveexec_b32 s5, s4
	s_cbranch_execz .LBB4_108
; %bb.101:                              ;   in Loop: Header=BB4_43 Depth=1
	s_clause 0x1
	global_load_dwordx2 v[14:15], v7, s[6:7] offset:32 glc dlc
	global_load_dwordx2 v[0:1], v7, s[6:7] offset:40
	v_mov_b32_e32 v12, s20
	v_mov_b32_e32 v13, s21
	s_waitcnt vmcnt(0)
	v_readfirstlane_b32 s22, v0
	v_readfirstlane_b32 s23, v1
	s_and_b64 s[22:23], s[22:23], s[20:21]
	s_mul_i32 s23, s23, 24
	s_mul_hi_u32 s24, s22, 24
	s_mul_i32 s22, s22, 24
	s_add_i32 s24, s24, s23
	v_add_co_u32 v10, vcc_lo, v22, s22
	v_add_co_ci_u32_e32 v11, vcc_lo, s24, v23, vcc_lo
	s_mov_b32 s22, exec_lo
	global_store_dwordx2 v[10:11], v[14:15], off
	s_waitcnt_vscnt null, 0x0
	global_atomic_cmpswap_x2 v[2:3], v7, v[12:15], s[6:7] offset:32 glc
	s_waitcnt vmcnt(0)
	v_cmpx_ne_u64_e64 v[2:3], v[14:15]
	s_cbranch_execz .LBB4_104
; %bb.102:                              ;   in Loop: Header=BB4_43 Depth=1
	s_mov_b32 s23, 0
.LBB4_103:                              ;   Parent Loop BB4_43 Depth=1
                                        ; =>  This Inner Loop Header: Depth=2
	v_mov_b32_e32 v0, s20
	v_mov_b32_e32 v1, s21
	s_sleep 1
	global_store_dwordx2 v[10:11], v[2:3], off
	s_waitcnt_vscnt null, 0x0
	global_atomic_cmpswap_x2 v[0:1], v7, v[0:3], s[6:7] offset:32 glc
	s_waitcnt vmcnt(0)
	v_cmp_eq_u64_e32 vcc_lo, v[0:1], v[2:3]
	v_mov_b32_e32 v3, v1
	v_mov_b32_e32 v2, v0
	s_or_b32 s23, vcc_lo, s23
	s_andn2_b32 exec_lo, exec_lo, s23
	s_cbranch_execnz .LBB4_103
.LBB4_104:                              ;   in Loop: Header=BB4_43 Depth=1
	s_or_b32 exec_lo, exec_lo, s22
	global_load_dwordx2 v[0:1], v7, s[6:7] offset:16
	s_mov_b32 s23, exec_lo
	s_mov_b32 s22, exec_lo
	v_mbcnt_lo_u32_b32 v2, s23, 0
	v_cmpx_eq_u32_e32 0, v2
	s_cbranch_execz .LBB4_106
; %bb.105:                              ;   in Loop: Header=BB4_43 Depth=1
	s_bcnt1_i32_b32 s23, s23
	v_mov_b32_e32 v6, s23
	s_waitcnt vmcnt(0)
	global_atomic_add_x2 v[0:1], v[6:7], off offset:8
.LBB4_106:                              ;   in Loop: Header=BB4_43 Depth=1
	s_or_b32 exec_lo, exec_lo, s22
	s_waitcnt vmcnt(0)
	global_load_dwordx2 v[2:3], v[0:1], off offset:16
	s_waitcnt vmcnt(0)
	v_cmp_eq_u64_e32 vcc_lo, 0, v[2:3]
	s_cbranch_vccnz .LBB4_108
; %bb.107:                              ;   in Loop: Header=BB4_43 Depth=1
	global_load_dword v6, v[0:1], off offset:24
	s_waitcnt vmcnt(0)
	v_and_b32_e32 v0, 0x7fffff, v6
	s_waitcnt_vscnt null, 0x0
	global_store_dwordx2 v[2:3], v[6:7], off
	v_readfirstlane_b32 m0, v0
	s_sendmsg sendmsg(MSG_INTERRUPT)
.LBB4_108:                              ;   in Loop: Header=BB4_43 Depth=1
	s_or_b32 exec_lo, exec_lo, s5
	v_add_co_u32 v0, vcc_lo, v24, v31
	v_add_co_ci_u32_e32 v1, vcc_lo, 0, v25, vcc_lo
	s_branch .LBB4_112
	.p2align	6
.LBB4_109:                              ;   in Loop: Header=BB4_112 Depth=2
	s_or_b32 exec_lo, exec_lo, s5
	v_readfirstlane_b32 s5, v2
	s_cmp_eq_u32 s5, 0
	s_cbranch_scc1 .LBB4_111
; %bb.110:                              ;   in Loop: Header=BB4_112 Depth=2
	s_sleep 1
	s_cbranch_execnz .LBB4_112
	s_branch .LBB4_114
	.p2align	6
.LBB4_111:                              ;   in Loop: Header=BB4_43 Depth=1
	s_branch .LBB4_114
.LBB4_112:                              ;   Parent Loop BB4_43 Depth=1
                                        ; =>  This Inner Loop Header: Depth=2
	v_mov_b32_e32 v2, 1
	s_and_saveexec_b32 s5, s4
	s_cbranch_execz .LBB4_109
; %bb.113:                              ;   in Loop: Header=BB4_112 Depth=2
	global_load_dword v2, v[26:27], off offset:20 glc dlc
	s_waitcnt vmcnt(0)
	buffer_gl1_inv
	buffer_gl0_inv
	v_and_b32_e32 v2, 1, v2
	s_branch .LBB4_109
.LBB4_114:                              ;   in Loop: Header=BB4_43 Depth=1
	global_load_dwordx4 v[0:3], v[0:1], off
	s_and_saveexec_b32 s5, s4
	s_cbranch_execz .LBB4_42
; %bb.115:                              ;   in Loop: Header=BB4_43 Depth=1
	s_clause 0x2
	global_load_dwordx2 v[2:3], v7, s[6:7] offset:40
	global_load_dwordx2 v[14:15], v7, s[6:7] offset:24 glc dlc
	global_load_dwordx2 v[12:13], v7, s[6:7]
	s_waitcnt vmcnt(2)
	v_add_co_u32 v6, vcc_lo, v2, 1
	v_add_co_ci_u32_e32 v16, vcc_lo, 0, v3, vcc_lo
	v_add_co_u32 v10, vcc_lo, v6, s20
	v_add_co_ci_u32_e32 v11, vcc_lo, s21, v16, vcc_lo
	v_cmp_eq_u64_e32 vcc_lo, 0, v[10:11]
	v_cndmask_b32_e32 v11, v11, v16, vcc_lo
	v_cndmask_b32_e32 v10, v10, v6, vcc_lo
	v_and_b32_e32 v3, v11, v3
	v_and_b32_e32 v2, v10, v2
	v_mul_lo_u32 v3, v3, 24
	v_mul_hi_u32 v6, v2, 24
	v_mul_lo_u32 v2, v2, 24
	v_add_nc_u32_e32 v3, v6, v3
	s_waitcnt vmcnt(0)
	v_add_co_u32 v2, vcc_lo, v12, v2
	v_mov_b32_e32 v12, v14
	v_add_co_ci_u32_e32 v3, vcc_lo, v13, v3, vcc_lo
	v_mov_b32_e32 v13, v15
	global_store_dwordx2 v[2:3], v[14:15], off
	s_waitcnt_vscnt null, 0x0
	global_atomic_cmpswap_x2 v[12:13], v7, v[10:13], s[6:7] offset:24 glc
	s_waitcnt vmcnt(0)
	v_cmp_ne_u64_e32 vcc_lo, v[12:13], v[14:15]
	s_and_b32 exec_lo, exec_lo, vcc_lo
	s_cbranch_execz .LBB4_42
; %bb.116:                              ;   in Loop: Header=BB4_43 Depth=1
	s_mov_b32 s4, 0
.LBB4_117:                              ;   Parent Loop BB4_43 Depth=1
                                        ; =>  This Inner Loop Header: Depth=2
	s_sleep 1
	global_store_dwordx2 v[2:3], v[12:13], off
	s_waitcnt_vscnt null, 0x0
	global_atomic_cmpswap_x2 v[14:15], v7, v[10:13], s[6:7] offset:24 glc
	s_waitcnt vmcnt(0)
	v_cmp_eq_u64_e32 vcc_lo, v[14:15], v[12:13]
	v_mov_b32_e32 v12, v14
	v_mov_b32_e32 v13, v15
	s_or_b32 s4, vcc_lo, s4
	s_andn2_b32 exec_lo, exec_lo, s4
	s_cbranch_execnz .LBB4_117
	s_branch .LBB4_42
.LBB4_118:
	s_branch .LBB4_147
.LBB4_119:
                                        ; implicit-def: $vgpr0_vgpr1
	s_cbranch_execz .LBB4_147
; %bb.120:
	v_readfirstlane_b32 s4, v32
	v_mov_b32_e32 v7, 0
	v_mov_b32_e32 v8, 0
	v_cmp_eq_u32_e64 s4, s4, v32
	s_and_saveexec_b32 s5, s4
	s_cbranch_execz .LBB4_126
; %bb.121:
	s_waitcnt vmcnt(0)
	v_mov_b32_e32 v0, 0
	s_mov_b32 s10, exec_lo
	global_load_dwordx2 v[9:10], v0, s[6:7] offset:24 glc dlc
	s_waitcnt vmcnt(0)
	buffer_gl1_inv
	buffer_gl0_inv
	s_clause 0x1
	global_load_dwordx2 v[1:2], v0, s[6:7] offset:40
	global_load_dwordx2 v[6:7], v0, s[6:7]
	s_waitcnt vmcnt(1)
	v_and_b32_e32 v2, v2, v10
	v_and_b32_e32 v1, v1, v9
	v_mul_lo_u32 v2, v2, 24
	v_mul_hi_u32 v3, v1, 24
	v_mul_lo_u32 v1, v1, 24
	v_add_nc_u32_e32 v2, v3, v2
	s_waitcnt vmcnt(0)
	v_add_co_u32 v1, vcc_lo, v6, v1
	v_add_co_ci_u32_e32 v2, vcc_lo, v7, v2, vcc_lo
	global_load_dwordx2 v[7:8], v[1:2], off glc dlc
	s_waitcnt vmcnt(0)
	global_atomic_cmpswap_x2 v[7:8], v0, v[7:10], s[6:7] offset:24 glc
	s_waitcnt vmcnt(0)
	buffer_gl1_inv
	buffer_gl0_inv
	v_cmpx_ne_u64_e64 v[7:8], v[9:10]
	s_cbranch_execz .LBB4_125
; %bb.122:
	s_mov_b32 s11, 0
	.p2align	6
.LBB4_123:                              ; =>This Inner Loop Header: Depth=1
	s_sleep 1
	s_clause 0x1
	global_load_dwordx2 v[1:2], v0, s[6:7] offset:40
	global_load_dwordx2 v[11:12], v0, s[6:7]
	v_mov_b32_e32 v10, v8
	v_mov_b32_e32 v9, v7
	s_waitcnt vmcnt(1)
	v_and_b32_e32 v1, v1, v9
	v_and_b32_e32 v2, v2, v10
	s_waitcnt vmcnt(0)
	v_mad_u64_u32 v[6:7], null, v1, 24, v[11:12]
	v_mov_b32_e32 v1, v7
	v_mad_u64_u32 v[1:2], null, v2, 24, v[1:2]
	v_mov_b32_e32 v7, v1
	global_load_dwordx2 v[7:8], v[6:7], off glc dlc
	s_waitcnt vmcnt(0)
	global_atomic_cmpswap_x2 v[7:8], v0, v[7:10], s[6:7] offset:24 glc
	s_waitcnt vmcnt(0)
	buffer_gl1_inv
	buffer_gl0_inv
	v_cmp_eq_u64_e32 vcc_lo, v[7:8], v[9:10]
	s_or_b32 s11, vcc_lo, s11
	s_andn2_b32 exec_lo, exec_lo, s11
	s_cbranch_execnz .LBB4_123
; %bb.124:
	s_or_b32 exec_lo, exec_lo, s11
.LBB4_125:
	s_or_b32 exec_lo, exec_lo, s10
.LBB4_126:
	s_or_b32 exec_lo, exec_lo, s5
	v_mov_b32_e32 v6, 0
	v_readfirstlane_b32 s10, v7
	v_readfirstlane_b32 s11, v8
	s_mov_b32 s5, exec_lo
	s_clause 0x1
	global_load_dwordx2 v[9:10], v6, s[6:7] offset:40
	global_load_dwordx4 v[0:3], v6, s[6:7]
	s_waitcnt vmcnt(1)
	v_readfirstlane_b32 s16, v9
	v_readfirstlane_b32 s17, v10
	s_and_b64 s[16:17], s[10:11], s[16:17]
	s_mul_i32 s18, s17, 24
	s_mul_hi_u32 s19, s16, 24
	s_mul_i32 s20, s16, 24
	s_add_i32 s19, s19, s18
	s_waitcnt vmcnt(0)
	v_add_co_u32 v8, vcc_lo, v0, s20
	v_add_co_ci_u32_e32 v9, vcc_lo, s19, v1, vcc_lo
	s_and_saveexec_b32 s18, s4
	s_cbranch_execz .LBB4_128
; %bb.127:
	v_mov_b32_e32 v10, s5
	v_mov_b32_e32 v11, v6
	;; [unrolled: 1-line block ×4, first 2 shown]
	global_store_dwordx4 v[8:9], v[10:13], off offset:8
.LBB4_128:
	s_or_b32 exec_lo, exec_lo, s18
	s_lshl_b64 s[16:17], s[16:17], 12
	v_and_or_b32 v4, 0xffffff1f, v4, 32
	v_add_co_u32 v2, vcc_lo, v2, s16
	v_add_co_ci_u32_e32 v3, vcc_lo, s17, v3, vcc_lo
	s_mov_b32 s16, 0
	v_add_co_u32 v10, vcc_lo, v2, v31
	s_mov_b32 s17, s16
	s_mov_b32 s18, s16
	;; [unrolled: 1-line block ×3, first 2 shown]
	v_mov_b32_e32 v7, v6
	v_readfirstlane_b32 s20, v2
	v_readfirstlane_b32 s21, v3
	v_mov_b32_e32 v12, s16
	v_add_co_ci_u32_e32 v11, vcc_lo, 0, v3, vcc_lo
	v_mov_b32_e32 v13, s17
	v_mov_b32_e32 v14, s18
	;; [unrolled: 1-line block ×3, first 2 shown]
	global_store_dwordx4 v31, v[4:7], s[20:21]
	global_store_dwordx4 v31, v[12:15], s[20:21] offset:16
	global_store_dwordx4 v31, v[12:15], s[20:21] offset:32
	global_store_dwordx4 v31, v[12:15], s[20:21] offset:48
	s_and_saveexec_b32 s5, s4
	s_cbranch_execz .LBB4_136
; %bb.129:
	v_mov_b32_e32 v6, 0
	v_mov_b32_e32 v12, s10
	;; [unrolled: 1-line block ×3, first 2 shown]
	s_clause 0x1
	global_load_dwordx2 v[14:15], v6, s[6:7] offset:32 glc dlc
	global_load_dwordx2 v[2:3], v6, s[6:7] offset:40
	s_waitcnt vmcnt(0)
	v_readfirstlane_b32 s16, v2
	v_readfirstlane_b32 s17, v3
	s_and_b64 s[16:17], s[16:17], s[10:11]
	s_mul_i32 s17, s17, 24
	s_mul_hi_u32 s18, s16, 24
	s_mul_i32 s16, s16, 24
	s_add_i32 s18, s18, s17
	v_add_co_u32 v4, vcc_lo, v0, s16
	v_add_co_ci_u32_e32 v5, vcc_lo, s18, v1, vcc_lo
	s_mov_b32 s16, exec_lo
	global_store_dwordx2 v[4:5], v[14:15], off
	s_waitcnt_vscnt null, 0x0
	global_atomic_cmpswap_x2 v[2:3], v6, v[12:15], s[6:7] offset:32 glc
	s_waitcnt vmcnt(0)
	v_cmpx_ne_u64_e64 v[2:3], v[14:15]
	s_cbranch_execz .LBB4_132
; %bb.130:
	s_mov_b32 s17, 0
.LBB4_131:                              ; =>This Inner Loop Header: Depth=1
	v_mov_b32_e32 v0, s10
	v_mov_b32_e32 v1, s11
	s_sleep 1
	global_store_dwordx2 v[4:5], v[2:3], off
	s_waitcnt_vscnt null, 0x0
	global_atomic_cmpswap_x2 v[0:1], v6, v[0:3], s[6:7] offset:32 glc
	s_waitcnt vmcnt(0)
	v_cmp_eq_u64_e32 vcc_lo, v[0:1], v[2:3]
	v_mov_b32_e32 v3, v1
	v_mov_b32_e32 v2, v0
	s_or_b32 s17, vcc_lo, s17
	s_andn2_b32 exec_lo, exec_lo, s17
	s_cbranch_execnz .LBB4_131
.LBB4_132:
	s_or_b32 exec_lo, exec_lo, s16
	v_mov_b32_e32 v3, 0
	s_mov_b32 s17, exec_lo
	s_mov_b32 s16, exec_lo
	v_mbcnt_lo_u32_b32 v2, s17, 0
	global_load_dwordx2 v[0:1], v3, s[6:7] offset:16
	v_cmpx_eq_u32_e32 0, v2
	s_cbranch_execz .LBB4_134
; %bb.133:
	s_bcnt1_i32_b32 s17, s17
	v_mov_b32_e32 v2, s17
	s_waitcnt vmcnt(0)
	global_atomic_add_x2 v[0:1], v[2:3], off offset:8
.LBB4_134:
	s_or_b32 exec_lo, exec_lo, s16
	s_waitcnt vmcnt(0)
	global_load_dwordx2 v[2:3], v[0:1], off offset:16
	s_waitcnt vmcnt(0)
	v_cmp_eq_u64_e32 vcc_lo, 0, v[2:3]
	s_cbranch_vccnz .LBB4_136
; %bb.135:
	global_load_dword v0, v[0:1], off offset:24
	v_mov_b32_e32 v1, 0
	s_waitcnt vmcnt(0)
	v_and_b32_e32 v4, 0x7fffff, v0
	s_waitcnt_vscnt null, 0x0
	global_store_dwordx2 v[2:3], v[0:1], off
	v_readfirstlane_b32 m0, v4
	s_sendmsg sendmsg(MSG_INTERRUPT)
.LBB4_136:
	s_or_b32 exec_lo, exec_lo, s5
	s_branch .LBB4_140
	.p2align	6
.LBB4_137:                              ;   in Loop: Header=BB4_140 Depth=1
	s_or_b32 exec_lo, exec_lo, s5
	v_readfirstlane_b32 s5, v0
	s_cmp_eq_u32 s5, 0
	s_cbranch_scc1 .LBB4_139
; %bb.138:                              ;   in Loop: Header=BB4_140 Depth=1
	s_sleep 1
	s_cbranch_execnz .LBB4_140
	s_branch .LBB4_142
	.p2align	6
.LBB4_139:
	s_branch .LBB4_142
.LBB4_140:                              ; =>This Inner Loop Header: Depth=1
	v_mov_b32_e32 v0, 1
	s_and_saveexec_b32 s5, s4
	s_cbranch_execz .LBB4_137
; %bb.141:                              ;   in Loop: Header=BB4_140 Depth=1
	global_load_dword v0, v[8:9], off offset:20 glc dlc
	s_waitcnt vmcnt(0)
	buffer_gl1_inv
	buffer_gl0_inv
	v_and_b32_e32 v0, 1, v0
	s_branch .LBB4_137
.LBB4_142:
	global_load_dwordx2 v[0:1], v[10:11], off
	s_and_saveexec_b32 s5, s4
	s_cbranch_execz .LBB4_146
; %bb.143:
	v_mov_b32_e32 v8, 0
	s_clause 0x2
	global_load_dwordx2 v[4:5], v8, s[6:7] offset:40
	global_load_dwordx2 v[9:10], v8, s[6:7] offset:24 glc dlc
	global_load_dwordx2 v[6:7], v8, s[6:7]
	s_waitcnt vmcnt(2)
	v_add_co_u32 v11, vcc_lo, v4, 1
	v_add_co_ci_u32_e32 v12, vcc_lo, 0, v5, vcc_lo
	v_add_co_u32 v2, vcc_lo, v11, s10
	v_add_co_ci_u32_e32 v3, vcc_lo, s11, v12, vcc_lo
	v_cmp_eq_u64_e32 vcc_lo, 0, v[2:3]
	v_cndmask_b32_e32 v3, v3, v12, vcc_lo
	v_cndmask_b32_e32 v2, v2, v11, vcc_lo
	v_and_b32_e32 v5, v3, v5
	v_and_b32_e32 v4, v2, v4
	v_mul_lo_u32 v5, v5, 24
	v_mul_hi_u32 v11, v4, 24
	v_mul_lo_u32 v4, v4, 24
	v_add_nc_u32_e32 v5, v11, v5
	s_waitcnt vmcnt(0)
	v_add_co_u32 v6, vcc_lo, v6, v4
	v_mov_b32_e32 v4, v9
	v_add_co_ci_u32_e32 v7, vcc_lo, v7, v5, vcc_lo
	v_mov_b32_e32 v5, v10
	global_store_dwordx2 v[6:7], v[9:10], off
	s_waitcnt_vscnt null, 0x0
	global_atomic_cmpswap_x2 v[4:5], v8, v[2:5], s[6:7] offset:24 glc
	s_waitcnt vmcnt(0)
	v_cmp_ne_u64_e32 vcc_lo, v[4:5], v[9:10]
	s_and_b32 exec_lo, exec_lo, vcc_lo
	s_cbranch_execz .LBB4_146
; %bb.144:
	s_mov_b32 s4, 0
.LBB4_145:                              ; =>This Inner Loop Header: Depth=1
	s_sleep 1
	global_store_dwordx2 v[6:7], v[4:5], off
	s_waitcnt_vscnt null, 0x0
	global_atomic_cmpswap_x2 v[9:10], v8, v[2:5], s[6:7] offset:24 glc
	s_waitcnt vmcnt(0)
	v_cmp_eq_u64_e32 vcc_lo, v[9:10], v[4:5]
	v_mov_b32_e32 v4, v9
	v_mov_b32_e32 v5, v10
	s_or_b32 s4, vcc_lo, s4
	s_andn2_b32 exec_lo, exec_lo, s4
	s_cbranch_execnz .LBB4_145
.LBB4_146:
	s_or_b32 exec_lo, exec_lo, s5
.LBB4_147:
	s_getpc_b64 s[10:11]
	s_add_u32 s10, s10, __PRETTY_FUNCTION__._ZL22merge_first_all_largerRN8migraphx4test12test_managerE@rel32@lo+4
	s_addc_u32 s11, s11, __PRETTY_FUNCTION__._ZL22merge_first_all_largerRN8migraphx4test12test_managerE@rel32@hi+12
	s_cmp_lg_u64 s[10:11], 0
	s_cbranch_scc0 .LBB4_226
; %bb.148:
	s_waitcnt vmcnt(0)
	v_and_b32_e32 v6, -3, v0
	v_mov_b32_e32 v7, v1
	v_mov_b32_e32 v3, 0
	;; [unrolled: 1-line block ×4, first 2 shown]
	s_mov_b64 s[16:17], 60
	s_branch .LBB4_150
.LBB4_149:                              ;   in Loop: Header=BB4_150 Depth=1
	s_or_b32 exec_lo, exec_lo, s5
	s_sub_u32 s16, s16, s18
	s_subb_u32 s17, s17, s19
	s_add_u32 s10, s10, s18
	s_addc_u32 s11, s11, s19
	s_cmp_lg_u64 s[16:17], 0
	s_cbranch_scc0 .LBB4_225
.LBB4_150:                              ; =>This Loop Header: Depth=1
                                        ;     Child Loop BB4_159 Depth 2
                                        ;     Child Loop BB4_155 Depth 2
	;; [unrolled: 1-line block ×11, first 2 shown]
	v_cmp_lt_u64_e64 s4, s[16:17], 56
	v_cmp_gt_u64_e64 s5, s[16:17], 7
                                        ; implicit-def: $sgpr24
	s_and_b32 s4, s4, exec_lo
	s_cselect_b32 s19, s17, 0
	s_cselect_b32 s18, s16, 56
	s_and_b32 vcc_lo, exec_lo, s5
	s_mov_b32 s4, -1
	s_cbranch_vccz .LBB4_157
; %bb.151:                              ;   in Loop: Header=BB4_150 Depth=1
	s_andn2_b32 vcc_lo, exec_lo, s4
	s_mov_b64 s[4:5], s[10:11]
	s_cbranch_vccz .LBB4_161
.LBB4_152:                              ;   in Loop: Header=BB4_150 Depth=1
	s_cmp_gt_u32 s24, 7
	s_cbranch_scc1 .LBB4_162
.LBB4_153:                              ;   in Loop: Header=BB4_150 Depth=1
	v_mov_b32_e32 v10, 0
	v_mov_b32_e32 v11, 0
	s_cmp_eq_u32 s24, 0
	s_cbranch_scc1 .LBB4_156
; %bb.154:                              ;   in Loop: Header=BB4_150 Depth=1
	s_mov_b64 s[20:21], 0
	s_mov_b64 s[22:23], 0
.LBB4_155:                              ;   Parent Loop BB4_150 Depth=1
                                        ; =>  This Inner Loop Header: Depth=2
	s_add_u32 s26, s4, s22
	s_addc_u32 s27, s5, s23
	s_add_u32 s22, s22, 1
	global_load_ubyte v2, v3, s[26:27]
	s_addc_u32 s23, s23, 0
	s_waitcnt vmcnt(0)
	v_and_b32_e32 v2, 0xffff, v2
	v_lshlrev_b64 v[12:13], s20, v[2:3]
	s_add_u32 s20, s20, 8
	s_addc_u32 s21, s21, 0
	s_cmp_lg_u32 s24, s22
	v_or_b32_e32 v10, v12, v10
	v_or_b32_e32 v11, v13, v11
	s_cbranch_scc1 .LBB4_155
.LBB4_156:                              ;   in Loop: Header=BB4_150 Depth=1
	s_mov_b32 s25, 0
	s_cbranch_execz .LBB4_163
	s_branch .LBB4_164
.LBB4_157:                              ;   in Loop: Header=BB4_150 Depth=1
	s_waitcnt vmcnt(0)
	v_mov_b32_e32 v8, 0
	v_mov_b32_e32 v9, 0
	s_cmp_eq_u64 s[16:17], 0
	s_mov_b64 s[4:5], 0
	s_cbranch_scc1 .LBB4_160
; %bb.158:                              ;   in Loop: Header=BB4_150 Depth=1
	v_mov_b32_e32 v8, 0
	v_mov_b32_e32 v9, 0
	s_lshl_b64 s[20:21], s[18:19], 3
	s_mov_b64 s[22:23], s[10:11]
.LBB4_159:                              ;   Parent Loop BB4_150 Depth=1
                                        ; =>  This Inner Loop Header: Depth=2
	global_load_ubyte v2, v3, s[22:23]
	s_waitcnt vmcnt(0)
	v_and_b32_e32 v2, 0xffff, v2
	v_lshlrev_b64 v[10:11], s4, v[2:3]
	s_add_u32 s4, s4, 8
	s_addc_u32 s5, s5, 0
	s_add_u32 s22, s22, 1
	s_addc_u32 s23, s23, 0
	s_cmp_lg_u32 s20, s4
	v_or_b32_e32 v8, v10, v8
	v_or_b32_e32 v9, v11, v9
	s_cbranch_scc1 .LBB4_159
.LBB4_160:                              ;   in Loop: Header=BB4_150 Depth=1
	s_mov_b32 s24, 0
	s_mov_b64 s[4:5], s[10:11]
	s_cbranch_execnz .LBB4_152
.LBB4_161:                              ;   in Loop: Header=BB4_150 Depth=1
	global_load_dwordx2 v[8:9], v3, s[10:11]
	s_add_i32 s24, s18, -8
	s_add_u32 s4, s10, 8
	s_addc_u32 s5, s11, 0
	s_cmp_gt_u32 s24, 7
	s_cbranch_scc0 .LBB4_153
.LBB4_162:                              ;   in Loop: Header=BB4_150 Depth=1
                                        ; implicit-def: $vgpr10_vgpr11
                                        ; implicit-def: $sgpr25
.LBB4_163:                              ;   in Loop: Header=BB4_150 Depth=1
	global_load_dwordx2 v[10:11], v3, s[4:5]
	s_add_i32 s25, s24, -8
	s_add_u32 s4, s4, 8
	s_addc_u32 s5, s5, 0
.LBB4_164:                              ;   in Loop: Header=BB4_150 Depth=1
	s_cmp_gt_u32 s25, 7
	s_cbranch_scc1 .LBB4_169
; %bb.165:                              ;   in Loop: Header=BB4_150 Depth=1
	v_mov_b32_e32 v12, 0
	v_mov_b32_e32 v13, 0
	s_cmp_eq_u32 s25, 0
	s_cbranch_scc1 .LBB4_168
; %bb.166:                              ;   in Loop: Header=BB4_150 Depth=1
	s_mov_b64 s[20:21], 0
	s_mov_b64 s[22:23], 0
.LBB4_167:                              ;   Parent Loop BB4_150 Depth=1
                                        ; =>  This Inner Loop Header: Depth=2
	s_add_u32 s26, s4, s22
	s_addc_u32 s27, s5, s23
	s_add_u32 s22, s22, 1
	global_load_ubyte v2, v3, s[26:27]
	s_addc_u32 s23, s23, 0
	s_waitcnt vmcnt(0)
	v_and_b32_e32 v2, 0xffff, v2
	v_lshlrev_b64 v[14:15], s20, v[2:3]
	s_add_u32 s20, s20, 8
	s_addc_u32 s21, s21, 0
	s_cmp_lg_u32 s25, s22
	v_or_b32_e32 v12, v14, v12
	v_or_b32_e32 v13, v15, v13
	s_cbranch_scc1 .LBB4_167
.LBB4_168:                              ;   in Loop: Header=BB4_150 Depth=1
	s_mov_b32 s24, 0
	s_cbranch_execz .LBB4_170
	s_branch .LBB4_171
.LBB4_169:                              ;   in Loop: Header=BB4_150 Depth=1
                                        ; implicit-def: $sgpr24
.LBB4_170:                              ;   in Loop: Header=BB4_150 Depth=1
	global_load_dwordx2 v[12:13], v3, s[4:5]
	s_add_i32 s24, s25, -8
	s_add_u32 s4, s4, 8
	s_addc_u32 s5, s5, 0
.LBB4_171:                              ;   in Loop: Header=BB4_150 Depth=1
	s_cmp_gt_u32 s24, 7
	s_cbranch_scc1 .LBB4_176
; %bb.172:                              ;   in Loop: Header=BB4_150 Depth=1
	v_mov_b32_e32 v14, 0
	v_mov_b32_e32 v15, 0
	s_cmp_eq_u32 s24, 0
	s_cbranch_scc1 .LBB4_175
; %bb.173:                              ;   in Loop: Header=BB4_150 Depth=1
	s_mov_b64 s[20:21], 0
	s_mov_b64 s[22:23], 0
.LBB4_174:                              ;   Parent Loop BB4_150 Depth=1
                                        ; =>  This Inner Loop Header: Depth=2
	s_add_u32 s26, s4, s22
	s_addc_u32 s27, s5, s23
	s_add_u32 s22, s22, 1
	global_load_ubyte v2, v3, s[26:27]
	s_addc_u32 s23, s23, 0
	s_waitcnt vmcnt(0)
	v_and_b32_e32 v2, 0xffff, v2
	v_lshlrev_b64 v[16:17], s20, v[2:3]
	s_add_u32 s20, s20, 8
	s_addc_u32 s21, s21, 0
	s_cmp_lg_u32 s24, s22
	v_or_b32_e32 v14, v16, v14
	v_or_b32_e32 v15, v17, v15
	s_cbranch_scc1 .LBB4_174
.LBB4_175:                              ;   in Loop: Header=BB4_150 Depth=1
	s_mov_b32 s25, 0
	s_cbranch_execz .LBB4_177
	s_branch .LBB4_178
.LBB4_176:                              ;   in Loop: Header=BB4_150 Depth=1
                                        ; implicit-def: $vgpr14_vgpr15
                                        ; implicit-def: $sgpr25
.LBB4_177:                              ;   in Loop: Header=BB4_150 Depth=1
	global_load_dwordx2 v[14:15], v3, s[4:5]
	s_add_i32 s25, s24, -8
	s_add_u32 s4, s4, 8
	s_addc_u32 s5, s5, 0
.LBB4_178:                              ;   in Loop: Header=BB4_150 Depth=1
	s_cmp_gt_u32 s25, 7
	s_cbranch_scc1 .LBB4_183
; %bb.179:                              ;   in Loop: Header=BB4_150 Depth=1
	v_mov_b32_e32 v16, 0
	v_mov_b32_e32 v17, 0
	s_cmp_eq_u32 s25, 0
	s_cbranch_scc1 .LBB4_182
; %bb.180:                              ;   in Loop: Header=BB4_150 Depth=1
	s_mov_b64 s[20:21], 0
	s_mov_b64 s[22:23], 0
.LBB4_181:                              ;   Parent Loop BB4_150 Depth=1
                                        ; =>  This Inner Loop Header: Depth=2
	s_add_u32 s26, s4, s22
	s_addc_u32 s27, s5, s23
	s_add_u32 s22, s22, 1
	global_load_ubyte v2, v3, s[26:27]
	s_addc_u32 s23, s23, 0
	s_waitcnt vmcnt(0)
	v_and_b32_e32 v2, 0xffff, v2
	v_lshlrev_b64 v[18:19], s20, v[2:3]
	s_add_u32 s20, s20, 8
	s_addc_u32 s21, s21, 0
	s_cmp_lg_u32 s25, s22
	v_or_b32_e32 v16, v18, v16
	v_or_b32_e32 v17, v19, v17
	s_cbranch_scc1 .LBB4_181
.LBB4_182:                              ;   in Loop: Header=BB4_150 Depth=1
	s_mov_b32 s24, 0
	s_cbranch_execz .LBB4_184
	s_branch .LBB4_185
.LBB4_183:                              ;   in Loop: Header=BB4_150 Depth=1
                                        ; implicit-def: $sgpr24
.LBB4_184:                              ;   in Loop: Header=BB4_150 Depth=1
	global_load_dwordx2 v[16:17], v3, s[4:5]
	s_add_i32 s24, s25, -8
	s_add_u32 s4, s4, 8
	s_addc_u32 s5, s5, 0
.LBB4_185:                              ;   in Loop: Header=BB4_150 Depth=1
	s_cmp_gt_u32 s24, 7
	s_cbranch_scc1 .LBB4_190
; %bb.186:                              ;   in Loop: Header=BB4_150 Depth=1
	v_mov_b32_e32 v18, 0
	v_mov_b32_e32 v19, 0
	s_cmp_eq_u32 s24, 0
	s_cbranch_scc1 .LBB4_189
; %bb.187:                              ;   in Loop: Header=BB4_150 Depth=1
	s_mov_b64 s[20:21], 0
	s_mov_b64 s[22:23], 0
.LBB4_188:                              ;   Parent Loop BB4_150 Depth=1
                                        ; =>  This Inner Loop Header: Depth=2
	s_add_u32 s26, s4, s22
	s_addc_u32 s27, s5, s23
	s_add_u32 s22, s22, 1
	global_load_ubyte v2, v3, s[26:27]
	s_addc_u32 s23, s23, 0
	s_waitcnt vmcnt(0)
	v_and_b32_e32 v2, 0xffff, v2
	v_lshlrev_b64 v[20:21], s20, v[2:3]
	s_add_u32 s20, s20, 8
	s_addc_u32 s21, s21, 0
	s_cmp_lg_u32 s24, s22
	v_or_b32_e32 v18, v20, v18
	v_or_b32_e32 v19, v21, v19
	s_cbranch_scc1 .LBB4_188
.LBB4_189:                              ;   in Loop: Header=BB4_150 Depth=1
	s_mov_b32 s25, 0
	s_cbranch_execz .LBB4_191
	s_branch .LBB4_192
.LBB4_190:                              ;   in Loop: Header=BB4_150 Depth=1
                                        ; implicit-def: $vgpr18_vgpr19
                                        ; implicit-def: $sgpr25
.LBB4_191:                              ;   in Loop: Header=BB4_150 Depth=1
	global_load_dwordx2 v[18:19], v3, s[4:5]
	s_add_i32 s25, s24, -8
	s_add_u32 s4, s4, 8
	s_addc_u32 s5, s5, 0
.LBB4_192:                              ;   in Loop: Header=BB4_150 Depth=1
	s_cmp_gt_u32 s25, 7
	s_cbranch_scc1 .LBB4_197
; %bb.193:                              ;   in Loop: Header=BB4_150 Depth=1
	v_mov_b32_e32 v20, 0
	v_mov_b32_e32 v21, 0
	s_cmp_eq_u32 s25, 0
	s_cbranch_scc1 .LBB4_196
; %bb.194:                              ;   in Loop: Header=BB4_150 Depth=1
	s_mov_b64 s[20:21], 0
	s_mov_b64 s[22:23], s[4:5]
.LBB4_195:                              ;   Parent Loop BB4_150 Depth=1
                                        ; =>  This Inner Loop Header: Depth=2
	global_load_ubyte v2, v3, s[22:23]
	s_add_i32 s25, s25, -1
	s_waitcnt vmcnt(0)
	v_and_b32_e32 v2, 0xffff, v2
	v_lshlrev_b64 v[22:23], s20, v[2:3]
	s_add_u32 s20, s20, 8
	s_addc_u32 s21, s21, 0
	s_add_u32 s22, s22, 1
	s_addc_u32 s23, s23, 0
	s_cmp_lg_u32 s25, 0
	v_or_b32_e32 v20, v22, v20
	v_or_b32_e32 v21, v23, v21
	s_cbranch_scc1 .LBB4_195
.LBB4_196:                              ;   in Loop: Header=BB4_150 Depth=1
	s_cbranch_execz .LBB4_198
	s_branch .LBB4_199
.LBB4_197:                              ;   in Loop: Header=BB4_150 Depth=1
.LBB4_198:                              ;   in Loop: Header=BB4_150 Depth=1
	global_load_dwordx2 v[20:21], v3, s[4:5]
.LBB4_199:                              ;   in Loop: Header=BB4_150 Depth=1
	v_readfirstlane_b32 s4, v32
	v_mov_b32_e32 v26, 0
	v_mov_b32_e32 v27, 0
	v_cmp_eq_u32_e64 s4, s4, v32
	s_and_saveexec_b32 s5, s4
	s_cbranch_execz .LBB4_205
; %bb.200:                              ;   in Loop: Header=BB4_150 Depth=1
	global_load_dwordx2 v[24:25], v3, s[6:7] offset:24 glc dlc
	s_waitcnt vmcnt(0)
	buffer_gl1_inv
	buffer_gl0_inv
	s_clause 0x1
	global_load_dwordx2 v[22:23], v3, s[6:7] offset:40
	global_load_dwordx2 v[26:27], v3, s[6:7]
	s_mov_b32 s20, exec_lo
	s_waitcnt vmcnt(1)
	v_and_b32_e32 v2, v23, v25
	v_and_b32_e32 v22, v22, v24
	v_mul_lo_u32 v2, v2, 24
	v_mul_hi_u32 v23, v22, 24
	v_mul_lo_u32 v22, v22, 24
	v_add_nc_u32_e32 v2, v23, v2
	s_waitcnt vmcnt(0)
	v_add_co_u32 v22, vcc_lo, v26, v22
	v_add_co_ci_u32_e32 v23, vcc_lo, v27, v2, vcc_lo
	global_load_dwordx2 v[22:23], v[22:23], off glc dlc
	s_waitcnt vmcnt(0)
	global_atomic_cmpswap_x2 v[26:27], v3, v[22:25], s[6:7] offset:24 glc
	s_waitcnt vmcnt(0)
	buffer_gl1_inv
	buffer_gl0_inv
	v_cmpx_ne_u64_e64 v[26:27], v[24:25]
	s_cbranch_execz .LBB4_204
; %bb.201:                              ;   in Loop: Header=BB4_150 Depth=1
	s_mov_b32 s21, 0
	.p2align	6
.LBB4_202:                              ;   Parent Loop BB4_150 Depth=1
                                        ; =>  This Inner Loop Header: Depth=2
	s_sleep 1
	s_clause 0x1
	global_load_dwordx2 v[22:23], v3, s[6:7] offset:40
	global_load_dwordx2 v[28:29], v3, s[6:7]
	v_mov_b32_e32 v24, v26
	v_mov_b32_e32 v25, v27
	s_waitcnt vmcnt(1)
	v_and_b32_e32 v2, v22, v24
	v_and_b32_e32 v22, v23, v25
	s_waitcnt vmcnt(0)
	v_mad_u64_u32 v[26:27], null, v2, 24, v[28:29]
	v_mov_b32_e32 v2, v27
	v_mad_u64_u32 v[22:23], null, v22, 24, v[2:3]
	v_mov_b32_e32 v27, v22
	global_load_dwordx2 v[22:23], v[26:27], off glc dlc
	s_waitcnt vmcnt(0)
	global_atomic_cmpswap_x2 v[26:27], v3, v[22:25], s[6:7] offset:24 glc
	s_waitcnt vmcnt(0)
	buffer_gl1_inv
	buffer_gl0_inv
	v_cmp_eq_u64_e32 vcc_lo, v[26:27], v[24:25]
	s_or_b32 s21, vcc_lo, s21
	s_andn2_b32 exec_lo, exec_lo, s21
	s_cbranch_execnz .LBB4_202
; %bb.203:                              ;   in Loop: Header=BB4_150 Depth=1
	s_or_b32 exec_lo, exec_lo, s21
.LBB4_204:                              ;   in Loop: Header=BB4_150 Depth=1
	s_or_b32 exec_lo, exec_lo, s20
.LBB4_205:                              ;   in Loop: Header=BB4_150 Depth=1
	s_or_b32 exec_lo, exec_lo, s5
	s_clause 0x1
	global_load_dwordx2 v[28:29], v3, s[6:7] offset:40
	global_load_dwordx4 v[22:25], v3, s[6:7]
	v_readfirstlane_b32 s20, v26
	v_readfirstlane_b32 s21, v27
	s_mov_b32 s5, exec_lo
	s_waitcnt vmcnt(1)
	v_readfirstlane_b32 s22, v28
	v_readfirstlane_b32 s23, v29
	s_and_b64 s[22:23], s[20:21], s[22:23]
	s_mul_i32 s24, s23, 24
	s_mul_hi_u32 s25, s22, 24
	s_mul_i32 s26, s22, 24
	s_add_i32 s25, s25, s24
	s_waitcnt vmcnt(0)
	v_add_co_u32 v26, vcc_lo, v22, s26
	v_add_co_ci_u32_e32 v27, vcc_lo, s25, v23, vcc_lo
	s_and_saveexec_b32 s24, s4
	s_cbranch_execz .LBB4_207
; %bb.206:                              ;   in Loop: Header=BB4_150 Depth=1
	v_mov_b32_e32 v2, s5
	global_store_dwordx4 v[26:27], v[2:5], off offset:8
.LBB4_207:                              ;   in Loop: Header=BB4_150 Depth=1
	s_or_b32 exec_lo, exec_lo, s24
	s_lshl_b64 s[22:23], s[22:23], 12
	v_or_b32_e32 v2, 2, v6
	v_add_co_u32 v24, vcc_lo, v24, s22
	v_add_co_ci_u32_e32 v25, vcc_lo, s23, v25, vcc_lo
	v_cmp_gt_u64_e64 vcc_lo, s[16:17], 56
	s_lshl_b32 s5, s18, 2
	v_readfirstlane_b32 s22, v24
	s_add_i32 s5, s5, 28
	v_readfirstlane_b32 s23, v25
	s_and_b32 s5, s5, 0x1e0
	v_cndmask_b32_e32 v2, v2, v6, vcc_lo
	v_and_or_b32 v6, 0xffffff1f, v2, s5
	global_store_dwordx4 v31, v[10:13], s[22:23] offset:16
	global_store_dwordx4 v31, v[6:9], s[22:23]
	global_store_dwordx4 v31, v[14:17], s[22:23] offset:32
	global_store_dwordx4 v31, v[18:21], s[22:23] offset:48
	s_and_saveexec_b32 s5, s4
	s_cbranch_execz .LBB4_215
; %bb.208:                              ;   in Loop: Header=BB4_150 Depth=1
	s_clause 0x1
	global_load_dwordx2 v[14:15], v3, s[6:7] offset:32 glc dlc
	global_load_dwordx2 v[6:7], v3, s[6:7] offset:40
	v_mov_b32_e32 v12, s20
	v_mov_b32_e32 v13, s21
	s_waitcnt vmcnt(0)
	v_readfirstlane_b32 s22, v6
	v_readfirstlane_b32 s23, v7
	s_and_b64 s[22:23], s[22:23], s[20:21]
	s_mul_i32 s23, s23, 24
	s_mul_hi_u32 s24, s22, 24
	s_mul_i32 s22, s22, 24
	s_add_i32 s24, s24, s23
	v_add_co_u32 v10, vcc_lo, v22, s22
	v_add_co_ci_u32_e32 v11, vcc_lo, s24, v23, vcc_lo
	s_mov_b32 s22, exec_lo
	global_store_dwordx2 v[10:11], v[14:15], off
	s_waitcnt_vscnt null, 0x0
	global_atomic_cmpswap_x2 v[8:9], v3, v[12:15], s[6:7] offset:32 glc
	s_waitcnt vmcnt(0)
	v_cmpx_ne_u64_e64 v[8:9], v[14:15]
	s_cbranch_execz .LBB4_211
; %bb.209:                              ;   in Loop: Header=BB4_150 Depth=1
	s_mov_b32 s23, 0
.LBB4_210:                              ;   Parent Loop BB4_150 Depth=1
                                        ; =>  This Inner Loop Header: Depth=2
	v_mov_b32_e32 v6, s20
	v_mov_b32_e32 v7, s21
	s_sleep 1
	global_store_dwordx2 v[10:11], v[8:9], off
	s_waitcnt_vscnt null, 0x0
	global_atomic_cmpswap_x2 v[6:7], v3, v[6:9], s[6:7] offset:32 glc
	s_waitcnt vmcnt(0)
	v_cmp_eq_u64_e32 vcc_lo, v[6:7], v[8:9]
	v_mov_b32_e32 v9, v7
	v_mov_b32_e32 v8, v6
	s_or_b32 s23, vcc_lo, s23
	s_andn2_b32 exec_lo, exec_lo, s23
	s_cbranch_execnz .LBB4_210
.LBB4_211:                              ;   in Loop: Header=BB4_150 Depth=1
	s_or_b32 exec_lo, exec_lo, s22
	global_load_dwordx2 v[6:7], v3, s[6:7] offset:16
	s_mov_b32 s23, exec_lo
	s_mov_b32 s22, exec_lo
	v_mbcnt_lo_u32_b32 v2, s23, 0
	v_cmpx_eq_u32_e32 0, v2
	s_cbranch_execz .LBB4_213
; %bb.212:                              ;   in Loop: Header=BB4_150 Depth=1
	s_bcnt1_i32_b32 s23, s23
	v_mov_b32_e32 v2, s23
	s_waitcnt vmcnt(0)
	global_atomic_add_x2 v[6:7], v[2:3], off offset:8
.LBB4_213:                              ;   in Loop: Header=BB4_150 Depth=1
	s_or_b32 exec_lo, exec_lo, s22
	s_waitcnt vmcnt(0)
	global_load_dwordx2 v[8:9], v[6:7], off offset:16
	s_waitcnt vmcnt(0)
	v_cmp_eq_u64_e32 vcc_lo, 0, v[8:9]
	s_cbranch_vccnz .LBB4_215
; %bb.214:                              ;   in Loop: Header=BB4_150 Depth=1
	global_load_dword v2, v[6:7], off offset:24
	s_waitcnt vmcnt(0)
	v_and_b32_e32 v6, 0x7fffff, v2
	s_waitcnt_vscnt null, 0x0
	global_store_dwordx2 v[8:9], v[2:3], off
	v_readfirstlane_b32 m0, v6
	s_sendmsg sendmsg(MSG_INTERRUPT)
.LBB4_215:                              ;   in Loop: Header=BB4_150 Depth=1
	s_or_b32 exec_lo, exec_lo, s5
	v_add_co_u32 v6, vcc_lo, v24, v31
	v_add_co_ci_u32_e32 v7, vcc_lo, 0, v25, vcc_lo
	s_branch .LBB4_219
	.p2align	6
.LBB4_216:                              ;   in Loop: Header=BB4_219 Depth=2
	s_or_b32 exec_lo, exec_lo, s5
	v_readfirstlane_b32 s5, v2
	s_cmp_eq_u32 s5, 0
	s_cbranch_scc1 .LBB4_218
; %bb.217:                              ;   in Loop: Header=BB4_219 Depth=2
	s_sleep 1
	s_cbranch_execnz .LBB4_219
	s_branch .LBB4_221
	.p2align	6
.LBB4_218:                              ;   in Loop: Header=BB4_150 Depth=1
	s_branch .LBB4_221
.LBB4_219:                              ;   Parent Loop BB4_150 Depth=1
                                        ; =>  This Inner Loop Header: Depth=2
	v_mov_b32_e32 v2, 1
	s_and_saveexec_b32 s5, s4
	s_cbranch_execz .LBB4_216
; %bb.220:                              ;   in Loop: Header=BB4_219 Depth=2
	global_load_dword v2, v[26:27], off offset:20 glc dlc
	s_waitcnt vmcnt(0)
	buffer_gl1_inv
	buffer_gl0_inv
	v_and_b32_e32 v2, 1, v2
	s_branch .LBB4_216
.LBB4_221:                              ;   in Loop: Header=BB4_150 Depth=1
	global_load_dwordx4 v[6:9], v[6:7], off
	s_and_saveexec_b32 s5, s4
	s_cbranch_execz .LBB4_149
; %bb.222:                              ;   in Loop: Header=BB4_150 Depth=1
	s_clause 0x2
	global_load_dwordx2 v[10:11], v3, s[6:7] offset:40
	global_load_dwordx2 v[14:15], v3, s[6:7] offset:24 glc dlc
	global_load_dwordx2 v[12:13], v3, s[6:7]
	s_waitcnt vmcnt(2)
	v_add_co_u32 v2, vcc_lo, v10, 1
	v_add_co_ci_u32_e32 v16, vcc_lo, 0, v11, vcc_lo
	v_add_co_u32 v8, vcc_lo, v2, s20
	v_add_co_ci_u32_e32 v9, vcc_lo, s21, v16, vcc_lo
	v_cmp_eq_u64_e32 vcc_lo, 0, v[8:9]
	v_cndmask_b32_e32 v9, v9, v16, vcc_lo
	v_cndmask_b32_e32 v8, v8, v2, vcc_lo
	v_and_b32_e32 v2, v9, v11
	v_and_b32_e32 v10, v8, v10
	v_mul_lo_u32 v2, v2, 24
	v_mul_hi_u32 v11, v10, 24
	v_mul_lo_u32 v10, v10, 24
	v_add_nc_u32_e32 v2, v11, v2
	s_waitcnt vmcnt(0)
	v_add_co_u32 v12, vcc_lo, v12, v10
	v_mov_b32_e32 v10, v14
	v_mov_b32_e32 v11, v15
	v_add_co_ci_u32_e32 v13, vcc_lo, v13, v2, vcc_lo
	global_store_dwordx2 v[12:13], v[14:15], off
	s_waitcnt_vscnt null, 0x0
	global_atomic_cmpswap_x2 v[10:11], v3, v[8:11], s[6:7] offset:24 glc
	s_waitcnt vmcnt(0)
	v_cmp_ne_u64_e32 vcc_lo, v[10:11], v[14:15]
	s_and_b32 exec_lo, exec_lo, vcc_lo
	s_cbranch_execz .LBB4_149
; %bb.223:                              ;   in Loop: Header=BB4_150 Depth=1
	s_mov_b32 s4, 0
.LBB4_224:                              ;   Parent Loop BB4_150 Depth=1
                                        ; =>  This Inner Loop Header: Depth=2
	s_sleep 1
	global_store_dwordx2 v[12:13], v[10:11], off
	s_waitcnt_vscnt null, 0x0
	global_atomic_cmpswap_x2 v[14:15], v3, v[8:11], s[6:7] offset:24 glc
	s_waitcnt vmcnt(0)
	v_cmp_eq_u64_e32 vcc_lo, v[14:15], v[10:11]
	v_mov_b32_e32 v10, v14
	v_mov_b32_e32 v11, v15
	s_or_b32 s4, vcc_lo, s4
	s_andn2_b32 exec_lo, exec_lo, s4
	s_cbranch_execnz .LBB4_224
	s_branch .LBB4_149
.LBB4_225:
	s_branch .LBB4_254
.LBB4_226:
	s_cbranch_execz .LBB4_254
; %bb.227:
	v_readfirstlane_b32 s4, v32
	s_waitcnt vmcnt(0)
	v_mov_b32_e32 v8, 0
	v_mov_b32_e32 v9, 0
	v_cmp_eq_u32_e64 s4, s4, v32
	s_and_saveexec_b32 s5, s4
	s_cbranch_execz .LBB4_233
; %bb.228:
	v_mov_b32_e32 v2, 0
	s_mov_b32 s10, exec_lo
	global_load_dwordx2 v[5:6], v2, s[6:7] offset:24 glc dlc
	s_waitcnt vmcnt(0)
	buffer_gl1_inv
	buffer_gl0_inv
	s_clause 0x1
	global_load_dwordx2 v[3:4], v2, s[6:7] offset:40
	global_load_dwordx2 v[7:8], v2, s[6:7]
	s_waitcnt vmcnt(1)
	v_and_b32_e32 v4, v4, v6
	v_and_b32_e32 v3, v3, v5
	v_mul_lo_u32 v4, v4, 24
	v_mul_hi_u32 v9, v3, 24
	v_mul_lo_u32 v3, v3, 24
	v_add_nc_u32_e32 v4, v9, v4
	s_waitcnt vmcnt(0)
	v_add_co_u32 v3, vcc_lo, v7, v3
	v_add_co_ci_u32_e32 v4, vcc_lo, v8, v4, vcc_lo
	global_load_dwordx2 v[3:4], v[3:4], off glc dlc
	s_waitcnt vmcnt(0)
	global_atomic_cmpswap_x2 v[8:9], v2, v[3:6], s[6:7] offset:24 glc
	s_waitcnt vmcnt(0)
	buffer_gl1_inv
	buffer_gl0_inv
	v_cmpx_ne_u64_e64 v[8:9], v[5:6]
	s_cbranch_execz .LBB4_232
; %bb.229:
	s_mov_b32 s11, 0
	.p2align	6
.LBB4_230:                              ; =>This Inner Loop Header: Depth=1
	s_sleep 1
	s_clause 0x1
	global_load_dwordx2 v[3:4], v2, s[6:7] offset:40
	global_load_dwordx2 v[10:11], v2, s[6:7]
	v_mov_b32_e32 v5, v8
	v_mov_b32_e32 v6, v9
	s_waitcnt vmcnt(1)
	v_and_b32_e32 v3, v3, v5
	v_and_b32_e32 v4, v4, v6
	s_waitcnt vmcnt(0)
	v_mad_u64_u32 v[7:8], null, v3, 24, v[10:11]
	v_mov_b32_e32 v3, v8
	v_mad_u64_u32 v[3:4], null, v4, 24, v[3:4]
	v_mov_b32_e32 v8, v3
	global_load_dwordx2 v[3:4], v[7:8], off glc dlc
	s_waitcnt vmcnt(0)
	global_atomic_cmpswap_x2 v[8:9], v2, v[3:6], s[6:7] offset:24 glc
	s_waitcnt vmcnt(0)
	buffer_gl1_inv
	buffer_gl0_inv
	v_cmp_eq_u64_e32 vcc_lo, v[8:9], v[5:6]
	s_or_b32 s11, vcc_lo, s11
	s_andn2_b32 exec_lo, exec_lo, s11
	s_cbranch_execnz .LBB4_230
; %bb.231:
	s_or_b32 exec_lo, exec_lo, s11
.LBB4_232:
	s_or_b32 exec_lo, exec_lo, s10
.LBB4_233:
	s_or_b32 exec_lo, exec_lo, s5
	v_mov_b32_e32 v2, 0
	v_readfirstlane_b32 s10, v8
	v_readfirstlane_b32 s11, v9
	s_mov_b32 s5, exec_lo
	s_clause 0x1
	global_load_dwordx2 v[10:11], v2, s[6:7] offset:40
	global_load_dwordx4 v[4:7], v2, s[6:7]
	s_waitcnt vmcnt(1)
	v_readfirstlane_b32 s16, v10
	v_readfirstlane_b32 s17, v11
	s_and_b64 s[16:17], s[10:11], s[16:17]
	s_mul_i32 s18, s17, 24
	s_mul_hi_u32 s19, s16, 24
	s_mul_i32 s20, s16, 24
	s_add_i32 s19, s19, s18
	s_waitcnt vmcnt(0)
	v_add_co_u32 v8, vcc_lo, v4, s20
	v_add_co_ci_u32_e32 v9, vcc_lo, s19, v5, vcc_lo
	s_and_saveexec_b32 s18, s4
	s_cbranch_execz .LBB4_235
; %bb.234:
	v_mov_b32_e32 v10, s5
	v_mov_b32_e32 v11, v2
	;; [unrolled: 1-line block ×4, first 2 shown]
	global_store_dwordx4 v[8:9], v[10:13], off offset:8
.LBB4_235:
	s_or_b32 exec_lo, exec_lo, s18
	s_lshl_b64 s[16:17], s[16:17], 12
	v_and_or_b32 v0, 0xffffff1d, v0, 34
	v_add_co_u32 v6, vcc_lo, v6, s16
	v_add_co_ci_u32_e32 v7, vcc_lo, s17, v7, vcc_lo
	s_mov_b32 s16, 0
	v_mov_b32_e32 v3, v2
	s_mov_b32 s17, s16
	s_mov_b32 s18, s16
	;; [unrolled: 1-line block ×3, first 2 shown]
	v_readfirstlane_b32 s20, v6
	v_readfirstlane_b32 s21, v7
	v_mov_b32_e32 v10, s16
	v_mov_b32_e32 v11, s17
	;; [unrolled: 1-line block ×4, first 2 shown]
	global_store_dwordx4 v31, v[0:3], s[20:21]
	global_store_dwordx4 v31, v[10:13], s[20:21] offset:16
	global_store_dwordx4 v31, v[10:13], s[20:21] offset:32
	;; [unrolled: 1-line block ×3, first 2 shown]
	s_and_saveexec_b32 s5, s4
	s_cbranch_execz .LBB4_243
; %bb.236:
	v_mov_b32_e32 v6, 0
	v_mov_b32_e32 v10, s10
	;; [unrolled: 1-line block ×3, first 2 shown]
	s_clause 0x1
	global_load_dwordx2 v[12:13], v6, s[6:7] offset:32 glc dlc
	global_load_dwordx2 v[0:1], v6, s[6:7] offset:40
	s_waitcnt vmcnt(0)
	v_readfirstlane_b32 s16, v0
	v_readfirstlane_b32 s17, v1
	s_and_b64 s[16:17], s[16:17], s[10:11]
	s_mul_i32 s17, s17, 24
	s_mul_hi_u32 s18, s16, 24
	s_mul_i32 s16, s16, 24
	s_add_i32 s18, s18, s17
	v_add_co_u32 v4, vcc_lo, v4, s16
	v_add_co_ci_u32_e32 v5, vcc_lo, s18, v5, vcc_lo
	s_mov_b32 s16, exec_lo
	global_store_dwordx2 v[4:5], v[12:13], off
	s_waitcnt_vscnt null, 0x0
	global_atomic_cmpswap_x2 v[2:3], v6, v[10:13], s[6:7] offset:32 glc
	s_waitcnt vmcnt(0)
	v_cmpx_ne_u64_e64 v[2:3], v[12:13]
	s_cbranch_execz .LBB4_239
; %bb.237:
	s_mov_b32 s17, 0
.LBB4_238:                              ; =>This Inner Loop Header: Depth=1
	v_mov_b32_e32 v0, s10
	v_mov_b32_e32 v1, s11
	s_sleep 1
	global_store_dwordx2 v[4:5], v[2:3], off
	s_waitcnt_vscnt null, 0x0
	global_atomic_cmpswap_x2 v[0:1], v6, v[0:3], s[6:7] offset:32 glc
	s_waitcnt vmcnt(0)
	v_cmp_eq_u64_e32 vcc_lo, v[0:1], v[2:3]
	v_mov_b32_e32 v3, v1
	v_mov_b32_e32 v2, v0
	s_or_b32 s17, vcc_lo, s17
	s_andn2_b32 exec_lo, exec_lo, s17
	s_cbranch_execnz .LBB4_238
.LBB4_239:
	s_or_b32 exec_lo, exec_lo, s16
	v_mov_b32_e32 v3, 0
	s_mov_b32 s17, exec_lo
	s_mov_b32 s16, exec_lo
	v_mbcnt_lo_u32_b32 v2, s17, 0
	global_load_dwordx2 v[0:1], v3, s[6:7] offset:16
	v_cmpx_eq_u32_e32 0, v2
	s_cbranch_execz .LBB4_241
; %bb.240:
	s_bcnt1_i32_b32 s17, s17
	v_mov_b32_e32 v2, s17
	s_waitcnt vmcnt(0)
	global_atomic_add_x2 v[0:1], v[2:3], off offset:8
.LBB4_241:
	s_or_b32 exec_lo, exec_lo, s16
	s_waitcnt vmcnt(0)
	global_load_dwordx2 v[2:3], v[0:1], off offset:16
	s_waitcnt vmcnt(0)
	v_cmp_eq_u64_e32 vcc_lo, 0, v[2:3]
	s_cbranch_vccnz .LBB4_243
; %bb.242:
	global_load_dword v0, v[0:1], off offset:24
	v_mov_b32_e32 v1, 0
	s_waitcnt vmcnt(0)
	v_and_b32_e32 v4, 0x7fffff, v0
	s_waitcnt_vscnt null, 0x0
	global_store_dwordx2 v[2:3], v[0:1], off
	v_readfirstlane_b32 m0, v4
	s_sendmsg sendmsg(MSG_INTERRUPT)
.LBB4_243:
	s_or_b32 exec_lo, exec_lo, s5
	s_branch .LBB4_247
	.p2align	6
.LBB4_244:                              ;   in Loop: Header=BB4_247 Depth=1
	s_or_b32 exec_lo, exec_lo, s5
	v_readfirstlane_b32 s5, v0
	s_cmp_eq_u32 s5, 0
	s_cbranch_scc1 .LBB4_246
; %bb.245:                              ;   in Loop: Header=BB4_247 Depth=1
	s_sleep 1
	s_cbranch_execnz .LBB4_247
	s_branch .LBB4_249
	.p2align	6
.LBB4_246:
	s_branch .LBB4_249
.LBB4_247:                              ; =>This Inner Loop Header: Depth=1
	v_mov_b32_e32 v0, 1
	s_and_saveexec_b32 s5, s4
	s_cbranch_execz .LBB4_244
; %bb.248:                              ;   in Loop: Header=BB4_247 Depth=1
	global_load_dword v0, v[8:9], off offset:20 glc dlc
	s_waitcnt vmcnt(0)
	buffer_gl1_inv
	buffer_gl0_inv
	v_and_b32_e32 v0, 1, v0
	s_branch .LBB4_244
.LBB4_249:
	s_and_saveexec_b32 s5, s4
	s_cbranch_execz .LBB4_253
; %bb.250:
	v_mov_b32_e32 v6, 0
	s_clause 0x2
	global_load_dwordx2 v[2:3], v6, s[6:7] offset:40
	global_load_dwordx2 v[7:8], v6, s[6:7] offset:24 glc dlc
	global_load_dwordx2 v[4:5], v6, s[6:7]
	s_waitcnt vmcnt(2)
	v_add_co_u32 v9, vcc_lo, v2, 1
	v_add_co_ci_u32_e32 v10, vcc_lo, 0, v3, vcc_lo
	v_add_co_u32 v0, vcc_lo, v9, s10
	v_add_co_ci_u32_e32 v1, vcc_lo, s11, v10, vcc_lo
	v_cmp_eq_u64_e32 vcc_lo, 0, v[0:1]
	v_cndmask_b32_e32 v1, v1, v10, vcc_lo
	v_cndmask_b32_e32 v0, v0, v9, vcc_lo
	v_and_b32_e32 v3, v1, v3
	v_and_b32_e32 v2, v0, v2
	v_mul_lo_u32 v3, v3, 24
	v_mul_hi_u32 v9, v2, 24
	v_mul_lo_u32 v2, v2, 24
	v_add_nc_u32_e32 v3, v9, v3
	s_waitcnt vmcnt(0)
	v_add_co_u32 v4, vcc_lo, v4, v2
	v_mov_b32_e32 v2, v7
	v_add_co_ci_u32_e32 v5, vcc_lo, v5, v3, vcc_lo
	v_mov_b32_e32 v3, v8
	global_store_dwordx2 v[4:5], v[7:8], off
	s_waitcnt_vscnt null, 0x0
	global_atomic_cmpswap_x2 v[2:3], v6, v[0:3], s[6:7] offset:24 glc
	s_waitcnt vmcnt(0)
	v_cmp_ne_u64_e32 vcc_lo, v[2:3], v[7:8]
	s_and_b32 exec_lo, exec_lo, vcc_lo
	s_cbranch_execz .LBB4_253
; %bb.251:
	s_mov_b32 s4, 0
.LBB4_252:                              ; =>This Inner Loop Header: Depth=1
	s_sleep 1
	global_store_dwordx2 v[4:5], v[2:3], off
	s_waitcnt_vscnt null, 0x0
	global_atomic_cmpswap_x2 v[7:8], v6, v[0:3], s[6:7] offset:24 glc
	s_waitcnt vmcnt(0)
	v_cmp_eq_u64_e32 vcc_lo, v[7:8], v[2:3]
	v_mov_b32_e32 v2, v7
	v_mov_b32_e32 v3, v8
	s_or_b32 s4, vcc_lo, s4
	s_andn2_b32 exec_lo, exec_lo, s4
	s_cbranch_execnz .LBB4_252
.LBB4_253:
	s_or_b32 exec_lo, exec_lo, s5
.LBB4_254:
	v_readfirstlane_b32 s4, v32
	s_waitcnt vmcnt(0)
	v_mov_b32_e32 v6, 0
	v_mov_b32_e32 v7, 0
	v_cmp_eq_u32_e64 s4, s4, v32
	s_and_saveexec_b32 s5, s4
	s_cbranch_execz .LBB4_260
; %bb.255:
	v_mov_b32_e32 v0, 0
	s_mov_b32 s10, exec_lo
	global_load_dwordx2 v[3:4], v0, s[6:7] offset:24 glc dlc
	s_waitcnt vmcnt(0)
	buffer_gl1_inv
	buffer_gl0_inv
	s_clause 0x1
	global_load_dwordx2 v[1:2], v0, s[6:7] offset:40
	global_load_dwordx2 v[5:6], v0, s[6:7]
	s_waitcnt vmcnt(1)
	v_and_b32_e32 v2, v2, v4
	v_and_b32_e32 v1, v1, v3
	v_mul_lo_u32 v2, v2, 24
	v_mul_hi_u32 v7, v1, 24
	v_mul_lo_u32 v1, v1, 24
	v_add_nc_u32_e32 v2, v7, v2
	s_waitcnt vmcnt(0)
	v_add_co_u32 v1, vcc_lo, v5, v1
	v_add_co_ci_u32_e32 v2, vcc_lo, v6, v2, vcc_lo
	global_load_dwordx2 v[1:2], v[1:2], off glc dlc
	s_waitcnt vmcnt(0)
	global_atomic_cmpswap_x2 v[6:7], v0, v[1:4], s[6:7] offset:24 glc
	s_waitcnt vmcnt(0)
	buffer_gl1_inv
	buffer_gl0_inv
	v_cmpx_ne_u64_e64 v[6:7], v[3:4]
	s_cbranch_execz .LBB4_259
; %bb.256:
	s_mov_b32 s11, 0
	.p2align	6
.LBB4_257:                              ; =>This Inner Loop Header: Depth=1
	s_sleep 1
	s_clause 0x1
	global_load_dwordx2 v[1:2], v0, s[6:7] offset:40
	global_load_dwordx2 v[8:9], v0, s[6:7]
	v_mov_b32_e32 v3, v6
	v_mov_b32_e32 v4, v7
	s_waitcnt vmcnt(1)
	v_and_b32_e32 v1, v1, v3
	v_and_b32_e32 v2, v2, v4
	s_waitcnt vmcnt(0)
	v_mad_u64_u32 v[5:6], null, v1, 24, v[8:9]
	v_mov_b32_e32 v1, v6
	v_mad_u64_u32 v[1:2], null, v2, 24, v[1:2]
	v_mov_b32_e32 v6, v1
	global_load_dwordx2 v[1:2], v[5:6], off glc dlc
	s_waitcnt vmcnt(0)
	global_atomic_cmpswap_x2 v[6:7], v0, v[1:4], s[6:7] offset:24 glc
	s_waitcnt vmcnt(0)
	buffer_gl1_inv
	buffer_gl0_inv
	v_cmp_eq_u64_e32 vcc_lo, v[6:7], v[3:4]
	s_or_b32 s11, vcc_lo, s11
	s_andn2_b32 exec_lo, exec_lo, s11
	s_cbranch_execnz .LBB4_257
; %bb.258:
	s_or_b32 exec_lo, exec_lo, s11
.LBB4_259:
	s_or_b32 exec_lo, exec_lo, s10
.LBB4_260:
	s_or_b32 exec_lo, exec_lo, s5
	v_mov_b32_e32 v5, 0
	v_readfirstlane_b32 s10, v6
	v_readfirstlane_b32 s11, v7
	s_mov_b32 s5, exec_lo
	s_clause 0x1
	global_load_dwordx2 v[8:9], v5, s[6:7] offset:40
	global_load_dwordx4 v[0:3], v5, s[6:7]
	s_waitcnt vmcnt(1)
	v_readfirstlane_b32 s16, v8
	v_readfirstlane_b32 s17, v9
	s_and_b64 s[16:17], s[10:11], s[16:17]
	s_mul_i32 s18, s17, 24
	s_mul_hi_u32 s19, s16, 24
	s_mul_i32 s20, s16, 24
	s_add_i32 s19, s19, s18
	s_waitcnt vmcnt(0)
	v_add_co_u32 v8, vcc_lo, v0, s20
	v_add_co_ci_u32_e32 v9, vcc_lo, s19, v1, vcc_lo
	s_and_saveexec_b32 s18, s4
	s_cbranch_execz .LBB4_262
; %bb.261:
	v_mov_b32_e32 v4, s5
	v_mov_b32_e32 v6, 2
	;; [unrolled: 1-line block ×3, first 2 shown]
	global_store_dwordx4 v[8:9], v[4:7], off offset:8
.LBB4_262:
	s_or_b32 exec_lo, exec_lo, s18
	s_lshl_b64 s[16:17], s[16:17], 12
	v_mov_b32_e32 v4, 33
	v_add_co_u32 v2, vcc_lo, v2, s16
	v_add_co_ci_u32_e32 v3, vcc_lo, s17, v3, vcc_lo
	s_mov_b32 s16, 0
	v_add_co_u32 v10, vcc_lo, v2, v31
	s_mov_b32 s17, s16
	s_mov_b32 s18, s16
	;; [unrolled: 1-line block ×3, first 2 shown]
	v_mov_b32_e32 v6, v5
	v_mov_b32_e32 v7, v5
	v_readfirstlane_b32 s20, v2
	v_readfirstlane_b32 s21, v3
	v_mov_b32_e32 v12, s16
	v_add_co_ci_u32_e32 v11, vcc_lo, 0, v3, vcc_lo
	v_mov_b32_e32 v13, s17
	v_mov_b32_e32 v14, s18
	;; [unrolled: 1-line block ×3, first 2 shown]
	global_store_dwordx4 v31, v[4:7], s[20:21]
	global_store_dwordx4 v31, v[12:15], s[20:21] offset:16
	global_store_dwordx4 v31, v[12:15], s[20:21] offset:32
	;; [unrolled: 1-line block ×3, first 2 shown]
	s_and_saveexec_b32 s5, s4
	s_cbranch_execz .LBB4_270
; %bb.263:
	v_mov_b32_e32 v6, 0
	v_mov_b32_e32 v12, s10
	;; [unrolled: 1-line block ×3, first 2 shown]
	s_clause 0x1
	global_load_dwordx2 v[14:15], v6, s[6:7] offset:32 glc dlc
	global_load_dwordx2 v[2:3], v6, s[6:7] offset:40
	s_waitcnt vmcnt(0)
	v_readfirstlane_b32 s16, v2
	v_readfirstlane_b32 s17, v3
	s_and_b64 s[16:17], s[16:17], s[10:11]
	s_mul_i32 s17, s17, 24
	s_mul_hi_u32 s18, s16, 24
	s_mul_i32 s16, s16, 24
	s_add_i32 s18, s18, s17
	v_add_co_u32 v4, vcc_lo, v0, s16
	v_add_co_ci_u32_e32 v5, vcc_lo, s18, v1, vcc_lo
	s_mov_b32 s16, exec_lo
	global_store_dwordx2 v[4:5], v[14:15], off
	s_waitcnt_vscnt null, 0x0
	global_atomic_cmpswap_x2 v[2:3], v6, v[12:15], s[6:7] offset:32 glc
	s_waitcnt vmcnt(0)
	v_cmpx_ne_u64_e64 v[2:3], v[14:15]
	s_cbranch_execz .LBB4_266
; %bb.264:
	s_mov_b32 s17, 0
.LBB4_265:                              ; =>This Inner Loop Header: Depth=1
	v_mov_b32_e32 v0, s10
	v_mov_b32_e32 v1, s11
	s_sleep 1
	global_store_dwordx2 v[4:5], v[2:3], off
	s_waitcnt_vscnt null, 0x0
	global_atomic_cmpswap_x2 v[0:1], v6, v[0:3], s[6:7] offset:32 glc
	s_waitcnt vmcnt(0)
	v_cmp_eq_u64_e32 vcc_lo, v[0:1], v[2:3]
	v_mov_b32_e32 v3, v1
	v_mov_b32_e32 v2, v0
	s_or_b32 s17, vcc_lo, s17
	s_andn2_b32 exec_lo, exec_lo, s17
	s_cbranch_execnz .LBB4_265
.LBB4_266:
	s_or_b32 exec_lo, exec_lo, s16
	v_mov_b32_e32 v3, 0
	s_mov_b32 s17, exec_lo
	s_mov_b32 s16, exec_lo
	v_mbcnt_lo_u32_b32 v2, s17, 0
	global_load_dwordx2 v[0:1], v3, s[6:7] offset:16
	v_cmpx_eq_u32_e32 0, v2
	s_cbranch_execz .LBB4_268
; %bb.267:
	s_bcnt1_i32_b32 s17, s17
	v_mov_b32_e32 v2, s17
	s_waitcnt vmcnt(0)
	global_atomic_add_x2 v[0:1], v[2:3], off offset:8
.LBB4_268:
	s_or_b32 exec_lo, exec_lo, s16
	s_waitcnt vmcnt(0)
	global_load_dwordx2 v[2:3], v[0:1], off offset:16
	s_waitcnt vmcnt(0)
	v_cmp_eq_u64_e32 vcc_lo, 0, v[2:3]
	s_cbranch_vccnz .LBB4_270
; %bb.269:
	global_load_dword v0, v[0:1], off offset:24
	v_mov_b32_e32 v1, 0
	s_waitcnt vmcnt(0)
	v_and_b32_e32 v4, 0x7fffff, v0
	s_waitcnt_vscnt null, 0x0
	global_store_dwordx2 v[2:3], v[0:1], off
	v_readfirstlane_b32 m0, v4
	s_sendmsg sendmsg(MSG_INTERRUPT)
.LBB4_270:
	s_or_b32 exec_lo, exec_lo, s5
	s_branch .LBB4_274
	.p2align	6
.LBB4_271:                              ;   in Loop: Header=BB4_274 Depth=1
	s_or_b32 exec_lo, exec_lo, s5
	v_readfirstlane_b32 s5, v0
	s_cmp_eq_u32 s5, 0
	s_cbranch_scc1 .LBB4_273
; %bb.272:                              ;   in Loop: Header=BB4_274 Depth=1
	s_sleep 1
	s_cbranch_execnz .LBB4_274
	s_branch .LBB4_276
	.p2align	6
.LBB4_273:
	s_branch .LBB4_276
.LBB4_274:                              ; =>This Inner Loop Header: Depth=1
	v_mov_b32_e32 v0, 1
	s_and_saveexec_b32 s5, s4
	s_cbranch_execz .LBB4_271
; %bb.275:                              ;   in Loop: Header=BB4_274 Depth=1
	global_load_dword v0, v[8:9], off offset:20 glc dlc
	s_waitcnt vmcnt(0)
	buffer_gl1_inv
	buffer_gl0_inv
	v_and_b32_e32 v0, 1, v0
	s_branch .LBB4_271
.LBB4_276:
	global_load_dwordx2 v[0:1], v[10:11], off
	s_and_saveexec_b32 s5, s4
	s_cbranch_execz .LBB4_280
; %bb.277:
	v_mov_b32_e32 v8, 0
	s_clause 0x2
	global_load_dwordx2 v[4:5], v8, s[6:7] offset:40
	global_load_dwordx2 v[9:10], v8, s[6:7] offset:24 glc dlc
	global_load_dwordx2 v[6:7], v8, s[6:7]
	s_waitcnt vmcnt(2)
	v_add_co_u32 v11, vcc_lo, v4, 1
	v_add_co_ci_u32_e32 v12, vcc_lo, 0, v5, vcc_lo
	v_add_co_u32 v2, vcc_lo, v11, s10
	v_add_co_ci_u32_e32 v3, vcc_lo, s11, v12, vcc_lo
	v_cmp_eq_u64_e32 vcc_lo, 0, v[2:3]
	v_cndmask_b32_e32 v3, v3, v12, vcc_lo
	v_cndmask_b32_e32 v2, v2, v11, vcc_lo
	v_and_b32_e32 v5, v3, v5
	v_and_b32_e32 v4, v2, v4
	v_mul_lo_u32 v5, v5, 24
	v_mul_hi_u32 v11, v4, 24
	v_mul_lo_u32 v4, v4, 24
	v_add_nc_u32_e32 v5, v11, v5
	s_waitcnt vmcnt(0)
	v_add_co_u32 v6, vcc_lo, v6, v4
	v_mov_b32_e32 v4, v9
	v_add_co_ci_u32_e32 v7, vcc_lo, v7, v5, vcc_lo
	v_mov_b32_e32 v5, v10
	global_store_dwordx2 v[6:7], v[9:10], off
	s_waitcnt_vscnt null, 0x0
	global_atomic_cmpswap_x2 v[4:5], v8, v[2:5], s[6:7] offset:24 glc
	s_waitcnt vmcnt(0)
	v_cmp_ne_u64_e32 vcc_lo, v[4:5], v[9:10]
	s_and_b32 exec_lo, exec_lo, vcc_lo
	s_cbranch_execz .LBB4_280
; %bb.278:
	s_mov_b32 s4, 0
.LBB4_279:                              ; =>This Inner Loop Header: Depth=1
	s_sleep 1
	global_store_dwordx2 v[6:7], v[4:5], off
	s_waitcnt_vscnt null, 0x0
	global_atomic_cmpswap_x2 v[9:10], v8, v[2:5], s[6:7] offset:24 glc
	s_waitcnt vmcnt(0)
	v_cmp_eq_u64_e32 vcc_lo, v[9:10], v[4:5]
	v_mov_b32_e32 v4, v9
	v_mov_b32_e32 v5, v10
	s_or_b32 s4, vcc_lo, s4
	s_andn2_b32 exec_lo, exec_lo, s4
	s_cbranch_execnz .LBB4_279
.LBB4_280:
	s_or_b32 exec_lo, exec_lo, s5
	s_getpc_b64 s[10:11]
	s_add_u32 s10, s10, .str.6@rel32@lo+4
	s_addc_u32 s11, s11, .str.6@rel32@hi+12
	s_cmp_lg_u64 s[10:11], 0
	s_cselect_b32 s24, -1, 0
	s_and_b32 vcc_lo, exec_lo, s24
	s_cbranch_vccz .LBB4_359
; %bb.281:
	s_waitcnt vmcnt(0)
	v_and_b32_e32 v33, 2, v0
	v_mov_b32_e32 v6, 0
	v_and_b32_e32 v2, -3, v0
	v_mov_b32_e32 v3, v1
	v_mov_b32_e32 v7, 2
	;; [unrolled: 1-line block ×3, first 2 shown]
	s_mov_b64 s[16:17], 3
	s_branch .LBB4_283
.LBB4_282:                              ;   in Loop: Header=BB4_283 Depth=1
	s_or_b32 exec_lo, exec_lo, s5
	s_sub_u32 s16, s16, s18
	s_subb_u32 s17, s17, s19
	s_add_u32 s10, s10, s18
	s_addc_u32 s11, s11, s19
	s_cmp_lg_u64 s[16:17], 0
	s_cbranch_scc0 .LBB4_358
.LBB4_283:                              ; =>This Loop Header: Depth=1
                                        ;     Child Loop BB4_292 Depth 2
                                        ;     Child Loop BB4_288 Depth 2
	;; [unrolled: 1-line block ×11, first 2 shown]
	v_cmp_lt_u64_e64 s4, s[16:17], 56
	v_cmp_gt_u64_e64 s5, s[16:17], 7
                                        ; implicit-def: $vgpr11_vgpr12
                                        ; implicit-def: $sgpr25
	s_and_b32 s4, s4, exec_lo
	s_cselect_b32 s19, s17, 0
	s_cselect_b32 s18, s16, 56
	s_and_b32 vcc_lo, exec_lo, s5
	s_mov_b32 s4, -1
	s_cbranch_vccz .LBB4_290
; %bb.284:                              ;   in Loop: Header=BB4_283 Depth=1
	s_andn2_b32 vcc_lo, exec_lo, s4
	s_mov_b64 s[4:5], s[10:11]
	s_cbranch_vccz .LBB4_294
.LBB4_285:                              ;   in Loop: Header=BB4_283 Depth=1
	s_cmp_gt_u32 s25, 7
	s_cbranch_scc1 .LBB4_295
.LBB4_286:                              ;   in Loop: Header=BB4_283 Depth=1
	v_mov_b32_e32 v13, 0
	v_mov_b32_e32 v14, 0
	s_cmp_eq_u32 s25, 0
	s_cbranch_scc1 .LBB4_289
; %bb.287:                              ;   in Loop: Header=BB4_283 Depth=1
	s_mov_b64 s[20:21], 0
	s_mov_b64 s[22:23], 0
.LBB4_288:                              ;   Parent Loop BB4_283 Depth=1
                                        ; =>  This Inner Loop Header: Depth=2
	s_add_u32 s26, s4, s22
	s_addc_u32 s27, s5, s23
	s_add_u32 s22, s22, 1
	global_load_ubyte v4, v6, s[26:27]
	s_addc_u32 s23, s23, 0
	s_waitcnt vmcnt(0)
	v_and_b32_e32 v5, 0xffff, v4
	v_lshlrev_b64 v[4:5], s20, v[5:6]
	s_add_u32 s20, s20, 8
	s_addc_u32 s21, s21, 0
	s_cmp_lg_u32 s25, s22
	v_or_b32_e32 v13, v4, v13
	v_or_b32_e32 v14, v5, v14
	s_cbranch_scc1 .LBB4_288
.LBB4_289:                              ;   in Loop: Header=BB4_283 Depth=1
	s_mov_b32 s26, 0
	s_cbranch_execz .LBB4_296
	s_branch .LBB4_297
.LBB4_290:                              ;   in Loop: Header=BB4_283 Depth=1
	v_mov_b32_e32 v11, 0
	v_mov_b32_e32 v12, 0
	s_cmp_eq_u64 s[16:17], 0
	s_mov_b64 s[4:5], 0
	s_cbranch_scc1 .LBB4_293
; %bb.291:                              ;   in Loop: Header=BB4_283 Depth=1
	v_mov_b32_e32 v11, 0
	v_mov_b32_e32 v12, 0
	s_lshl_b64 s[20:21], s[18:19], 3
	s_mov_b64 s[22:23], s[10:11]
.LBB4_292:                              ;   Parent Loop BB4_283 Depth=1
                                        ; =>  This Inner Loop Header: Depth=2
	global_load_ubyte v4, v6, s[22:23]
	s_waitcnt vmcnt(0)
	v_and_b32_e32 v5, 0xffff, v4
	v_lshlrev_b64 v[4:5], s4, v[5:6]
	s_add_u32 s4, s4, 8
	s_addc_u32 s5, s5, 0
	s_add_u32 s22, s22, 1
	s_addc_u32 s23, s23, 0
	s_cmp_lg_u32 s20, s4
	v_or_b32_e32 v11, v4, v11
	v_or_b32_e32 v12, v5, v12
	s_cbranch_scc1 .LBB4_292
.LBB4_293:                              ;   in Loop: Header=BB4_283 Depth=1
	s_mov_b32 s25, 0
	s_mov_b64 s[4:5], s[10:11]
	s_cbranch_execnz .LBB4_285
.LBB4_294:                              ;   in Loop: Header=BB4_283 Depth=1
	global_load_dwordx2 v[11:12], v6, s[10:11]
	s_add_i32 s25, s18, -8
	s_add_u32 s4, s10, 8
	s_addc_u32 s5, s11, 0
	s_cmp_gt_u32 s25, 7
	s_cbranch_scc0 .LBB4_286
.LBB4_295:                              ;   in Loop: Header=BB4_283 Depth=1
                                        ; implicit-def: $vgpr13_vgpr14
                                        ; implicit-def: $sgpr26
.LBB4_296:                              ;   in Loop: Header=BB4_283 Depth=1
	global_load_dwordx2 v[13:14], v6, s[4:5]
	s_add_i32 s26, s25, -8
	s_add_u32 s4, s4, 8
	s_addc_u32 s5, s5, 0
.LBB4_297:                              ;   in Loop: Header=BB4_283 Depth=1
	s_cmp_gt_u32 s26, 7
	s_cbranch_scc1 .LBB4_302
; %bb.298:                              ;   in Loop: Header=BB4_283 Depth=1
	v_mov_b32_e32 v15, 0
	v_mov_b32_e32 v16, 0
	s_cmp_eq_u32 s26, 0
	s_cbranch_scc1 .LBB4_301
; %bb.299:                              ;   in Loop: Header=BB4_283 Depth=1
	s_mov_b64 s[20:21], 0
	s_mov_b64 s[22:23], 0
.LBB4_300:                              ;   Parent Loop BB4_283 Depth=1
                                        ; =>  This Inner Loop Header: Depth=2
	s_add_u32 s28, s4, s22
	s_addc_u32 s29, s5, s23
	s_add_u32 s22, s22, 1
	global_load_ubyte v4, v6, s[28:29]
	s_addc_u32 s23, s23, 0
	s_waitcnt vmcnt(0)
	v_and_b32_e32 v5, 0xffff, v4
	v_lshlrev_b64 v[4:5], s20, v[5:6]
	s_add_u32 s20, s20, 8
	s_addc_u32 s21, s21, 0
	s_cmp_lg_u32 s26, s22
	v_or_b32_e32 v15, v4, v15
	v_or_b32_e32 v16, v5, v16
	s_cbranch_scc1 .LBB4_300
.LBB4_301:                              ;   in Loop: Header=BB4_283 Depth=1
	s_mov_b32 s25, 0
	s_cbranch_execz .LBB4_303
	s_branch .LBB4_304
.LBB4_302:                              ;   in Loop: Header=BB4_283 Depth=1
                                        ; implicit-def: $sgpr25
.LBB4_303:                              ;   in Loop: Header=BB4_283 Depth=1
	global_load_dwordx2 v[15:16], v6, s[4:5]
	s_add_i32 s25, s26, -8
	s_add_u32 s4, s4, 8
	s_addc_u32 s5, s5, 0
.LBB4_304:                              ;   in Loop: Header=BB4_283 Depth=1
	s_cmp_gt_u32 s25, 7
	s_cbranch_scc1 .LBB4_309
; %bb.305:                              ;   in Loop: Header=BB4_283 Depth=1
	v_mov_b32_e32 v17, 0
	v_mov_b32_e32 v18, 0
	s_cmp_eq_u32 s25, 0
	s_cbranch_scc1 .LBB4_308
; %bb.306:                              ;   in Loop: Header=BB4_283 Depth=1
	s_mov_b64 s[20:21], 0
	s_mov_b64 s[22:23], 0
.LBB4_307:                              ;   Parent Loop BB4_283 Depth=1
                                        ; =>  This Inner Loop Header: Depth=2
	s_add_u32 s26, s4, s22
	s_addc_u32 s27, s5, s23
	s_add_u32 s22, s22, 1
	global_load_ubyte v4, v6, s[26:27]
	s_addc_u32 s23, s23, 0
	s_waitcnt vmcnt(0)
	v_and_b32_e32 v5, 0xffff, v4
	v_lshlrev_b64 v[4:5], s20, v[5:6]
	s_add_u32 s20, s20, 8
	s_addc_u32 s21, s21, 0
	s_cmp_lg_u32 s25, s22
	v_or_b32_e32 v17, v4, v17
	v_or_b32_e32 v18, v5, v18
	s_cbranch_scc1 .LBB4_307
.LBB4_308:                              ;   in Loop: Header=BB4_283 Depth=1
	s_mov_b32 s26, 0
	s_cbranch_execz .LBB4_310
	s_branch .LBB4_311
.LBB4_309:                              ;   in Loop: Header=BB4_283 Depth=1
                                        ; implicit-def: $vgpr17_vgpr18
                                        ; implicit-def: $sgpr26
.LBB4_310:                              ;   in Loop: Header=BB4_283 Depth=1
	global_load_dwordx2 v[17:18], v6, s[4:5]
	s_add_i32 s26, s25, -8
	s_add_u32 s4, s4, 8
	s_addc_u32 s5, s5, 0
.LBB4_311:                              ;   in Loop: Header=BB4_283 Depth=1
	s_cmp_gt_u32 s26, 7
	s_cbranch_scc1 .LBB4_316
; %bb.312:                              ;   in Loop: Header=BB4_283 Depth=1
	v_mov_b32_e32 v19, 0
	v_mov_b32_e32 v20, 0
	s_cmp_eq_u32 s26, 0
	s_cbranch_scc1 .LBB4_315
; %bb.313:                              ;   in Loop: Header=BB4_283 Depth=1
	s_mov_b64 s[20:21], 0
	s_mov_b64 s[22:23], 0
.LBB4_314:                              ;   Parent Loop BB4_283 Depth=1
                                        ; =>  This Inner Loop Header: Depth=2
	s_add_u32 s28, s4, s22
	s_addc_u32 s29, s5, s23
	s_add_u32 s22, s22, 1
	global_load_ubyte v4, v6, s[28:29]
	s_addc_u32 s23, s23, 0
	s_waitcnt vmcnt(0)
	v_and_b32_e32 v5, 0xffff, v4
	v_lshlrev_b64 v[4:5], s20, v[5:6]
	s_add_u32 s20, s20, 8
	s_addc_u32 s21, s21, 0
	s_cmp_lg_u32 s26, s22
	v_or_b32_e32 v19, v4, v19
	v_or_b32_e32 v20, v5, v20
	s_cbranch_scc1 .LBB4_314
.LBB4_315:                              ;   in Loop: Header=BB4_283 Depth=1
	s_mov_b32 s25, 0
	s_cbranch_execz .LBB4_317
	s_branch .LBB4_318
.LBB4_316:                              ;   in Loop: Header=BB4_283 Depth=1
                                        ; implicit-def: $sgpr25
.LBB4_317:                              ;   in Loop: Header=BB4_283 Depth=1
	global_load_dwordx2 v[19:20], v6, s[4:5]
	s_add_i32 s25, s26, -8
	s_add_u32 s4, s4, 8
	s_addc_u32 s5, s5, 0
.LBB4_318:                              ;   in Loop: Header=BB4_283 Depth=1
	s_cmp_gt_u32 s25, 7
	s_cbranch_scc1 .LBB4_323
; %bb.319:                              ;   in Loop: Header=BB4_283 Depth=1
	v_mov_b32_e32 v21, 0
	v_mov_b32_e32 v22, 0
	s_cmp_eq_u32 s25, 0
	s_cbranch_scc1 .LBB4_322
; %bb.320:                              ;   in Loop: Header=BB4_283 Depth=1
	s_mov_b64 s[20:21], 0
	s_mov_b64 s[22:23], 0
.LBB4_321:                              ;   Parent Loop BB4_283 Depth=1
                                        ; =>  This Inner Loop Header: Depth=2
	s_add_u32 s26, s4, s22
	s_addc_u32 s27, s5, s23
	s_add_u32 s22, s22, 1
	global_load_ubyte v4, v6, s[26:27]
	s_addc_u32 s23, s23, 0
	s_waitcnt vmcnt(0)
	v_and_b32_e32 v5, 0xffff, v4
	v_lshlrev_b64 v[4:5], s20, v[5:6]
	s_add_u32 s20, s20, 8
	s_addc_u32 s21, s21, 0
	s_cmp_lg_u32 s25, s22
	v_or_b32_e32 v21, v4, v21
	v_or_b32_e32 v22, v5, v22
	s_cbranch_scc1 .LBB4_321
.LBB4_322:                              ;   in Loop: Header=BB4_283 Depth=1
	s_mov_b32 s26, 0
	s_cbranch_execz .LBB4_324
	s_branch .LBB4_325
.LBB4_323:                              ;   in Loop: Header=BB4_283 Depth=1
                                        ; implicit-def: $vgpr21_vgpr22
                                        ; implicit-def: $sgpr26
.LBB4_324:                              ;   in Loop: Header=BB4_283 Depth=1
	global_load_dwordx2 v[21:22], v6, s[4:5]
	s_add_i32 s26, s25, -8
	s_add_u32 s4, s4, 8
	s_addc_u32 s5, s5, 0
.LBB4_325:                              ;   in Loop: Header=BB4_283 Depth=1
	s_cmp_gt_u32 s26, 7
	s_cbranch_scc1 .LBB4_330
; %bb.326:                              ;   in Loop: Header=BB4_283 Depth=1
	v_mov_b32_e32 v23, 0
	v_mov_b32_e32 v24, 0
	s_cmp_eq_u32 s26, 0
	s_cbranch_scc1 .LBB4_329
; %bb.327:                              ;   in Loop: Header=BB4_283 Depth=1
	s_mov_b64 s[20:21], 0
	s_mov_b64 s[22:23], s[4:5]
.LBB4_328:                              ;   Parent Loop BB4_283 Depth=1
                                        ; =>  This Inner Loop Header: Depth=2
	global_load_ubyte v4, v6, s[22:23]
	s_add_i32 s26, s26, -1
	s_waitcnt vmcnt(0)
	v_and_b32_e32 v5, 0xffff, v4
	v_lshlrev_b64 v[4:5], s20, v[5:6]
	s_add_u32 s20, s20, 8
	s_addc_u32 s21, s21, 0
	s_add_u32 s22, s22, 1
	s_addc_u32 s23, s23, 0
	s_cmp_lg_u32 s26, 0
	v_or_b32_e32 v23, v4, v23
	v_or_b32_e32 v24, v5, v24
	s_cbranch_scc1 .LBB4_328
.LBB4_329:                              ;   in Loop: Header=BB4_283 Depth=1
	s_cbranch_execz .LBB4_331
	s_branch .LBB4_332
.LBB4_330:                              ;   in Loop: Header=BB4_283 Depth=1
.LBB4_331:                              ;   in Loop: Header=BB4_283 Depth=1
	global_load_dwordx2 v[23:24], v6, s[4:5]
.LBB4_332:                              ;   in Loop: Header=BB4_283 Depth=1
	v_readfirstlane_b32 s4, v32
	s_waitcnt vmcnt(0)
	v_mov_b32_e32 v4, 0
	v_mov_b32_e32 v5, 0
	v_cmp_eq_u32_e64 s4, s4, v32
	s_and_saveexec_b32 s5, s4
	s_cbranch_execz .LBB4_338
; %bb.333:                              ;   in Loop: Header=BB4_283 Depth=1
	global_load_dwordx2 v[27:28], v6, s[6:7] offset:24 glc dlc
	s_waitcnt vmcnt(0)
	buffer_gl1_inv
	buffer_gl0_inv
	s_clause 0x1
	global_load_dwordx2 v[4:5], v6, s[6:7] offset:40
	global_load_dwordx2 v[9:10], v6, s[6:7]
	s_mov_b32 s20, exec_lo
	s_waitcnt vmcnt(1)
	v_and_b32_e32 v5, v5, v28
	v_and_b32_e32 v4, v4, v27
	v_mul_lo_u32 v5, v5, 24
	v_mul_hi_u32 v25, v4, 24
	v_mul_lo_u32 v4, v4, 24
	v_add_nc_u32_e32 v5, v25, v5
	s_waitcnt vmcnt(0)
	v_add_co_u32 v4, vcc_lo, v9, v4
	v_add_co_ci_u32_e32 v5, vcc_lo, v10, v5, vcc_lo
	global_load_dwordx2 v[25:26], v[4:5], off glc dlc
	s_waitcnt vmcnt(0)
	global_atomic_cmpswap_x2 v[4:5], v6, v[25:28], s[6:7] offset:24 glc
	s_waitcnt vmcnt(0)
	buffer_gl1_inv
	buffer_gl0_inv
	v_cmpx_ne_u64_e64 v[4:5], v[27:28]
	s_cbranch_execz .LBB4_337
; %bb.334:                              ;   in Loop: Header=BB4_283 Depth=1
	s_mov_b32 s21, 0
	.p2align	6
.LBB4_335:                              ;   Parent Loop BB4_283 Depth=1
                                        ; =>  This Inner Loop Header: Depth=2
	s_sleep 1
	s_clause 0x1
	global_load_dwordx2 v[9:10], v6, s[6:7] offset:40
	global_load_dwordx2 v[25:26], v6, s[6:7]
	v_mov_b32_e32 v28, v5
	v_mov_b32_e32 v27, v4
	s_waitcnt vmcnt(1)
	v_and_b32_e32 v4, v9, v27
	v_and_b32_e32 v9, v10, v28
	s_waitcnt vmcnt(0)
	v_mad_u64_u32 v[4:5], null, v4, 24, v[25:26]
	v_mad_u64_u32 v[9:10], null, v9, 24, v[5:6]
	v_mov_b32_e32 v5, v9
	global_load_dwordx2 v[25:26], v[4:5], off glc dlc
	s_waitcnt vmcnt(0)
	global_atomic_cmpswap_x2 v[4:5], v6, v[25:28], s[6:7] offset:24 glc
	s_waitcnt vmcnt(0)
	buffer_gl1_inv
	buffer_gl0_inv
	v_cmp_eq_u64_e32 vcc_lo, v[4:5], v[27:28]
	s_or_b32 s21, vcc_lo, s21
	s_andn2_b32 exec_lo, exec_lo, s21
	s_cbranch_execnz .LBB4_335
; %bb.336:                              ;   in Loop: Header=BB4_283 Depth=1
	s_or_b32 exec_lo, exec_lo, s21
.LBB4_337:                              ;   in Loop: Header=BB4_283 Depth=1
	s_or_b32 exec_lo, exec_lo, s20
.LBB4_338:                              ;   in Loop: Header=BB4_283 Depth=1
	s_or_b32 exec_lo, exec_lo, s5
	s_clause 0x1
	global_load_dwordx2 v[9:10], v6, s[6:7] offset:40
	global_load_dwordx4 v[25:28], v6, s[6:7]
	v_readfirstlane_b32 s20, v4
	v_readfirstlane_b32 s21, v5
	s_mov_b32 s5, exec_lo
	s_waitcnt vmcnt(1)
	v_readfirstlane_b32 s22, v9
	v_readfirstlane_b32 s23, v10
	s_and_b64 s[22:23], s[20:21], s[22:23]
	s_mul_i32 s25, s23, 24
	s_mul_hi_u32 s26, s22, 24
	s_mul_i32 s27, s22, 24
	s_add_i32 s26, s26, s25
	s_waitcnt vmcnt(0)
	v_add_co_u32 v29, vcc_lo, v25, s27
	v_add_co_ci_u32_e32 v30, vcc_lo, s26, v26, vcc_lo
	s_and_saveexec_b32 s25, s4
	s_cbranch_execz .LBB4_340
; %bb.339:                              ;   in Loop: Header=BB4_283 Depth=1
	v_mov_b32_e32 v5, s5
	global_store_dwordx4 v[29:30], v[5:8], off offset:8
.LBB4_340:                              ;   in Loop: Header=BB4_283 Depth=1
	s_or_b32 exec_lo, exec_lo, s25
	s_lshl_b64 s[22:23], s[22:23], 12
	v_cmp_gt_u64_e64 vcc_lo, s[16:17], 56
	v_or_b32_e32 v5, v2, v33
	v_add_co_u32 v27, s5, v27, s22
	v_add_co_ci_u32_e64 v28, s5, s23, v28, s5
	s_lshl_b32 s5, s18, 2
	v_or_b32_e32 v4, 0, v3
	v_cndmask_b32_e32 v2, v5, v2, vcc_lo
	s_add_i32 s5, s5, 28
	v_readfirstlane_b32 s22, v27
	s_and_b32 s5, s5, 0x1e0
	v_cndmask_b32_e32 v10, v4, v3, vcc_lo
	v_readfirstlane_b32 s23, v28
	v_and_or_b32 v9, 0xffffff1f, v2, s5
	global_store_dwordx4 v31, v[9:12], s[22:23]
	global_store_dwordx4 v31, v[13:16], s[22:23] offset:16
	global_store_dwordx4 v31, v[17:20], s[22:23] offset:32
	;; [unrolled: 1-line block ×3, first 2 shown]
	s_and_saveexec_b32 s5, s4
	s_cbranch_execz .LBB4_348
; %bb.341:                              ;   in Loop: Header=BB4_283 Depth=1
	s_clause 0x1
	global_load_dwordx2 v[13:14], v6, s[6:7] offset:32 glc dlc
	global_load_dwordx2 v[2:3], v6, s[6:7] offset:40
	v_mov_b32_e32 v11, s20
	v_mov_b32_e32 v12, s21
	s_waitcnt vmcnt(0)
	v_readfirstlane_b32 s22, v2
	v_readfirstlane_b32 s23, v3
	s_and_b64 s[22:23], s[22:23], s[20:21]
	s_mul_i32 s23, s23, 24
	s_mul_hi_u32 s25, s22, 24
	s_mul_i32 s22, s22, 24
	s_add_i32 s25, s25, s23
	v_add_co_u32 v9, vcc_lo, v25, s22
	v_add_co_ci_u32_e32 v10, vcc_lo, s25, v26, vcc_lo
	s_mov_b32 s22, exec_lo
	global_store_dwordx2 v[9:10], v[13:14], off
	s_waitcnt_vscnt null, 0x0
	global_atomic_cmpswap_x2 v[4:5], v6, v[11:14], s[6:7] offset:32 glc
	s_waitcnt vmcnt(0)
	v_cmpx_ne_u64_e64 v[4:5], v[13:14]
	s_cbranch_execz .LBB4_344
; %bb.342:                              ;   in Loop: Header=BB4_283 Depth=1
	s_mov_b32 s23, 0
.LBB4_343:                              ;   Parent Loop BB4_283 Depth=1
                                        ; =>  This Inner Loop Header: Depth=2
	v_mov_b32_e32 v2, s20
	v_mov_b32_e32 v3, s21
	s_sleep 1
	global_store_dwordx2 v[9:10], v[4:5], off
	s_waitcnt_vscnt null, 0x0
	global_atomic_cmpswap_x2 v[2:3], v6, v[2:5], s[6:7] offset:32 glc
	s_waitcnt vmcnt(0)
	v_cmp_eq_u64_e32 vcc_lo, v[2:3], v[4:5]
	v_mov_b32_e32 v5, v3
	v_mov_b32_e32 v4, v2
	s_or_b32 s23, vcc_lo, s23
	s_andn2_b32 exec_lo, exec_lo, s23
	s_cbranch_execnz .LBB4_343
.LBB4_344:                              ;   in Loop: Header=BB4_283 Depth=1
	s_or_b32 exec_lo, exec_lo, s22
	global_load_dwordx2 v[2:3], v6, s[6:7] offset:16
	s_mov_b32 s23, exec_lo
	s_mov_b32 s22, exec_lo
	v_mbcnt_lo_u32_b32 v4, s23, 0
	v_cmpx_eq_u32_e32 0, v4
	s_cbranch_execz .LBB4_346
; %bb.345:                              ;   in Loop: Header=BB4_283 Depth=1
	s_bcnt1_i32_b32 s23, s23
	v_mov_b32_e32 v5, s23
	s_waitcnt vmcnt(0)
	global_atomic_add_x2 v[2:3], v[5:6], off offset:8
.LBB4_346:                              ;   in Loop: Header=BB4_283 Depth=1
	s_or_b32 exec_lo, exec_lo, s22
	s_waitcnt vmcnt(0)
	global_load_dwordx2 v[9:10], v[2:3], off offset:16
	s_waitcnt vmcnt(0)
	v_cmp_eq_u64_e32 vcc_lo, 0, v[9:10]
	s_cbranch_vccnz .LBB4_348
; %bb.347:                              ;   in Loop: Header=BB4_283 Depth=1
	global_load_dword v5, v[2:3], off offset:24
	s_waitcnt vmcnt(0)
	v_and_b32_e32 v2, 0x7fffff, v5
	s_waitcnt_vscnt null, 0x0
	global_store_dwordx2 v[9:10], v[5:6], off
	v_readfirstlane_b32 m0, v2
	s_sendmsg sendmsg(MSG_INTERRUPT)
.LBB4_348:                              ;   in Loop: Header=BB4_283 Depth=1
	s_or_b32 exec_lo, exec_lo, s5
	v_add_co_u32 v2, vcc_lo, v27, v31
	v_add_co_ci_u32_e32 v3, vcc_lo, 0, v28, vcc_lo
	s_branch .LBB4_352
	.p2align	6
.LBB4_349:                              ;   in Loop: Header=BB4_352 Depth=2
	s_or_b32 exec_lo, exec_lo, s5
	v_readfirstlane_b32 s5, v4
	s_cmp_eq_u32 s5, 0
	s_cbranch_scc1 .LBB4_351
; %bb.350:                              ;   in Loop: Header=BB4_352 Depth=2
	s_sleep 1
	s_cbranch_execnz .LBB4_352
	s_branch .LBB4_354
	.p2align	6
.LBB4_351:                              ;   in Loop: Header=BB4_283 Depth=1
	s_branch .LBB4_354
.LBB4_352:                              ;   Parent Loop BB4_283 Depth=1
                                        ; =>  This Inner Loop Header: Depth=2
	v_mov_b32_e32 v4, 1
	s_and_saveexec_b32 s5, s4
	s_cbranch_execz .LBB4_349
; %bb.353:                              ;   in Loop: Header=BB4_352 Depth=2
	global_load_dword v4, v[29:30], off offset:20 glc dlc
	s_waitcnt vmcnt(0)
	buffer_gl1_inv
	buffer_gl0_inv
	v_and_b32_e32 v4, 1, v4
	s_branch .LBB4_349
.LBB4_354:                              ;   in Loop: Header=BB4_283 Depth=1
	global_load_dwordx4 v[2:5], v[2:3], off
	s_and_saveexec_b32 s5, s4
	s_cbranch_execz .LBB4_282
; %bb.355:                              ;   in Loop: Header=BB4_283 Depth=1
	s_clause 0x2
	global_load_dwordx2 v[4:5], v6, s[6:7] offset:40
	global_load_dwordx2 v[13:14], v6, s[6:7] offset:24 glc dlc
	global_load_dwordx2 v[11:12], v6, s[6:7]
	s_waitcnt vmcnt(2)
	v_add_co_u32 v15, vcc_lo, v4, 1
	v_add_co_ci_u32_e32 v16, vcc_lo, 0, v5, vcc_lo
	v_add_co_u32 v9, vcc_lo, v15, s20
	v_add_co_ci_u32_e32 v10, vcc_lo, s21, v16, vcc_lo
	v_cmp_eq_u64_e32 vcc_lo, 0, v[9:10]
	v_cndmask_b32_e32 v10, v10, v16, vcc_lo
	v_cndmask_b32_e32 v9, v9, v15, vcc_lo
	v_and_b32_e32 v5, v10, v5
	v_and_b32_e32 v4, v9, v4
	v_mul_lo_u32 v5, v5, 24
	v_mul_hi_u32 v15, v4, 24
	v_mul_lo_u32 v4, v4, 24
	v_add_nc_u32_e32 v5, v15, v5
	s_waitcnt vmcnt(0)
	v_add_co_u32 v4, vcc_lo, v11, v4
	v_mov_b32_e32 v11, v13
	v_add_co_ci_u32_e32 v5, vcc_lo, v12, v5, vcc_lo
	v_mov_b32_e32 v12, v14
	global_store_dwordx2 v[4:5], v[13:14], off
	s_waitcnt_vscnt null, 0x0
	global_atomic_cmpswap_x2 v[11:12], v6, v[9:12], s[6:7] offset:24 glc
	s_waitcnt vmcnt(0)
	v_cmp_ne_u64_e32 vcc_lo, v[11:12], v[13:14]
	s_and_b32 exec_lo, exec_lo, vcc_lo
	s_cbranch_execz .LBB4_282
; %bb.356:                              ;   in Loop: Header=BB4_283 Depth=1
	s_mov_b32 s4, 0
.LBB4_357:                              ;   Parent Loop BB4_283 Depth=1
                                        ; =>  This Inner Loop Header: Depth=2
	s_sleep 1
	global_store_dwordx2 v[4:5], v[11:12], off
	s_waitcnt_vscnt null, 0x0
	global_atomic_cmpswap_x2 v[13:14], v6, v[9:12], s[6:7] offset:24 glc
	s_waitcnt vmcnt(0)
	v_cmp_eq_u64_e32 vcc_lo, v[13:14], v[11:12]
	v_mov_b32_e32 v11, v13
	v_mov_b32_e32 v12, v14
	s_or_b32 s4, vcc_lo, s4
	s_andn2_b32 exec_lo, exec_lo, s4
	s_cbranch_execnz .LBB4_357
	s_branch .LBB4_282
.LBB4_358:
	s_branch .LBB4_387
.LBB4_359:
                                        ; implicit-def: $vgpr2_vgpr3
	s_cbranch_execz .LBB4_387
; %bb.360:
	v_readfirstlane_b32 s4, v32
	v_mov_b32_e32 v8, 0
	v_mov_b32_e32 v9, 0
	v_cmp_eq_u32_e64 s4, s4, v32
	s_and_saveexec_b32 s5, s4
	s_cbranch_execz .LBB4_366
; %bb.361:
	s_waitcnt vmcnt(0)
	v_mov_b32_e32 v2, 0
	s_mov_b32 s10, exec_lo
	global_load_dwordx2 v[5:6], v2, s[6:7] offset:24 glc dlc
	s_waitcnt vmcnt(0)
	buffer_gl1_inv
	buffer_gl0_inv
	s_clause 0x1
	global_load_dwordx2 v[3:4], v2, s[6:7] offset:40
	global_load_dwordx2 v[7:8], v2, s[6:7]
	s_waitcnt vmcnt(1)
	v_and_b32_e32 v4, v4, v6
	v_and_b32_e32 v3, v3, v5
	v_mul_lo_u32 v4, v4, 24
	v_mul_hi_u32 v9, v3, 24
	v_mul_lo_u32 v3, v3, 24
	v_add_nc_u32_e32 v4, v9, v4
	s_waitcnt vmcnt(0)
	v_add_co_u32 v3, vcc_lo, v7, v3
	v_add_co_ci_u32_e32 v4, vcc_lo, v8, v4, vcc_lo
	global_load_dwordx2 v[3:4], v[3:4], off glc dlc
	s_waitcnt vmcnt(0)
	global_atomic_cmpswap_x2 v[8:9], v2, v[3:6], s[6:7] offset:24 glc
	s_waitcnt vmcnt(0)
	buffer_gl1_inv
	buffer_gl0_inv
	v_cmpx_ne_u64_e64 v[8:9], v[5:6]
	s_cbranch_execz .LBB4_365
; %bb.362:
	s_mov_b32 s11, 0
	.p2align	6
.LBB4_363:                              ; =>This Inner Loop Header: Depth=1
	s_sleep 1
	s_clause 0x1
	global_load_dwordx2 v[3:4], v2, s[6:7] offset:40
	global_load_dwordx2 v[10:11], v2, s[6:7]
	v_mov_b32_e32 v5, v8
	v_mov_b32_e32 v6, v9
	s_waitcnt vmcnt(1)
	v_and_b32_e32 v3, v3, v5
	v_and_b32_e32 v4, v4, v6
	s_waitcnt vmcnt(0)
	v_mad_u64_u32 v[7:8], null, v3, 24, v[10:11]
	v_mov_b32_e32 v3, v8
	v_mad_u64_u32 v[3:4], null, v4, 24, v[3:4]
	v_mov_b32_e32 v8, v3
	global_load_dwordx2 v[3:4], v[7:8], off glc dlc
	s_waitcnt vmcnt(0)
	global_atomic_cmpswap_x2 v[8:9], v2, v[3:6], s[6:7] offset:24 glc
	s_waitcnt vmcnt(0)
	buffer_gl1_inv
	buffer_gl0_inv
	v_cmp_eq_u64_e32 vcc_lo, v[8:9], v[5:6]
	s_or_b32 s11, vcc_lo, s11
	s_andn2_b32 exec_lo, exec_lo, s11
	s_cbranch_execnz .LBB4_363
; %bb.364:
	s_or_b32 exec_lo, exec_lo, s11
.LBB4_365:
	s_or_b32 exec_lo, exec_lo, s10
.LBB4_366:
	s_or_b32 exec_lo, exec_lo, s5
	s_waitcnt vmcnt(0)
	v_mov_b32_e32 v2, 0
	v_readfirstlane_b32 s10, v8
	v_readfirstlane_b32 s11, v9
	s_mov_b32 s5, exec_lo
	s_clause 0x1
	global_load_dwordx2 v[10:11], v2, s[6:7] offset:40
	global_load_dwordx4 v[4:7], v2, s[6:7]
	s_waitcnt vmcnt(1)
	v_readfirstlane_b32 s16, v10
	v_readfirstlane_b32 s17, v11
	s_and_b64 s[16:17], s[10:11], s[16:17]
	s_mul_i32 s18, s17, 24
	s_mul_hi_u32 s19, s16, 24
	s_mul_i32 s20, s16, 24
	s_add_i32 s19, s19, s18
	s_waitcnt vmcnt(0)
	v_add_co_u32 v8, vcc_lo, v4, s20
	v_add_co_ci_u32_e32 v9, vcc_lo, s19, v5, vcc_lo
	s_and_saveexec_b32 s18, s4
	s_cbranch_execz .LBB4_368
; %bb.367:
	v_mov_b32_e32 v10, s5
	v_mov_b32_e32 v11, v2
	;; [unrolled: 1-line block ×4, first 2 shown]
	global_store_dwordx4 v[8:9], v[10:13], off offset:8
.LBB4_368:
	s_or_b32 exec_lo, exec_lo, s18
	s_lshl_b64 s[16:17], s[16:17], 12
	v_and_or_b32 v0, 0xffffff1f, v0, 32
	v_add_co_u32 v6, vcc_lo, v6, s16
	v_add_co_ci_u32_e32 v7, vcc_lo, s17, v7, vcc_lo
	s_mov_b32 s16, 0
	v_readfirstlane_b32 s20, v6
	v_add_co_u32 v6, vcc_lo, v6, v31
	s_mov_b32 s17, s16
	s_mov_b32 s18, s16
	;; [unrolled: 1-line block ×3, first 2 shown]
	v_mov_b32_e32 v3, v2
	v_readfirstlane_b32 s21, v7
	v_mov_b32_e32 v10, s16
	v_add_co_ci_u32_e32 v7, vcc_lo, 0, v7, vcc_lo
	v_mov_b32_e32 v11, s17
	v_mov_b32_e32 v12, s18
	;; [unrolled: 1-line block ×3, first 2 shown]
	global_store_dwordx4 v31, v[0:3], s[20:21]
	global_store_dwordx4 v31, v[10:13], s[20:21] offset:16
	global_store_dwordx4 v31, v[10:13], s[20:21] offset:32
	;; [unrolled: 1-line block ×3, first 2 shown]
	s_and_saveexec_b32 s5, s4
	s_cbranch_execz .LBB4_376
; %bb.369:
	v_mov_b32_e32 v10, 0
	v_mov_b32_e32 v11, s10
	;; [unrolled: 1-line block ×3, first 2 shown]
	s_clause 0x1
	global_load_dwordx2 v[13:14], v10, s[6:7] offset:32 glc dlc
	global_load_dwordx2 v[0:1], v10, s[6:7] offset:40
	s_waitcnt vmcnt(0)
	v_readfirstlane_b32 s16, v0
	v_readfirstlane_b32 s17, v1
	s_and_b64 s[16:17], s[16:17], s[10:11]
	s_mul_i32 s17, s17, 24
	s_mul_hi_u32 s18, s16, 24
	s_mul_i32 s16, s16, 24
	s_add_i32 s18, s18, s17
	v_add_co_u32 v4, vcc_lo, v4, s16
	v_add_co_ci_u32_e32 v5, vcc_lo, s18, v5, vcc_lo
	s_mov_b32 s16, exec_lo
	global_store_dwordx2 v[4:5], v[13:14], off
	s_waitcnt_vscnt null, 0x0
	global_atomic_cmpswap_x2 v[2:3], v10, v[11:14], s[6:7] offset:32 glc
	s_waitcnt vmcnt(0)
	v_cmpx_ne_u64_e64 v[2:3], v[13:14]
	s_cbranch_execz .LBB4_372
; %bb.370:
	s_mov_b32 s17, 0
.LBB4_371:                              ; =>This Inner Loop Header: Depth=1
	v_mov_b32_e32 v0, s10
	v_mov_b32_e32 v1, s11
	s_sleep 1
	global_store_dwordx2 v[4:5], v[2:3], off
	s_waitcnt_vscnt null, 0x0
	global_atomic_cmpswap_x2 v[0:1], v10, v[0:3], s[6:7] offset:32 glc
	s_waitcnt vmcnt(0)
	v_cmp_eq_u64_e32 vcc_lo, v[0:1], v[2:3]
	v_mov_b32_e32 v3, v1
	v_mov_b32_e32 v2, v0
	s_or_b32 s17, vcc_lo, s17
	s_andn2_b32 exec_lo, exec_lo, s17
	s_cbranch_execnz .LBB4_371
.LBB4_372:
	s_or_b32 exec_lo, exec_lo, s16
	v_mov_b32_e32 v3, 0
	s_mov_b32 s17, exec_lo
	s_mov_b32 s16, exec_lo
	v_mbcnt_lo_u32_b32 v2, s17, 0
	global_load_dwordx2 v[0:1], v3, s[6:7] offset:16
	v_cmpx_eq_u32_e32 0, v2
	s_cbranch_execz .LBB4_374
; %bb.373:
	s_bcnt1_i32_b32 s17, s17
	v_mov_b32_e32 v2, s17
	s_waitcnt vmcnt(0)
	global_atomic_add_x2 v[0:1], v[2:3], off offset:8
.LBB4_374:
	s_or_b32 exec_lo, exec_lo, s16
	s_waitcnt vmcnt(0)
	global_load_dwordx2 v[2:3], v[0:1], off offset:16
	s_waitcnt vmcnt(0)
	v_cmp_eq_u64_e32 vcc_lo, 0, v[2:3]
	s_cbranch_vccnz .LBB4_376
; %bb.375:
	global_load_dword v0, v[0:1], off offset:24
	v_mov_b32_e32 v1, 0
	s_waitcnt vmcnt(0)
	v_and_b32_e32 v4, 0x7fffff, v0
	s_waitcnt_vscnt null, 0x0
	global_store_dwordx2 v[2:3], v[0:1], off
	v_readfirstlane_b32 m0, v4
	s_sendmsg sendmsg(MSG_INTERRUPT)
.LBB4_376:
	s_or_b32 exec_lo, exec_lo, s5
	s_branch .LBB4_380
	.p2align	6
.LBB4_377:                              ;   in Loop: Header=BB4_380 Depth=1
	s_or_b32 exec_lo, exec_lo, s5
	v_readfirstlane_b32 s5, v0
	s_cmp_eq_u32 s5, 0
	s_cbranch_scc1 .LBB4_379
; %bb.378:                              ;   in Loop: Header=BB4_380 Depth=1
	s_sleep 1
	s_cbranch_execnz .LBB4_380
	s_branch .LBB4_382
	.p2align	6
.LBB4_379:
	s_branch .LBB4_382
.LBB4_380:                              ; =>This Inner Loop Header: Depth=1
	v_mov_b32_e32 v0, 1
	s_and_saveexec_b32 s5, s4
	s_cbranch_execz .LBB4_377
; %bb.381:                              ;   in Loop: Header=BB4_380 Depth=1
	global_load_dword v0, v[8:9], off offset:20 glc dlc
	s_waitcnt vmcnt(0)
	buffer_gl1_inv
	buffer_gl0_inv
	v_and_b32_e32 v0, 1, v0
	s_branch .LBB4_377
.LBB4_382:
	global_load_dwordx2 v[2:3], v[6:7], off
	s_and_saveexec_b32 s5, s4
	s_cbranch_execz .LBB4_386
; %bb.383:
	v_mov_b32_e32 v8, 0
	s_clause 0x2
	global_load_dwordx2 v[0:1], v8, s[6:7] offset:40
	global_load_dwordx2 v[9:10], v8, s[6:7] offset:24 glc dlc
	global_load_dwordx2 v[6:7], v8, s[6:7]
	s_waitcnt vmcnt(2)
	v_add_co_u32 v11, vcc_lo, v0, 1
	v_add_co_ci_u32_e32 v12, vcc_lo, 0, v1, vcc_lo
	v_add_co_u32 v4, vcc_lo, v11, s10
	v_add_co_ci_u32_e32 v5, vcc_lo, s11, v12, vcc_lo
	v_cmp_eq_u64_e32 vcc_lo, 0, v[4:5]
	v_cndmask_b32_e32 v5, v5, v12, vcc_lo
	v_cndmask_b32_e32 v4, v4, v11, vcc_lo
	v_and_b32_e32 v1, v5, v1
	v_and_b32_e32 v0, v4, v0
	v_mul_lo_u32 v1, v1, 24
	v_mul_hi_u32 v11, v0, 24
	v_mul_lo_u32 v0, v0, 24
	v_add_nc_u32_e32 v1, v11, v1
	s_waitcnt vmcnt(0)
	v_add_co_u32 v0, vcc_lo, v6, v0
	v_mov_b32_e32 v6, v9
	v_add_co_ci_u32_e32 v1, vcc_lo, v7, v1, vcc_lo
	v_mov_b32_e32 v7, v10
	global_store_dwordx2 v[0:1], v[9:10], off
	s_waitcnt_vscnt null, 0x0
	global_atomic_cmpswap_x2 v[6:7], v8, v[4:7], s[6:7] offset:24 glc
	s_waitcnt vmcnt(0)
	v_cmp_ne_u64_e32 vcc_lo, v[6:7], v[9:10]
	s_and_b32 exec_lo, exec_lo, vcc_lo
	s_cbranch_execz .LBB4_386
; %bb.384:
	s_mov_b32 s4, 0
.LBB4_385:                              ; =>This Inner Loop Header: Depth=1
	s_sleep 1
	global_store_dwordx2 v[0:1], v[6:7], off
	s_waitcnt_vscnt null, 0x0
	global_atomic_cmpswap_x2 v[9:10], v8, v[4:7], s[6:7] offset:24 glc
	s_waitcnt vmcnt(0)
	v_cmp_eq_u64_e32 vcc_lo, v[9:10], v[6:7]
	v_mov_b32_e32 v6, v9
	v_mov_b32_e32 v7, v10
	s_or_b32 s4, vcc_lo, s4
	s_andn2_b32 exec_lo, exec_lo, s4
	s_cbranch_execnz .LBB4_385
.LBB4_386:
	s_or_b32 exec_lo, exec_lo, s5
.LBB4_387:
	v_readfirstlane_b32 s4, v32
	s_waitcnt vmcnt(0)
	v_mov_b32_e32 v0, 0
	v_mov_b32_e32 v1, 0
	v_cmp_eq_u32_e64 s4, s4, v32
	s_and_saveexec_b32 s5, s4
	s_cbranch_execz .LBB4_393
; %bb.388:
	v_mov_b32_e32 v4, 0
	s_mov_b32 s10, exec_lo
	global_load_dwordx2 v[7:8], v4, s[6:7] offset:24 glc dlc
	s_waitcnt vmcnt(0)
	buffer_gl1_inv
	buffer_gl0_inv
	s_clause 0x1
	global_load_dwordx2 v[0:1], v4, s[6:7] offset:40
	global_load_dwordx2 v[5:6], v4, s[6:7]
	s_waitcnt vmcnt(1)
	v_and_b32_e32 v1, v1, v8
	v_and_b32_e32 v0, v0, v7
	v_mul_lo_u32 v1, v1, 24
	v_mul_hi_u32 v9, v0, 24
	v_mul_lo_u32 v0, v0, 24
	v_add_nc_u32_e32 v1, v9, v1
	s_waitcnt vmcnt(0)
	v_add_co_u32 v0, vcc_lo, v5, v0
	v_add_co_ci_u32_e32 v1, vcc_lo, v6, v1, vcc_lo
	global_load_dwordx2 v[5:6], v[0:1], off glc dlc
	s_waitcnt vmcnt(0)
	global_atomic_cmpswap_x2 v[0:1], v4, v[5:8], s[6:7] offset:24 glc
	s_waitcnt vmcnt(0)
	buffer_gl1_inv
	buffer_gl0_inv
	v_cmpx_ne_u64_e64 v[0:1], v[7:8]
	s_cbranch_execz .LBB4_392
; %bb.389:
	s_mov_b32 s11, 0
	.p2align	6
.LBB4_390:                              ; =>This Inner Loop Header: Depth=1
	s_sleep 1
	s_clause 0x1
	global_load_dwordx2 v[5:6], v4, s[6:7] offset:40
	global_load_dwordx2 v[9:10], v4, s[6:7]
	v_mov_b32_e32 v8, v1
	v_mov_b32_e32 v7, v0
	s_waitcnt vmcnt(1)
	v_and_b32_e32 v0, v5, v7
	v_and_b32_e32 v5, v6, v8
	s_waitcnt vmcnt(0)
	v_mad_u64_u32 v[0:1], null, v0, 24, v[9:10]
	v_mad_u64_u32 v[5:6], null, v5, 24, v[1:2]
	v_mov_b32_e32 v1, v5
	global_load_dwordx2 v[5:6], v[0:1], off glc dlc
	s_waitcnt vmcnt(0)
	global_atomic_cmpswap_x2 v[0:1], v4, v[5:8], s[6:7] offset:24 glc
	s_waitcnt vmcnt(0)
	buffer_gl1_inv
	buffer_gl0_inv
	v_cmp_eq_u64_e32 vcc_lo, v[0:1], v[7:8]
	s_or_b32 s11, vcc_lo, s11
	s_andn2_b32 exec_lo, exec_lo, s11
	s_cbranch_execnz .LBB4_390
; %bb.391:
	s_or_b32 exec_lo, exec_lo, s11
.LBB4_392:
	s_or_b32 exec_lo, exec_lo, s10
.LBB4_393:
	s_or_b32 exec_lo, exec_lo, s5
	v_mov_b32_e32 v5, 0
	v_readfirstlane_b32 s10, v0
	v_readfirstlane_b32 s11, v1
	s_mov_b32 s5, exec_lo
	s_clause 0x1
	global_load_dwordx2 v[10:11], v5, s[6:7] offset:40
	global_load_dwordx4 v[6:9], v5, s[6:7]
	s_waitcnt vmcnt(1)
	v_readfirstlane_b32 s16, v10
	v_readfirstlane_b32 s17, v11
	s_and_b64 s[16:17], s[10:11], s[16:17]
	s_mul_i32 s18, s17, 24
	s_mul_hi_u32 s19, s16, 24
	s_mul_i32 s20, s16, 24
	s_add_i32 s19, s19, s18
	s_waitcnt vmcnt(0)
	v_add_co_u32 v10, vcc_lo, v6, s20
	v_add_co_ci_u32_e32 v11, vcc_lo, s19, v7, vcc_lo
	s_and_saveexec_b32 s18, s4
	s_cbranch_execz .LBB4_395
; %bb.394:
	v_mov_b32_e32 v4, s5
	v_mov_b32_e32 v13, v5
	;; [unrolled: 1-line block ×5, first 2 shown]
	global_store_dwordx4 v[10:11], v[12:15], off offset:8
.LBB4_395:
	s_or_b32 exec_lo, exec_lo, s18
	s_lshl_b64 s[16:17], s[16:17], 12
	v_and_or_b32 v2, 0xffffff1d, v2, 34
	v_add_co_u32 v0, vcc_lo, v8, s16
	v_add_co_ci_u32_e32 v1, vcc_lo, s17, v9, vcc_lo
	s_mov_b32 s16, 0
	v_mov_b32_e32 v4, 10
	s_mov_b32 s17, s16
	s_mov_b32 s18, s16
	;; [unrolled: 1-line block ×3, first 2 shown]
	v_readfirstlane_b32 s20, v0
	v_readfirstlane_b32 s21, v1
	v_mov_b32_e32 v12, s16
	v_mov_b32_e32 v13, s17
	;; [unrolled: 1-line block ×4, first 2 shown]
	global_store_dwordx4 v31, v[2:5], s[20:21]
	global_store_dwordx4 v31, v[12:15], s[20:21] offset:16
	global_store_dwordx4 v31, v[12:15], s[20:21] offset:32
	;; [unrolled: 1-line block ×3, first 2 shown]
	s_and_saveexec_b32 s5, s4
	s_cbranch_execz .LBB4_403
; %bb.396:
	v_mov_b32_e32 v8, 0
	v_mov_b32_e32 v12, s10
	;; [unrolled: 1-line block ×3, first 2 shown]
	s_clause 0x1
	global_load_dwordx2 v[14:15], v8, s[6:7] offset:32 glc dlc
	global_load_dwordx2 v[0:1], v8, s[6:7] offset:40
	s_waitcnt vmcnt(0)
	v_readfirstlane_b32 s16, v0
	v_readfirstlane_b32 s17, v1
	s_and_b64 s[16:17], s[16:17], s[10:11]
	s_mul_i32 s17, s17, 24
	s_mul_hi_u32 s18, s16, 24
	s_mul_i32 s16, s16, 24
	s_add_i32 s18, s18, s17
	v_add_co_u32 v4, vcc_lo, v6, s16
	v_add_co_ci_u32_e32 v5, vcc_lo, s18, v7, vcc_lo
	s_mov_b32 s16, exec_lo
	global_store_dwordx2 v[4:5], v[14:15], off
	s_waitcnt_vscnt null, 0x0
	global_atomic_cmpswap_x2 v[2:3], v8, v[12:15], s[6:7] offset:32 glc
	s_waitcnt vmcnt(0)
	v_cmpx_ne_u64_e64 v[2:3], v[14:15]
	s_cbranch_execz .LBB4_399
; %bb.397:
	s_mov_b32 s17, 0
.LBB4_398:                              ; =>This Inner Loop Header: Depth=1
	v_mov_b32_e32 v0, s10
	v_mov_b32_e32 v1, s11
	s_sleep 1
	global_store_dwordx2 v[4:5], v[2:3], off
	s_waitcnt_vscnt null, 0x0
	global_atomic_cmpswap_x2 v[0:1], v8, v[0:3], s[6:7] offset:32 glc
	s_waitcnt vmcnt(0)
	v_cmp_eq_u64_e32 vcc_lo, v[0:1], v[2:3]
	v_mov_b32_e32 v3, v1
	v_mov_b32_e32 v2, v0
	s_or_b32 s17, vcc_lo, s17
	s_andn2_b32 exec_lo, exec_lo, s17
	s_cbranch_execnz .LBB4_398
.LBB4_399:
	s_or_b32 exec_lo, exec_lo, s16
	v_mov_b32_e32 v3, 0
	s_mov_b32 s17, exec_lo
	s_mov_b32 s16, exec_lo
	v_mbcnt_lo_u32_b32 v2, s17, 0
	global_load_dwordx2 v[0:1], v3, s[6:7] offset:16
	v_cmpx_eq_u32_e32 0, v2
	s_cbranch_execz .LBB4_401
; %bb.400:
	s_bcnt1_i32_b32 s17, s17
	v_mov_b32_e32 v2, s17
	s_waitcnt vmcnt(0)
	global_atomic_add_x2 v[0:1], v[2:3], off offset:8
.LBB4_401:
	s_or_b32 exec_lo, exec_lo, s16
	s_waitcnt vmcnt(0)
	global_load_dwordx2 v[2:3], v[0:1], off offset:16
	s_waitcnt vmcnt(0)
	v_cmp_eq_u64_e32 vcc_lo, 0, v[2:3]
	s_cbranch_vccnz .LBB4_403
; %bb.402:
	global_load_dword v0, v[0:1], off offset:24
	v_mov_b32_e32 v1, 0
	s_waitcnt vmcnt(0)
	v_and_b32_e32 v4, 0x7fffff, v0
	s_waitcnt_vscnt null, 0x0
	global_store_dwordx2 v[2:3], v[0:1], off
	v_readfirstlane_b32 m0, v4
	s_sendmsg sendmsg(MSG_INTERRUPT)
.LBB4_403:
	s_or_b32 exec_lo, exec_lo, s5
	s_branch .LBB4_407
	.p2align	6
.LBB4_404:                              ;   in Loop: Header=BB4_407 Depth=1
	s_or_b32 exec_lo, exec_lo, s5
	v_readfirstlane_b32 s5, v0
	s_cmp_eq_u32 s5, 0
	s_cbranch_scc1 .LBB4_406
; %bb.405:                              ;   in Loop: Header=BB4_407 Depth=1
	s_sleep 1
	s_cbranch_execnz .LBB4_407
	s_branch .LBB4_409
	.p2align	6
.LBB4_406:
	s_branch .LBB4_409
.LBB4_407:                              ; =>This Inner Loop Header: Depth=1
	v_mov_b32_e32 v0, 1
	s_and_saveexec_b32 s5, s4
	s_cbranch_execz .LBB4_404
; %bb.408:                              ;   in Loop: Header=BB4_407 Depth=1
	global_load_dword v0, v[10:11], off offset:20 glc dlc
	s_waitcnt vmcnt(0)
	buffer_gl1_inv
	buffer_gl0_inv
	v_and_b32_e32 v0, 1, v0
	s_branch .LBB4_404
.LBB4_409:
	s_and_saveexec_b32 s5, s4
	s_cbranch_execz .LBB4_413
; %bb.410:
	v_mov_b32_e32 v6, 0
	s_clause 0x2
	global_load_dwordx2 v[2:3], v6, s[6:7] offset:40
	global_load_dwordx2 v[7:8], v6, s[6:7] offset:24 glc dlc
	global_load_dwordx2 v[4:5], v6, s[6:7]
	s_waitcnt vmcnt(2)
	v_add_co_u32 v9, vcc_lo, v2, 1
	v_add_co_ci_u32_e32 v10, vcc_lo, 0, v3, vcc_lo
	v_add_co_u32 v0, vcc_lo, v9, s10
	v_add_co_ci_u32_e32 v1, vcc_lo, s11, v10, vcc_lo
	v_cmp_eq_u64_e32 vcc_lo, 0, v[0:1]
	v_cndmask_b32_e32 v1, v1, v10, vcc_lo
	v_cndmask_b32_e32 v0, v0, v9, vcc_lo
	v_and_b32_e32 v3, v1, v3
	v_and_b32_e32 v2, v0, v2
	v_mul_lo_u32 v3, v3, 24
	v_mul_hi_u32 v9, v2, 24
	v_mul_lo_u32 v2, v2, 24
	v_add_nc_u32_e32 v3, v9, v3
	s_waitcnt vmcnt(0)
	v_add_co_u32 v4, vcc_lo, v4, v2
	v_mov_b32_e32 v2, v7
	v_add_co_ci_u32_e32 v5, vcc_lo, v5, v3, vcc_lo
	v_mov_b32_e32 v3, v8
	global_store_dwordx2 v[4:5], v[7:8], off
	s_waitcnt_vscnt null, 0x0
	global_atomic_cmpswap_x2 v[2:3], v6, v[0:3], s[6:7] offset:24 glc
	s_waitcnt vmcnt(0)
	v_cmp_ne_u64_e32 vcc_lo, v[2:3], v[7:8]
	s_and_b32 exec_lo, exec_lo, vcc_lo
	s_cbranch_execz .LBB4_413
; %bb.411:
	s_mov_b32 s4, 0
.LBB4_412:                              ; =>This Inner Loop Header: Depth=1
	s_sleep 1
	global_store_dwordx2 v[4:5], v[2:3], off
	s_waitcnt_vscnt null, 0x0
	global_atomic_cmpswap_x2 v[7:8], v6, v[0:3], s[6:7] offset:24 glc
	s_waitcnt vmcnt(0)
	v_cmp_eq_u64_e32 vcc_lo, v[7:8], v[2:3]
	v_mov_b32_e32 v2, v7
	v_mov_b32_e32 v3, v8
	s_or_b32 s4, vcc_lo, s4
	s_andn2_b32 exec_lo, exec_lo, s4
	s_cbranch_execnz .LBB4_412
.LBB4_413:
	s_or_b32 exec_lo, exec_lo, s5
	v_readfirstlane_b32 s4, v32
	v_mov_b32_e32 v6, 0
	v_mov_b32_e32 v7, 0
	v_cmp_eq_u32_e64 s4, s4, v32
	s_and_saveexec_b32 s5, s4
	s_cbranch_execz .LBB4_419
; %bb.414:
	v_mov_b32_e32 v0, 0
	s_mov_b32 s10, exec_lo
	global_load_dwordx2 v[3:4], v0, s[6:7] offset:24 glc dlc
	s_waitcnt vmcnt(0)
	buffer_gl1_inv
	buffer_gl0_inv
	s_clause 0x1
	global_load_dwordx2 v[1:2], v0, s[6:7] offset:40
	global_load_dwordx2 v[5:6], v0, s[6:7]
	s_waitcnt vmcnt(1)
	v_and_b32_e32 v2, v2, v4
	v_and_b32_e32 v1, v1, v3
	v_mul_lo_u32 v2, v2, 24
	v_mul_hi_u32 v7, v1, 24
	v_mul_lo_u32 v1, v1, 24
	v_add_nc_u32_e32 v2, v7, v2
	s_waitcnt vmcnt(0)
	v_add_co_u32 v1, vcc_lo, v5, v1
	v_add_co_ci_u32_e32 v2, vcc_lo, v6, v2, vcc_lo
	global_load_dwordx2 v[1:2], v[1:2], off glc dlc
	s_waitcnt vmcnt(0)
	global_atomic_cmpswap_x2 v[6:7], v0, v[1:4], s[6:7] offset:24 glc
	s_waitcnt vmcnt(0)
	buffer_gl1_inv
	buffer_gl0_inv
	v_cmpx_ne_u64_e64 v[6:7], v[3:4]
	s_cbranch_execz .LBB4_418
; %bb.415:
	s_mov_b32 s11, 0
	.p2align	6
.LBB4_416:                              ; =>This Inner Loop Header: Depth=1
	s_sleep 1
	s_clause 0x1
	global_load_dwordx2 v[1:2], v0, s[6:7] offset:40
	global_load_dwordx2 v[8:9], v0, s[6:7]
	v_mov_b32_e32 v3, v6
	v_mov_b32_e32 v4, v7
	s_waitcnt vmcnt(1)
	v_and_b32_e32 v1, v1, v3
	v_and_b32_e32 v2, v2, v4
	s_waitcnt vmcnt(0)
	v_mad_u64_u32 v[5:6], null, v1, 24, v[8:9]
	v_mov_b32_e32 v1, v6
	v_mad_u64_u32 v[1:2], null, v2, 24, v[1:2]
	v_mov_b32_e32 v6, v1
	global_load_dwordx2 v[1:2], v[5:6], off glc dlc
	s_waitcnt vmcnt(0)
	global_atomic_cmpswap_x2 v[6:7], v0, v[1:4], s[6:7] offset:24 glc
	s_waitcnt vmcnt(0)
	buffer_gl1_inv
	buffer_gl0_inv
	v_cmp_eq_u64_e32 vcc_lo, v[6:7], v[3:4]
	s_or_b32 s11, vcc_lo, s11
	s_andn2_b32 exec_lo, exec_lo, s11
	s_cbranch_execnz .LBB4_416
; %bb.417:
	s_or_b32 exec_lo, exec_lo, s11
.LBB4_418:
	s_or_b32 exec_lo, exec_lo, s10
.LBB4_419:
	s_or_b32 exec_lo, exec_lo, s5
	v_mov_b32_e32 v5, 0
	v_readfirstlane_b32 s10, v6
	v_readfirstlane_b32 s11, v7
	s_mov_b32 s5, exec_lo
	s_clause 0x1
	global_load_dwordx2 v[8:9], v5, s[6:7] offset:40
	global_load_dwordx4 v[0:3], v5, s[6:7]
	s_waitcnt vmcnt(1)
	v_readfirstlane_b32 s16, v8
	v_readfirstlane_b32 s17, v9
	s_and_b64 s[16:17], s[10:11], s[16:17]
	s_mul_i32 s18, s17, 24
	s_mul_hi_u32 s19, s16, 24
	s_mul_i32 s20, s16, 24
	s_add_i32 s19, s19, s18
	s_waitcnt vmcnt(0)
	v_add_co_u32 v8, vcc_lo, v0, s20
	v_add_co_ci_u32_e32 v9, vcc_lo, s19, v1, vcc_lo
	s_and_saveexec_b32 s18, s4
	s_cbranch_execz .LBB4_421
; %bb.420:
	v_mov_b32_e32 v4, s5
	v_mov_b32_e32 v6, 2
	;; [unrolled: 1-line block ×3, first 2 shown]
	global_store_dwordx4 v[8:9], v[4:7], off offset:8
.LBB4_421:
	s_or_b32 exec_lo, exec_lo, s18
	s_lshl_b64 s[16:17], s[16:17], 12
	v_mov_b32_e32 v4, 33
	v_add_co_u32 v2, vcc_lo, v2, s16
	v_add_co_ci_u32_e32 v3, vcc_lo, s17, v3, vcc_lo
	s_mov_b32 s16, 0
	v_add_co_u32 v10, vcc_lo, v2, v31
	s_mov_b32 s17, s16
	s_mov_b32 s18, s16
	s_mov_b32 s19, s16
	v_mov_b32_e32 v6, v5
	v_mov_b32_e32 v7, v5
	v_readfirstlane_b32 s20, v2
	v_readfirstlane_b32 s21, v3
	v_mov_b32_e32 v12, s16
	v_add_co_ci_u32_e32 v11, vcc_lo, 0, v3, vcc_lo
	v_mov_b32_e32 v13, s17
	v_mov_b32_e32 v14, s18
	;; [unrolled: 1-line block ×3, first 2 shown]
	global_store_dwordx4 v31, v[4:7], s[20:21]
	global_store_dwordx4 v31, v[12:15], s[20:21] offset:16
	global_store_dwordx4 v31, v[12:15], s[20:21] offset:32
	;; [unrolled: 1-line block ×3, first 2 shown]
	s_and_saveexec_b32 s5, s4
	s_cbranch_execz .LBB4_429
; %bb.422:
	v_mov_b32_e32 v6, 0
	v_mov_b32_e32 v12, s10
	;; [unrolled: 1-line block ×3, first 2 shown]
	s_clause 0x1
	global_load_dwordx2 v[14:15], v6, s[6:7] offset:32 glc dlc
	global_load_dwordx2 v[2:3], v6, s[6:7] offset:40
	s_waitcnt vmcnt(0)
	v_readfirstlane_b32 s16, v2
	v_readfirstlane_b32 s17, v3
	s_and_b64 s[16:17], s[16:17], s[10:11]
	s_mul_i32 s17, s17, 24
	s_mul_hi_u32 s18, s16, 24
	s_mul_i32 s16, s16, 24
	s_add_i32 s18, s18, s17
	v_add_co_u32 v4, vcc_lo, v0, s16
	v_add_co_ci_u32_e32 v5, vcc_lo, s18, v1, vcc_lo
	s_mov_b32 s16, exec_lo
	global_store_dwordx2 v[4:5], v[14:15], off
	s_waitcnt_vscnt null, 0x0
	global_atomic_cmpswap_x2 v[2:3], v6, v[12:15], s[6:7] offset:32 glc
	s_waitcnt vmcnt(0)
	v_cmpx_ne_u64_e64 v[2:3], v[14:15]
	s_cbranch_execz .LBB4_425
; %bb.423:
	s_mov_b32 s17, 0
.LBB4_424:                              ; =>This Inner Loop Header: Depth=1
	v_mov_b32_e32 v0, s10
	v_mov_b32_e32 v1, s11
	s_sleep 1
	global_store_dwordx2 v[4:5], v[2:3], off
	s_waitcnt_vscnt null, 0x0
	global_atomic_cmpswap_x2 v[0:1], v6, v[0:3], s[6:7] offset:32 glc
	s_waitcnt vmcnt(0)
	v_cmp_eq_u64_e32 vcc_lo, v[0:1], v[2:3]
	v_mov_b32_e32 v3, v1
	v_mov_b32_e32 v2, v0
	s_or_b32 s17, vcc_lo, s17
	s_andn2_b32 exec_lo, exec_lo, s17
	s_cbranch_execnz .LBB4_424
.LBB4_425:
	s_or_b32 exec_lo, exec_lo, s16
	v_mov_b32_e32 v3, 0
	s_mov_b32 s17, exec_lo
	s_mov_b32 s16, exec_lo
	v_mbcnt_lo_u32_b32 v2, s17, 0
	global_load_dwordx2 v[0:1], v3, s[6:7] offset:16
	v_cmpx_eq_u32_e32 0, v2
	s_cbranch_execz .LBB4_427
; %bb.426:
	s_bcnt1_i32_b32 s17, s17
	v_mov_b32_e32 v2, s17
	s_waitcnt vmcnt(0)
	global_atomic_add_x2 v[0:1], v[2:3], off offset:8
.LBB4_427:
	s_or_b32 exec_lo, exec_lo, s16
	s_waitcnt vmcnt(0)
	global_load_dwordx2 v[2:3], v[0:1], off offset:16
	s_waitcnt vmcnt(0)
	v_cmp_eq_u64_e32 vcc_lo, 0, v[2:3]
	s_cbranch_vccnz .LBB4_429
; %bb.428:
	global_load_dword v0, v[0:1], off offset:24
	v_mov_b32_e32 v1, 0
	s_waitcnt vmcnt(0)
	v_and_b32_e32 v4, 0x7fffff, v0
	s_waitcnt_vscnt null, 0x0
	global_store_dwordx2 v[2:3], v[0:1], off
	v_readfirstlane_b32 m0, v4
	s_sendmsg sendmsg(MSG_INTERRUPT)
.LBB4_429:
	s_or_b32 exec_lo, exec_lo, s5
	s_branch .LBB4_433
	.p2align	6
.LBB4_430:                              ;   in Loop: Header=BB4_433 Depth=1
	s_or_b32 exec_lo, exec_lo, s5
	v_readfirstlane_b32 s5, v0
	s_cmp_eq_u32 s5, 0
	s_cbranch_scc1 .LBB4_432
; %bb.431:                              ;   in Loop: Header=BB4_433 Depth=1
	s_sleep 1
	s_cbranch_execnz .LBB4_433
	s_branch .LBB4_435
	.p2align	6
.LBB4_432:
	s_branch .LBB4_435
.LBB4_433:                              ; =>This Inner Loop Header: Depth=1
	v_mov_b32_e32 v0, 1
	s_and_saveexec_b32 s5, s4
	s_cbranch_execz .LBB4_430
; %bb.434:                              ;   in Loop: Header=BB4_433 Depth=1
	global_load_dword v0, v[8:9], off offset:20 glc dlc
	s_waitcnt vmcnt(0)
	buffer_gl1_inv
	buffer_gl0_inv
	v_and_b32_e32 v0, 1, v0
	s_branch .LBB4_430
.LBB4_435:
	global_load_dwordx2 v[4:5], v[10:11], off
	s_and_saveexec_b32 s5, s4
	s_cbranch_execz .LBB4_439
; %bb.436:
	v_mov_b32_e32 v8, 0
	s_clause 0x2
	global_load_dwordx2 v[2:3], v8, s[6:7] offset:40
	global_load_dwordx2 v[9:10], v8, s[6:7] offset:24 glc dlc
	global_load_dwordx2 v[6:7], v8, s[6:7]
	s_waitcnt vmcnt(2)
	v_add_co_u32 v11, vcc_lo, v2, 1
	v_add_co_ci_u32_e32 v12, vcc_lo, 0, v3, vcc_lo
	v_add_co_u32 v0, vcc_lo, v11, s10
	v_add_co_ci_u32_e32 v1, vcc_lo, s11, v12, vcc_lo
	v_cmp_eq_u64_e32 vcc_lo, 0, v[0:1]
	v_cndmask_b32_e32 v1, v1, v12, vcc_lo
	v_cndmask_b32_e32 v0, v0, v11, vcc_lo
	v_and_b32_e32 v3, v1, v3
	v_and_b32_e32 v2, v0, v2
	v_mul_lo_u32 v3, v3, 24
	v_mul_hi_u32 v11, v2, 24
	v_mul_lo_u32 v2, v2, 24
	v_add_nc_u32_e32 v3, v11, v3
	s_waitcnt vmcnt(0)
	v_add_co_u32 v6, vcc_lo, v6, v2
	v_mov_b32_e32 v2, v9
	v_add_co_ci_u32_e32 v7, vcc_lo, v7, v3, vcc_lo
	v_mov_b32_e32 v3, v10
	global_store_dwordx2 v[6:7], v[9:10], off
	s_waitcnt_vscnt null, 0x0
	global_atomic_cmpswap_x2 v[2:3], v8, v[0:3], s[6:7] offset:24 glc
	s_waitcnt vmcnt(0)
	v_cmp_ne_u64_e32 vcc_lo, v[2:3], v[9:10]
	s_and_b32 exec_lo, exec_lo, vcc_lo
	s_cbranch_execz .LBB4_439
; %bb.437:
	s_mov_b32 s4, 0
.LBB4_438:                              ; =>This Inner Loop Header: Depth=1
	s_sleep 1
	global_store_dwordx2 v[6:7], v[2:3], off
	s_waitcnt_vscnt null, 0x0
	global_atomic_cmpswap_x2 v[9:10], v8, v[0:3], s[6:7] offset:24 glc
	s_waitcnt vmcnt(0)
	v_cmp_eq_u64_e32 vcc_lo, v[9:10], v[2:3]
	v_mov_b32_e32 v2, v9
	v_mov_b32_e32 v3, v10
	s_or_b32 s4, vcc_lo, s4
	s_andn2_b32 exec_lo, exec_lo, s4
	s_cbranch_execnz .LBB4_438
.LBB4_439:
	s_or_b32 exec_lo, exec_lo, s5
	s_and_b32 vcc_lo, exec_lo, s15
	s_cbranch_vccz .LBB4_518
; %bb.440:
	s_waitcnt vmcnt(0)
	v_and_b32_e32 v28, 2, v4
	v_mov_b32_e32 v7, 0
	v_and_b32_e32 v0, -3, v4
	v_mov_b32_e32 v1, v5
	v_mov_b32_e32 v8, 2
	;; [unrolled: 1-line block ×3, first 2 shown]
	s_mov_b64 s[16:17], 3
	s_getpc_b64 s[10:11]
	s_add_u32 s10, s10, .str.5@rel32@lo+4
	s_addc_u32 s11, s11, .str.5@rel32@hi+12
	s_branch .LBB4_442
.LBB4_441:                              ;   in Loop: Header=BB4_442 Depth=1
	s_or_b32 exec_lo, exec_lo, s5
	s_sub_u32 s16, s16, s18
	s_subb_u32 s17, s17, s19
	s_add_u32 s10, s10, s18
	s_addc_u32 s11, s11, s19
	s_cmp_lg_u64 s[16:17], 0
	s_cbranch_scc0 .LBB4_517
.LBB4_442:                              ; =>This Loop Header: Depth=1
                                        ;     Child Loop BB4_451 Depth 2
                                        ;     Child Loop BB4_447 Depth 2
	;; [unrolled: 1-line block ×11, first 2 shown]
	v_cmp_lt_u64_e64 s4, s[16:17], 56
	v_cmp_gt_u64_e64 s5, s[16:17], 7
                                        ; implicit-def: $vgpr2_vgpr3
                                        ; implicit-def: $sgpr25
	s_and_b32 s4, s4, exec_lo
	s_cselect_b32 s19, s17, 0
	s_cselect_b32 s18, s16, 56
	s_and_b32 vcc_lo, exec_lo, s5
	s_mov_b32 s4, -1
	s_cbranch_vccz .LBB4_449
; %bb.443:                              ;   in Loop: Header=BB4_442 Depth=1
	s_andn2_b32 vcc_lo, exec_lo, s4
	s_mov_b64 s[4:5], s[10:11]
	s_cbranch_vccz .LBB4_453
.LBB4_444:                              ;   in Loop: Header=BB4_442 Depth=1
	s_cmp_gt_u32 s25, 7
	s_cbranch_scc1 .LBB4_454
.LBB4_445:                              ;   in Loop: Header=BB4_442 Depth=1
	v_mov_b32_e32 v10, 0
	v_mov_b32_e32 v11, 0
	s_cmp_eq_u32 s25, 0
	s_cbranch_scc1 .LBB4_448
; %bb.446:                              ;   in Loop: Header=BB4_442 Depth=1
	s_mov_b64 s[20:21], 0
	s_mov_b64 s[22:23], 0
.LBB4_447:                              ;   Parent Loop BB4_442 Depth=1
                                        ; =>  This Inner Loop Header: Depth=2
	s_add_u32 s26, s4, s22
	s_addc_u32 s27, s5, s23
	s_add_u32 s22, s22, 1
	global_load_ubyte v6, v7, s[26:27]
	s_addc_u32 s23, s23, 0
	s_waitcnt vmcnt(0)
	v_and_b32_e32 v6, 0xffff, v6
	v_lshlrev_b64 v[12:13], s20, v[6:7]
	s_add_u32 s20, s20, 8
	s_addc_u32 s21, s21, 0
	s_cmp_lg_u32 s25, s22
	v_or_b32_e32 v10, v12, v10
	v_or_b32_e32 v11, v13, v11
	s_cbranch_scc1 .LBB4_447
.LBB4_448:                              ;   in Loop: Header=BB4_442 Depth=1
	s_mov_b32 s26, 0
	s_cbranch_execz .LBB4_455
	s_branch .LBB4_456
.LBB4_449:                              ;   in Loop: Header=BB4_442 Depth=1
	s_waitcnt vmcnt(0)
	v_mov_b32_e32 v2, 0
	v_mov_b32_e32 v3, 0
	s_cmp_eq_u64 s[16:17], 0
	s_mov_b64 s[4:5], 0
	s_cbranch_scc1 .LBB4_452
; %bb.450:                              ;   in Loop: Header=BB4_442 Depth=1
	v_mov_b32_e32 v2, 0
	v_mov_b32_e32 v3, 0
	s_lshl_b64 s[20:21], s[18:19], 3
	s_mov_b64 s[22:23], s[10:11]
.LBB4_451:                              ;   Parent Loop BB4_442 Depth=1
                                        ; =>  This Inner Loop Header: Depth=2
	global_load_ubyte v6, v7, s[22:23]
	s_waitcnt vmcnt(0)
	v_and_b32_e32 v6, 0xffff, v6
	v_lshlrev_b64 v[10:11], s4, v[6:7]
	s_add_u32 s4, s4, 8
	s_addc_u32 s5, s5, 0
	s_add_u32 s22, s22, 1
	s_addc_u32 s23, s23, 0
	s_cmp_lg_u32 s20, s4
	v_or_b32_e32 v2, v10, v2
	v_or_b32_e32 v3, v11, v3
	s_cbranch_scc1 .LBB4_451
.LBB4_452:                              ;   in Loop: Header=BB4_442 Depth=1
	s_mov_b32 s25, 0
	s_mov_b64 s[4:5], s[10:11]
	s_cbranch_execnz .LBB4_444
.LBB4_453:                              ;   in Loop: Header=BB4_442 Depth=1
	global_load_dwordx2 v[2:3], v7, s[10:11]
	s_add_i32 s25, s18, -8
	s_add_u32 s4, s10, 8
	s_addc_u32 s5, s11, 0
	s_cmp_gt_u32 s25, 7
	s_cbranch_scc0 .LBB4_445
.LBB4_454:                              ;   in Loop: Header=BB4_442 Depth=1
                                        ; implicit-def: $vgpr10_vgpr11
                                        ; implicit-def: $sgpr26
.LBB4_455:                              ;   in Loop: Header=BB4_442 Depth=1
	global_load_dwordx2 v[10:11], v7, s[4:5]
	s_add_i32 s26, s25, -8
	s_add_u32 s4, s4, 8
	s_addc_u32 s5, s5, 0
.LBB4_456:                              ;   in Loop: Header=BB4_442 Depth=1
	s_cmp_gt_u32 s26, 7
	s_cbranch_scc1 .LBB4_461
; %bb.457:                              ;   in Loop: Header=BB4_442 Depth=1
	v_mov_b32_e32 v12, 0
	v_mov_b32_e32 v13, 0
	s_cmp_eq_u32 s26, 0
	s_cbranch_scc1 .LBB4_460
; %bb.458:                              ;   in Loop: Header=BB4_442 Depth=1
	s_mov_b64 s[20:21], 0
	s_mov_b64 s[22:23], 0
.LBB4_459:                              ;   Parent Loop BB4_442 Depth=1
                                        ; =>  This Inner Loop Header: Depth=2
	s_add_u32 s28, s4, s22
	s_addc_u32 s29, s5, s23
	s_add_u32 s22, s22, 1
	global_load_ubyte v6, v7, s[28:29]
	s_addc_u32 s23, s23, 0
	s_waitcnt vmcnt(0)
	v_and_b32_e32 v6, 0xffff, v6
	v_lshlrev_b64 v[14:15], s20, v[6:7]
	s_add_u32 s20, s20, 8
	s_addc_u32 s21, s21, 0
	s_cmp_lg_u32 s26, s22
	v_or_b32_e32 v12, v14, v12
	v_or_b32_e32 v13, v15, v13
	s_cbranch_scc1 .LBB4_459
.LBB4_460:                              ;   in Loop: Header=BB4_442 Depth=1
	s_mov_b32 s25, 0
	s_cbranch_execz .LBB4_462
	s_branch .LBB4_463
.LBB4_461:                              ;   in Loop: Header=BB4_442 Depth=1
                                        ; implicit-def: $sgpr25
.LBB4_462:                              ;   in Loop: Header=BB4_442 Depth=1
	global_load_dwordx2 v[12:13], v7, s[4:5]
	s_add_i32 s25, s26, -8
	s_add_u32 s4, s4, 8
	s_addc_u32 s5, s5, 0
.LBB4_463:                              ;   in Loop: Header=BB4_442 Depth=1
	s_cmp_gt_u32 s25, 7
	s_cbranch_scc1 .LBB4_468
; %bb.464:                              ;   in Loop: Header=BB4_442 Depth=1
	v_mov_b32_e32 v14, 0
	v_mov_b32_e32 v15, 0
	s_cmp_eq_u32 s25, 0
	s_cbranch_scc1 .LBB4_467
; %bb.465:                              ;   in Loop: Header=BB4_442 Depth=1
	s_mov_b64 s[20:21], 0
	s_mov_b64 s[22:23], 0
.LBB4_466:                              ;   Parent Loop BB4_442 Depth=1
                                        ; =>  This Inner Loop Header: Depth=2
	s_add_u32 s26, s4, s22
	s_addc_u32 s27, s5, s23
	s_add_u32 s22, s22, 1
	global_load_ubyte v6, v7, s[26:27]
	s_addc_u32 s23, s23, 0
	s_waitcnt vmcnt(0)
	v_and_b32_e32 v6, 0xffff, v6
	v_lshlrev_b64 v[16:17], s20, v[6:7]
	s_add_u32 s20, s20, 8
	s_addc_u32 s21, s21, 0
	s_cmp_lg_u32 s25, s22
	v_or_b32_e32 v14, v16, v14
	v_or_b32_e32 v15, v17, v15
	s_cbranch_scc1 .LBB4_466
.LBB4_467:                              ;   in Loop: Header=BB4_442 Depth=1
	s_mov_b32 s26, 0
	s_cbranch_execz .LBB4_469
	s_branch .LBB4_470
.LBB4_468:                              ;   in Loop: Header=BB4_442 Depth=1
                                        ; implicit-def: $vgpr14_vgpr15
                                        ; implicit-def: $sgpr26
.LBB4_469:                              ;   in Loop: Header=BB4_442 Depth=1
	global_load_dwordx2 v[14:15], v7, s[4:5]
	s_add_i32 s26, s25, -8
	s_add_u32 s4, s4, 8
	s_addc_u32 s5, s5, 0
.LBB4_470:                              ;   in Loop: Header=BB4_442 Depth=1
	s_cmp_gt_u32 s26, 7
	s_cbranch_scc1 .LBB4_475
; %bb.471:                              ;   in Loop: Header=BB4_442 Depth=1
	v_mov_b32_e32 v16, 0
	v_mov_b32_e32 v17, 0
	s_cmp_eq_u32 s26, 0
	s_cbranch_scc1 .LBB4_474
; %bb.472:                              ;   in Loop: Header=BB4_442 Depth=1
	s_mov_b64 s[20:21], 0
	s_mov_b64 s[22:23], 0
.LBB4_473:                              ;   Parent Loop BB4_442 Depth=1
                                        ; =>  This Inner Loop Header: Depth=2
	s_add_u32 s28, s4, s22
	s_addc_u32 s29, s5, s23
	s_add_u32 s22, s22, 1
	global_load_ubyte v6, v7, s[28:29]
	s_addc_u32 s23, s23, 0
	s_waitcnt vmcnt(0)
	v_and_b32_e32 v6, 0xffff, v6
	v_lshlrev_b64 v[18:19], s20, v[6:7]
	s_add_u32 s20, s20, 8
	s_addc_u32 s21, s21, 0
	s_cmp_lg_u32 s26, s22
	v_or_b32_e32 v16, v18, v16
	v_or_b32_e32 v17, v19, v17
	s_cbranch_scc1 .LBB4_473
.LBB4_474:                              ;   in Loop: Header=BB4_442 Depth=1
	s_mov_b32 s25, 0
	s_cbranch_execz .LBB4_476
	s_branch .LBB4_477
.LBB4_475:                              ;   in Loop: Header=BB4_442 Depth=1
                                        ; implicit-def: $sgpr25
.LBB4_476:                              ;   in Loop: Header=BB4_442 Depth=1
	global_load_dwordx2 v[16:17], v7, s[4:5]
	s_add_i32 s25, s26, -8
	s_add_u32 s4, s4, 8
	s_addc_u32 s5, s5, 0
.LBB4_477:                              ;   in Loop: Header=BB4_442 Depth=1
	s_cmp_gt_u32 s25, 7
	s_cbranch_scc1 .LBB4_482
; %bb.478:                              ;   in Loop: Header=BB4_442 Depth=1
	v_mov_b32_e32 v18, 0
	v_mov_b32_e32 v19, 0
	s_cmp_eq_u32 s25, 0
	s_cbranch_scc1 .LBB4_481
; %bb.479:                              ;   in Loop: Header=BB4_442 Depth=1
	s_mov_b64 s[20:21], 0
	s_mov_b64 s[22:23], 0
.LBB4_480:                              ;   Parent Loop BB4_442 Depth=1
                                        ; =>  This Inner Loop Header: Depth=2
	s_add_u32 s26, s4, s22
	s_addc_u32 s27, s5, s23
	s_add_u32 s22, s22, 1
	global_load_ubyte v6, v7, s[26:27]
	s_addc_u32 s23, s23, 0
	s_waitcnt vmcnt(0)
	v_and_b32_e32 v6, 0xffff, v6
	v_lshlrev_b64 v[20:21], s20, v[6:7]
	s_add_u32 s20, s20, 8
	s_addc_u32 s21, s21, 0
	s_cmp_lg_u32 s25, s22
	v_or_b32_e32 v18, v20, v18
	v_or_b32_e32 v19, v21, v19
	s_cbranch_scc1 .LBB4_480
.LBB4_481:                              ;   in Loop: Header=BB4_442 Depth=1
	s_mov_b32 s26, 0
	s_cbranch_execz .LBB4_483
	s_branch .LBB4_484
.LBB4_482:                              ;   in Loop: Header=BB4_442 Depth=1
                                        ; implicit-def: $vgpr18_vgpr19
                                        ; implicit-def: $sgpr26
.LBB4_483:                              ;   in Loop: Header=BB4_442 Depth=1
	global_load_dwordx2 v[18:19], v7, s[4:5]
	s_add_i32 s26, s25, -8
	s_add_u32 s4, s4, 8
	s_addc_u32 s5, s5, 0
.LBB4_484:                              ;   in Loop: Header=BB4_442 Depth=1
	s_cmp_gt_u32 s26, 7
	s_cbranch_scc1 .LBB4_489
; %bb.485:                              ;   in Loop: Header=BB4_442 Depth=1
	v_mov_b32_e32 v20, 0
	v_mov_b32_e32 v21, 0
	s_cmp_eq_u32 s26, 0
	s_cbranch_scc1 .LBB4_488
; %bb.486:                              ;   in Loop: Header=BB4_442 Depth=1
	s_mov_b64 s[20:21], 0
	s_mov_b64 s[22:23], s[4:5]
.LBB4_487:                              ;   Parent Loop BB4_442 Depth=1
                                        ; =>  This Inner Loop Header: Depth=2
	global_load_ubyte v6, v7, s[22:23]
	s_add_i32 s26, s26, -1
	s_waitcnt vmcnt(0)
	v_and_b32_e32 v6, 0xffff, v6
	v_lshlrev_b64 v[22:23], s20, v[6:7]
	s_add_u32 s20, s20, 8
	s_addc_u32 s21, s21, 0
	s_add_u32 s22, s22, 1
	s_addc_u32 s23, s23, 0
	s_cmp_lg_u32 s26, 0
	v_or_b32_e32 v20, v22, v20
	v_or_b32_e32 v21, v23, v21
	s_cbranch_scc1 .LBB4_487
.LBB4_488:                              ;   in Loop: Header=BB4_442 Depth=1
	s_cbranch_execz .LBB4_490
	s_branch .LBB4_491
.LBB4_489:                              ;   in Loop: Header=BB4_442 Depth=1
.LBB4_490:                              ;   in Loop: Header=BB4_442 Depth=1
	global_load_dwordx2 v[20:21], v7, s[4:5]
.LBB4_491:                              ;   in Loop: Header=BB4_442 Depth=1
	v_readfirstlane_b32 s4, v32
	v_mov_b32_e32 v26, 0
	v_mov_b32_e32 v27, 0
	v_cmp_eq_u32_e64 s4, s4, v32
	s_and_saveexec_b32 s5, s4
	s_cbranch_execz .LBB4_497
; %bb.492:                              ;   in Loop: Header=BB4_442 Depth=1
	global_load_dwordx2 v[24:25], v7, s[6:7] offset:24 glc dlc
	s_waitcnt vmcnt(0)
	buffer_gl1_inv
	buffer_gl0_inv
	s_clause 0x1
	global_load_dwordx2 v[22:23], v7, s[6:7] offset:40
	global_load_dwordx2 v[26:27], v7, s[6:7]
	s_mov_b32 s20, exec_lo
	s_waitcnt vmcnt(1)
	v_and_b32_e32 v6, v23, v25
	v_and_b32_e32 v22, v22, v24
	v_mul_lo_u32 v6, v6, 24
	v_mul_hi_u32 v23, v22, 24
	v_mul_lo_u32 v22, v22, 24
	v_add_nc_u32_e32 v6, v23, v6
	s_waitcnt vmcnt(0)
	v_add_co_u32 v22, vcc_lo, v26, v22
	v_add_co_ci_u32_e32 v23, vcc_lo, v27, v6, vcc_lo
	global_load_dwordx2 v[22:23], v[22:23], off glc dlc
	s_waitcnt vmcnt(0)
	global_atomic_cmpswap_x2 v[26:27], v7, v[22:25], s[6:7] offset:24 glc
	s_waitcnt vmcnt(0)
	buffer_gl1_inv
	buffer_gl0_inv
	v_cmpx_ne_u64_e64 v[26:27], v[24:25]
	s_cbranch_execz .LBB4_496
; %bb.493:                              ;   in Loop: Header=BB4_442 Depth=1
	s_mov_b32 s21, 0
	.p2align	6
.LBB4_494:                              ;   Parent Loop BB4_442 Depth=1
                                        ; =>  This Inner Loop Header: Depth=2
	s_sleep 1
	s_clause 0x1
	global_load_dwordx2 v[22:23], v7, s[6:7] offset:40
	global_load_dwordx2 v[29:30], v7, s[6:7]
	v_mov_b32_e32 v24, v26
	v_mov_b32_e32 v25, v27
	s_waitcnt vmcnt(1)
	v_and_b32_e32 v6, v22, v24
	v_and_b32_e32 v22, v23, v25
	s_waitcnt vmcnt(0)
	v_mad_u64_u32 v[26:27], null, v6, 24, v[29:30]
	v_mov_b32_e32 v6, v27
	v_mad_u64_u32 v[22:23], null, v22, 24, v[6:7]
	v_mov_b32_e32 v27, v22
	global_load_dwordx2 v[22:23], v[26:27], off glc dlc
	s_waitcnt vmcnt(0)
	global_atomic_cmpswap_x2 v[26:27], v7, v[22:25], s[6:7] offset:24 glc
	s_waitcnt vmcnt(0)
	buffer_gl1_inv
	buffer_gl0_inv
	v_cmp_eq_u64_e32 vcc_lo, v[26:27], v[24:25]
	s_or_b32 s21, vcc_lo, s21
	s_andn2_b32 exec_lo, exec_lo, s21
	s_cbranch_execnz .LBB4_494
; %bb.495:                              ;   in Loop: Header=BB4_442 Depth=1
	s_or_b32 exec_lo, exec_lo, s21
.LBB4_496:                              ;   in Loop: Header=BB4_442 Depth=1
	s_or_b32 exec_lo, exec_lo, s20
.LBB4_497:                              ;   in Loop: Header=BB4_442 Depth=1
	s_or_b32 exec_lo, exec_lo, s5
	s_clause 0x1
	global_load_dwordx2 v[29:30], v7, s[6:7] offset:40
	global_load_dwordx4 v[22:25], v7, s[6:7]
	v_readfirstlane_b32 s20, v26
	v_readfirstlane_b32 s21, v27
	s_mov_b32 s5, exec_lo
	s_waitcnt vmcnt(1)
	v_readfirstlane_b32 s22, v29
	v_readfirstlane_b32 s23, v30
	s_and_b64 s[22:23], s[20:21], s[22:23]
	s_mul_i32 s25, s23, 24
	s_mul_hi_u32 s26, s22, 24
	s_mul_i32 s27, s22, 24
	s_add_i32 s26, s26, s25
	s_waitcnt vmcnt(0)
	v_add_co_u32 v26, vcc_lo, v22, s27
	v_add_co_ci_u32_e32 v27, vcc_lo, s26, v23, vcc_lo
	s_and_saveexec_b32 s25, s4
	s_cbranch_execz .LBB4_499
; %bb.498:                              ;   in Loop: Header=BB4_442 Depth=1
	v_mov_b32_e32 v6, s5
	global_store_dwordx4 v[26:27], v[6:9], off offset:8
.LBB4_499:                              ;   in Loop: Header=BB4_442 Depth=1
	s_or_b32 exec_lo, exec_lo, s25
	s_lshl_b64 s[22:23], s[22:23], 12
	v_cmp_gt_u64_e64 vcc_lo, s[16:17], 56
	v_or_b32_e32 v29, v0, v28
	v_add_co_u32 v24, s5, v24, s22
	v_add_co_ci_u32_e64 v25, s5, s23, v25, s5
	s_lshl_b32 s5, s18, 2
	v_or_b32_e32 v6, 0, v1
	v_cndmask_b32_e32 v0, v29, v0, vcc_lo
	s_add_i32 s5, s5, 28
	v_readfirstlane_b32 s22, v24
	s_and_b32 s5, s5, 0x1e0
	v_cndmask_b32_e32 v1, v6, v1, vcc_lo
	v_readfirstlane_b32 s23, v25
	v_and_or_b32 v0, 0xffffff1f, v0, s5
	global_store_dwordx4 v31, v[0:3], s[22:23]
	global_store_dwordx4 v31, v[10:13], s[22:23] offset:16
	global_store_dwordx4 v31, v[14:17], s[22:23] offset:32
	global_store_dwordx4 v31, v[18:21], s[22:23] offset:48
	s_and_saveexec_b32 s5, s4
	s_cbranch_execz .LBB4_507
; %bb.500:                              ;   in Loop: Header=BB4_442 Depth=1
	s_clause 0x1
	global_load_dwordx2 v[14:15], v7, s[6:7] offset:32 glc dlc
	global_load_dwordx2 v[0:1], v7, s[6:7] offset:40
	v_mov_b32_e32 v12, s20
	v_mov_b32_e32 v13, s21
	s_waitcnt vmcnt(0)
	v_readfirstlane_b32 s22, v0
	v_readfirstlane_b32 s23, v1
	s_and_b64 s[22:23], s[22:23], s[20:21]
	s_mul_i32 s23, s23, 24
	s_mul_hi_u32 s25, s22, 24
	s_mul_i32 s22, s22, 24
	s_add_i32 s25, s25, s23
	v_add_co_u32 v10, vcc_lo, v22, s22
	v_add_co_ci_u32_e32 v11, vcc_lo, s25, v23, vcc_lo
	s_mov_b32 s22, exec_lo
	global_store_dwordx2 v[10:11], v[14:15], off
	s_waitcnt_vscnt null, 0x0
	global_atomic_cmpswap_x2 v[2:3], v7, v[12:15], s[6:7] offset:32 glc
	s_waitcnt vmcnt(0)
	v_cmpx_ne_u64_e64 v[2:3], v[14:15]
	s_cbranch_execz .LBB4_503
; %bb.501:                              ;   in Loop: Header=BB4_442 Depth=1
	s_mov_b32 s23, 0
.LBB4_502:                              ;   Parent Loop BB4_442 Depth=1
                                        ; =>  This Inner Loop Header: Depth=2
	v_mov_b32_e32 v0, s20
	v_mov_b32_e32 v1, s21
	s_sleep 1
	global_store_dwordx2 v[10:11], v[2:3], off
	s_waitcnt_vscnt null, 0x0
	global_atomic_cmpswap_x2 v[0:1], v7, v[0:3], s[6:7] offset:32 glc
	s_waitcnt vmcnt(0)
	v_cmp_eq_u64_e32 vcc_lo, v[0:1], v[2:3]
	v_mov_b32_e32 v3, v1
	v_mov_b32_e32 v2, v0
	s_or_b32 s23, vcc_lo, s23
	s_andn2_b32 exec_lo, exec_lo, s23
	s_cbranch_execnz .LBB4_502
.LBB4_503:                              ;   in Loop: Header=BB4_442 Depth=1
	s_or_b32 exec_lo, exec_lo, s22
	global_load_dwordx2 v[0:1], v7, s[6:7] offset:16
	s_mov_b32 s23, exec_lo
	s_mov_b32 s22, exec_lo
	v_mbcnt_lo_u32_b32 v2, s23, 0
	v_cmpx_eq_u32_e32 0, v2
	s_cbranch_execz .LBB4_505
; %bb.504:                              ;   in Loop: Header=BB4_442 Depth=1
	s_bcnt1_i32_b32 s23, s23
	v_mov_b32_e32 v6, s23
	s_waitcnt vmcnt(0)
	global_atomic_add_x2 v[0:1], v[6:7], off offset:8
.LBB4_505:                              ;   in Loop: Header=BB4_442 Depth=1
	s_or_b32 exec_lo, exec_lo, s22
	s_waitcnt vmcnt(0)
	global_load_dwordx2 v[2:3], v[0:1], off offset:16
	s_waitcnt vmcnt(0)
	v_cmp_eq_u64_e32 vcc_lo, 0, v[2:3]
	s_cbranch_vccnz .LBB4_507
; %bb.506:                              ;   in Loop: Header=BB4_442 Depth=1
	global_load_dword v6, v[0:1], off offset:24
	s_waitcnt vmcnt(0)
	v_and_b32_e32 v0, 0x7fffff, v6
	s_waitcnt_vscnt null, 0x0
	global_store_dwordx2 v[2:3], v[6:7], off
	v_readfirstlane_b32 m0, v0
	s_sendmsg sendmsg(MSG_INTERRUPT)
.LBB4_507:                              ;   in Loop: Header=BB4_442 Depth=1
	s_or_b32 exec_lo, exec_lo, s5
	v_add_co_u32 v0, vcc_lo, v24, v31
	v_add_co_ci_u32_e32 v1, vcc_lo, 0, v25, vcc_lo
	s_branch .LBB4_511
	.p2align	6
.LBB4_508:                              ;   in Loop: Header=BB4_511 Depth=2
	s_or_b32 exec_lo, exec_lo, s5
	v_readfirstlane_b32 s5, v2
	s_cmp_eq_u32 s5, 0
	s_cbranch_scc1 .LBB4_510
; %bb.509:                              ;   in Loop: Header=BB4_511 Depth=2
	s_sleep 1
	s_cbranch_execnz .LBB4_511
	s_branch .LBB4_513
	.p2align	6
.LBB4_510:                              ;   in Loop: Header=BB4_442 Depth=1
	s_branch .LBB4_513
.LBB4_511:                              ;   Parent Loop BB4_442 Depth=1
                                        ; =>  This Inner Loop Header: Depth=2
	v_mov_b32_e32 v2, 1
	s_and_saveexec_b32 s5, s4
	s_cbranch_execz .LBB4_508
; %bb.512:                              ;   in Loop: Header=BB4_511 Depth=2
	global_load_dword v2, v[26:27], off offset:20 glc dlc
	s_waitcnt vmcnt(0)
	buffer_gl1_inv
	buffer_gl0_inv
	v_and_b32_e32 v2, 1, v2
	s_branch .LBB4_508
.LBB4_513:                              ;   in Loop: Header=BB4_442 Depth=1
	global_load_dwordx4 v[0:3], v[0:1], off
	s_and_saveexec_b32 s5, s4
	s_cbranch_execz .LBB4_441
; %bb.514:                              ;   in Loop: Header=BB4_442 Depth=1
	s_clause 0x2
	global_load_dwordx2 v[2:3], v7, s[6:7] offset:40
	global_load_dwordx2 v[14:15], v7, s[6:7] offset:24 glc dlc
	global_load_dwordx2 v[12:13], v7, s[6:7]
	s_waitcnt vmcnt(2)
	v_add_co_u32 v6, vcc_lo, v2, 1
	v_add_co_ci_u32_e32 v16, vcc_lo, 0, v3, vcc_lo
	v_add_co_u32 v10, vcc_lo, v6, s20
	v_add_co_ci_u32_e32 v11, vcc_lo, s21, v16, vcc_lo
	v_cmp_eq_u64_e32 vcc_lo, 0, v[10:11]
	v_cndmask_b32_e32 v11, v11, v16, vcc_lo
	v_cndmask_b32_e32 v10, v10, v6, vcc_lo
	v_and_b32_e32 v3, v11, v3
	v_and_b32_e32 v2, v10, v2
	v_mul_lo_u32 v3, v3, 24
	v_mul_hi_u32 v6, v2, 24
	v_mul_lo_u32 v2, v2, 24
	v_add_nc_u32_e32 v3, v6, v3
	s_waitcnt vmcnt(0)
	v_add_co_u32 v2, vcc_lo, v12, v2
	v_mov_b32_e32 v12, v14
	v_add_co_ci_u32_e32 v3, vcc_lo, v13, v3, vcc_lo
	v_mov_b32_e32 v13, v15
	global_store_dwordx2 v[2:3], v[14:15], off
	s_waitcnt_vscnt null, 0x0
	global_atomic_cmpswap_x2 v[12:13], v7, v[10:13], s[6:7] offset:24 glc
	s_waitcnt vmcnt(0)
	v_cmp_ne_u64_e32 vcc_lo, v[12:13], v[14:15]
	s_and_b32 exec_lo, exec_lo, vcc_lo
	s_cbranch_execz .LBB4_441
; %bb.515:                              ;   in Loop: Header=BB4_442 Depth=1
	s_mov_b32 s4, 0
.LBB4_516:                              ;   Parent Loop BB4_442 Depth=1
                                        ; =>  This Inner Loop Header: Depth=2
	s_sleep 1
	global_store_dwordx2 v[2:3], v[12:13], off
	s_waitcnt_vscnt null, 0x0
	global_atomic_cmpswap_x2 v[14:15], v7, v[10:13], s[6:7] offset:24 glc
	s_waitcnt vmcnt(0)
	v_cmp_eq_u64_e32 vcc_lo, v[14:15], v[12:13]
	v_mov_b32_e32 v12, v14
	v_mov_b32_e32 v13, v15
	s_or_b32 s4, vcc_lo, s4
	s_andn2_b32 exec_lo, exec_lo, s4
	s_cbranch_execnz .LBB4_516
	s_branch .LBB4_441
.LBB4_517:
	s_branch .LBB4_546
.LBB4_518:
                                        ; implicit-def: $vgpr0_vgpr1
	s_cbranch_execz .LBB4_546
; %bb.519:
	v_readfirstlane_b32 s4, v32
	v_mov_b32_e32 v7, 0
	v_mov_b32_e32 v8, 0
	v_cmp_eq_u32_e64 s4, s4, v32
	s_and_saveexec_b32 s5, s4
	s_cbranch_execz .LBB4_525
; %bb.520:
	s_waitcnt vmcnt(0)
	v_mov_b32_e32 v0, 0
	s_mov_b32 s10, exec_lo
	global_load_dwordx2 v[9:10], v0, s[6:7] offset:24 glc dlc
	s_waitcnt vmcnt(0)
	buffer_gl1_inv
	buffer_gl0_inv
	s_clause 0x1
	global_load_dwordx2 v[1:2], v0, s[6:7] offset:40
	global_load_dwordx2 v[6:7], v0, s[6:7]
	s_waitcnt vmcnt(1)
	v_and_b32_e32 v2, v2, v10
	v_and_b32_e32 v1, v1, v9
	v_mul_lo_u32 v2, v2, 24
	v_mul_hi_u32 v3, v1, 24
	v_mul_lo_u32 v1, v1, 24
	v_add_nc_u32_e32 v2, v3, v2
	s_waitcnt vmcnt(0)
	v_add_co_u32 v1, vcc_lo, v6, v1
	v_add_co_ci_u32_e32 v2, vcc_lo, v7, v2, vcc_lo
	global_load_dwordx2 v[7:8], v[1:2], off glc dlc
	s_waitcnt vmcnt(0)
	global_atomic_cmpswap_x2 v[7:8], v0, v[7:10], s[6:7] offset:24 glc
	s_waitcnt vmcnt(0)
	buffer_gl1_inv
	buffer_gl0_inv
	v_cmpx_ne_u64_e64 v[7:8], v[9:10]
	s_cbranch_execz .LBB4_524
; %bb.521:
	s_mov_b32 s11, 0
	.p2align	6
.LBB4_522:                              ; =>This Inner Loop Header: Depth=1
	s_sleep 1
	s_clause 0x1
	global_load_dwordx2 v[1:2], v0, s[6:7] offset:40
	global_load_dwordx2 v[11:12], v0, s[6:7]
	v_mov_b32_e32 v10, v8
	v_mov_b32_e32 v9, v7
	s_waitcnt vmcnt(1)
	v_and_b32_e32 v1, v1, v9
	v_and_b32_e32 v2, v2, v10
	s_waitcnt vmcnt(0)
	v_mad_u64_u32 v[6:7], null, v1, 24, v[11:12]
	v_mov_b32_e32 v1, v7
	v_mad_u64_u32 v[1:2], null, v2, 24, v[1:2]
	v_mov_b32_e32 v7, v1
	global_load_dwordx2 v[7:8], v[6:7], off glc dlc
	s_waitcnt vmcnt(0)
	global_atomic_cmpswap_x2 v[7:8], v0, v[7:10], s[6:7] offset:24 glc
	s_waitcnt vmcnt(0)
	buffer_gl1_inv
	buffer_gl0_inv
	v_cmp_eq_u64_e32 vcc_lo, v[7:8], v[9:10]
	s_or_b32 s11, vcc_lo, s11
	s_andn2_b32 exec_lo, exec_lo, s11
	s_cbranch_execnz .LBB4_522
; %bb.523:
	s_or_b32 exec_lo, exec_lo, s11
.LBB4_524:
	s_or_b32 exec_lo, exec_lo, s10
.LBB4_525:
	s_or_b32 exec_lo, exec_lo, s5
	v_mov_b32_e32 v6, 0
	v_readfirstlane_b32 s10, v7
	v_readfirstlane_b32 s11, v8
	s_mov_b32 s5, exec_lo
	s_clause 0x1
	global_load_dwordx2 v[9:10], v6, s[6:7] offset:40
	global_load_dwordx4 v[0:3], v6, s[6:7]
	s_waitcnt vmcnt(1)
	v_readfirstlane_b32 s16, v9
	v_readfirstlane_b32 s17, v10
	s_and_b64 s[16:17], s[10:11], s[16:17]
	s_mul_i32 s18, s17, 24
	s_mul_hi_u32 s19, s16, 24
	s_mul_i32 s20, s16, 24
	s_add_i32 s19, s19, s18
	s_waitcnt vmcnt(0)
	v_add_co_u32 v8, vcc_lo, v0, s20
	v_add_co_ci_u32_e32 v9, vcc_lo, s19, v1, vcc_lo
	s_and_saveexec_b32 s18, s4
	s_cbranch_execz .LBB4_527
; %bb.526:
	v_mov_b32_e32 v10, s5
	v_mov_b32_e32 v11, v6
	;; [unrolled: 1-line block ×4, first 2 shown]
	global_store_dwordx4 v[8:9], v[10:13], off offset:8
.LBB4_527:
	s_or_b32 exec_lo, exec_lo, s18
	s_lshl_b64 s[16:17], s[16:17], 12
	v_and_or_b32 v4, 0xffffff1f, v4, 32
	v_add_co_u32 v2, vcc_lo, v2, s16
	v_add_co_ci_u32_e32 v3, vcc_lo, s17, v3, vcc_lo
	s_mov_b32 s16, 0
	v_add_co_u32 v10, vcc_lo, v2, v31
	s_mov_b32 s17, s16
	s_mov_b32 s18, s16
	;; [unrolled: 1-line block ×3, first 2 shown]
	v_mov_b32_e32 v7, v6
	v_readfirstlane_b32 s20, v2
	v_readfirstlane_b32 s21, v3
	v_mov_b32_e32 v12, s16
	v_add_co_ci_u32_e32 v11, vcc_lo, 0, v3, vcc_lo
	v_mov_b32_e32 v13, s17
	v_mov_b32_e32 v14, s18
	;; [unrolled: 1-line block ×3, first 2 shown]
	global_store_dwordx4 v31, v[4:7], s[20:21]
	global_store_dwordx4 v31, v[12:15], s[20:21] offset:16
	global_store_dwordx4 v31, v[12:15], s[20:21] offset:32
	;; [unrolled: 1-line block ×3, first 2 shown]
	s_and_saveexec_b32 s5, s4
	s_cbranch_execz .LBB4_535
; %bb.528:
	v_mov_b32_e32 v6, 0
	v_mov_b32_e32 v12, s10
	;; [unrolled: 1-line block ×3, first 2 shown]
	s_clause 0x1
	global_load_dwordx2 v[14:15], v6, s[6:7] offset:32 glc dlc
	global_load_dwordx2 v[2:3], v6, s[6:7] offset:40
	s_waitcnt vmcnt(0)
	v_readfirstlane_b32 s16, v2
	v_readfirstlane_b32 s17, v3
	s_and_b64 s[16:17], s[16:17], s[10:11]
	s_mul_i32 s17, s17, 24
	s_mul_hi_u32 s18, s16, 24
	s_mul_i32 s16, s16, 24
	s_add_i32 s18, s18, s17
	v_add_co_u32 v4, vcc_lo, v0, s16
	v_add_co_ci_u32_e32 v5, vcc_lo, s18, v1, vcc_lo
	s_mov_b32 s16, exec_lo
	global_store_dwordx2 v[4:5], v[14:15], off
	s_waitcnt_vscnt null, 0x0
	global_atomic_cmpswap_x2 v[2:3], v6, v[12:15], s[6:7] offset:32 glc
	s_waitcnt vmcnt(0)
	v_cmpx_ne_u64_e64 v[2:3], v[14:15]
	s_cbranch_execz .LBB4_531
; %bb.529:
	s_mov_b32 s17, 0
.LBB4_530:                              ; =>This Inner Loop Header: Depth=1
	v_mov_b32_e32 v0, s10
	v_mov_b32_e32 v1, s11
	s_sleep 1
	global_store_dwordx2 v[4:5], v[2:3], off
	s_waitcnt_vscnt null, 0x0
	global_atomic_cmpswap_x2 v[0:1], v6, v[0:3], s[6:7] offset:32 glc
	s_waitcnt vmcnt(0)
	v_cmp_eq_u64_e32 vcc_lo, v[0:1], v[2:3]
	v_mov_b32_e32 v3, v1
	v_mov_b32_e32 v2, v0
	s_or_b32 s17, vcc_lo, s17
	s_andn2_b32 exec_lo, exec_lo, s17
	s_cbranch_execnz .LBB4_530
.LBB4_531:
	s_or_b32 exec_lo, exec_lo, s16
	v_mov_b32_e32 v3, 0
	s_mov_b32 s17, exec_lo
	s_mov_b32 s16, exec_lo
	v_mbcnt_lo_u32_b32 v2, s17, 0
	global_load_dwordx2 v[0:1], v3, s[6:7] offset:16
	v_cmpx_eq_u32_e32 0, v2
	s_cbranch_execz .LBB4_533
; %bb.532:
	s_bcnt1_i32_b32 s17, s17
	v_mov_b32_e32 v2, s17
	s_waitcnt vmcnt(0)
	global_atomic_add_x2 v[0:1], v[2:3], off offset:8
.LBB4_533:
	s_or_b32 exec_lo, exec_lo, s16
	s_waitcnt vmcnt(0)
	global_load_dwordx2 v[2:3], v[0:1], off offset:16
	s_waitcnt vmcnt(0)
	v_cmp_eq_u64_e32 vcc_lo, 0, v[2:3]
	s_cbranch_vccnz .LBB4_535
; %bb.534:
	global_load_dword v0, v[0:1], off offset:24
	v_mov_b32_e32 v1, 0
	s_waitcnt vmcnt(0)
	v_and_b32_e32 v4, 0x7fffff, v0
	s_waitcnt_vscnt null, 0x0
	global_store_dwordx2 v[2:3], v[0:1], off
	v_readfirstlane_b32 m0, v4
	s_sendmsg sendmsg(MSG_INTERRUPT)
.LBB4_535:
	s_or_b32 exec_lo, exec_lo, s5
	s_branch .LBB4_539
	.p2align	6
.LBB4_536:                              ;   in Loop: Header=BB4_539 Depth=1
	s_or_b32 exec_lo, exec_lo, s5
	v_readfirstlane_b32 s5, v0
	s_cmp_eq_u32 s5, 0
	s_cbranch_scc1 .LBB4_538
; %bb.537:                              ;   in Loop: Header=BB4_539 Depth=1
	s_sleep 1
	s_cbranch_execnz .LBB4_539
	s_branch .LBB4_541
	.p2align	6
.LBB4_538:
	s_branch .LBB4_541
.LBB4_539:                              ; =>This Inner Loop Header: Depth=1
	v_mov_b32_e32 v0, 1
	s_and_saveexec_b32 s5, s4
	s_cbranch_execz .LBB4_536
; %bb.540:                              ;   in Loop: Header=BB4_539 Depth=1
	global_load_dword v0, v[8:9], off offset:20 glc dlc
	s_waitcnt vmcnt(0)
	buffer_gl1_inv
	buffer_gl0_inv
	v_and_b32_e32 v0, 1, v0
	s_branch .LBB4_536
.LBB4_541:
	global_load_dwordx2 v[0:1], v[10:11], off
	s_and_saveexec_b32 s5, s4
	s_cbranch_execz .LBB4_545
; %bb.542:
	v_mov_b32_e32 v8, 0
	s_clause 0x2
	global_load_dwordx2 v[4:5], v8, s[6:7] offset:40
	global_load_dwordx2 v[9:10], v8, s[6:7] offset:24 glc dlc
	global_load_dwordx2 v[6:7], v8, s[6:7]
	s_waitcnt vmcnt(2)
	v_add_co_u32 v11, vcc_lo, v4, 1
	v_add_co_ci_u32_e32 v12, vcc_lo, 0, v5, vcc_lo
	v_add_co_u32 v2, vcc_lo, v11, s10
	v_add_co_ci_u32_e32 v3, vcc_lo, s11, v12, vcc_lo
	v_cmp_eq_u64_e32 vcc_lo, 0, v[2:3]
	v_cndmask_b32_e32 v3, v3, v12, vcc_lo
	v_cndmask_b32_e32 v2, v2, v11, vcc_lo
	v_and_b32_e32 v5, v3, v5
	v_and_b32_e32 v4, v2, v4
	v_mul_lo_u32 v5, v5, 24
	v_mul_hi_u32 v11, v4, 24
	v_mul_lo_u32 v4, v4, 24
	v_add_nc_u32_e32 v5, v11, v5
	s_waitcnt vmcnt(0)
	v_add_co_u32 v6, vcc_lo, v6, v4
	v_mov_b32_e32 v4, v9
	v_add_co_ci_u32_e32 v7, vcc_lo, v7, v5, vcc_lo
	v_mov_b32_e32 v5, v10
	global_store_dwordx2 v[6:7], v[9:10], off
	s_waitcnt_vscnt null, 0x0
	global_atomic_cmpswap_x2 v[4:5], v8, v[2:5], s[6:7] offset:24 glc
	s_waitcnt vmcnt(0)
	v_cmp_ne_u64_e32 vcc_lo, v[4:5], v[9:10]
	s_and_b32 exec_lo, exec_lo, vcc_lo
	s_cbranch_execz .LBB4_545
; %bb.543:
	s_mov_b32 s4, 0
.LBB4_544:                              ; =>This Inner Loop Header: Depth=1
	s_sleep 1
	global_store_dwordx2 v[6:7], v[4:5], off
	s_waitcnt_vscnt null, 0x0
	global_atomic_cmpswap_x2 v[9:10], v8, v[2:5], s[6:7] offset:24 glc
	s_waitcnt vmcnt(0)
	v_cmp_eq_u64_e32 vcc_lo, v[9:10], v[4:5]
	v_mov_b32_e32 v4, v9
	v_mov_b32_e32 v5, v10
	s_or_b32 s4, vcc_lo, s4
	s_andn2_b32 exec_lo, exec_lo, s4
	s_cbranch_execnz .LBB4_544
.LBB4_545:
	s_or_b32 exec_lo, exec_lo, s5
.LBB4_546:
	s_getpc_b64 s[10:11]
	s_add_u32 s10, s10, .str.1@rel32@lo+4
	s_addc_u32 s11, s11, .str.1@rel32@hi+12
	s_cmp_lg_u64 s[10:11], 0
	s_cbranch_scc0 .LBB4_625
; %bb.547:
	s_waitcnt vmcnt(0)
	v_and_b32_e32 v6, -3, v0
	v_mov_b32_e32 v7, v1
	v_mov_b32_e32 v3, 0
	;; [unrolled: 1-line block ×4, first 2 shown]
	s_mov_b64 s[16:17], 0x53
	s_branch .LBB4_549
.LBB4_548:                              ;   in Loop: Header=BB4_549 Depth=1
	s_or_b32 exec_lo, exec_lo, s5
	s_sub_u32 s16, s16, s18
	s_subb_u32 s17, s17, s19
	s_add_u32 s10, s10, s18
	s_addc_u32 s11, s11, s19
	s_cmp_lg_u64 s[16:17], 0
	s_cbranch_scc0 .LBB4_624
.LBB4_549:                              ; =>This Loop Header: Depth=1
                                        ;     Child Loop BB4_558 Depth 2
                                        ;     Child Loop BB4_554 Depth 2
                                        ;     Child Loop BB4_566 Depth 2
                                        ;     Child Loop BB4_573 Depth 2
                                        ;     Child Loop BB4_580 Depth 2
                                        ;     Child Loop BB4_587 Depth 2
                                        ;     Child Loop BB4_594 Depth 2
                                        ;     Child Loop BB4_601 Depth 2
                                        ;     Child Loop BB4_609 Depth 2
                                        ;     Child Loop BB4_618 Depth 2
                                        ;     Child Loop BB4_623 Depth 2
	v_cmp_lt_u64_e64 s4, s[16:17], 56
	v_cmp_gt_u64_e64 s5, s[16:17], 7
                                        ; implicit-def: $sgpr25
	s_and_b32 s4, s4, exec_lo
	s_cselect_b32 s19, s17, 0
	s_cselect_b32 s18, s16, 56
	s_and_b32 vcc_lo, exec_lo, s5
	s_mov_b32 s4, -1
	s_cbranch_vccz .LBB4_556
; %bb.550:                              ;   in Loop: Header=BB4_549 Depth=1
	s_andn2_b32 vcc_lo, exec_lo, s4
	s_mov_b64 s[4:5], s[10:11]
	s_cbranch_vccz .LBB4_560
.LBB4_551:                              ;   in Loop: Header=BB4_549 Depth=1
	s_cmp_gt_u32 s25, 7
	s_cbranch_scc1 .LBB4_561
.LBB4_552:                              ;   in Loop: Header=BB4_549 Depth=1
	v_mov_b32_e32 v10, 0
	v_mov_b32_e32 v11, 0
	s_cmp_eq_u32 s25, 0
	s_cbranch_scc1 .LBB4_555
; %bb.553:                              ;   in Loop: Header=BB4_549 Depth=1
	s_mov_b64 s[20:21], 0
	s_mov_b64 s[22:23], 0
.LBB4_554:                              ;   Parent Loop BB4_549 Depth=1
                                        ; =>  This Inner Loop Header: Depth=2
	s_add_u32 s26, s4, s22
	s_addc_u32 s27, s5, s23
	s_add_u32 s22, s22, 1
	global_load_ubyte v2, v3, s[26:27]
	s_addc_u32 s23, s23, 0
	s_waitcnt vmcnt(0)
	v_and_b32_e32 v2, 0xffff, v2
	v_lshlrev_b64 v[12:13], s20, v[2:3]
	s_add_u32 s20, s20, 8
	s_addc_u32 s21, s21, 0
	s_cmp_lg_u32 s25, s22
	v_or_b32_e32 v10, v12, v10
	v_or_b32_e32 v11, v13, v11
	s_cbranch_scc1 .LBB4_554
.LBB4_555:                              ;   in Loop: Header=BB4_549 Depth=1
	s_mov_b32 s26, 0
	s_cbranch_execz .LBB4_562
	s_branch .LBB4_563
.LBB4_556:                              ;   in Loop: Header=BB4_549 Depth=1
	s_waitcnt vmcnt(0)
	v_mov_b32_e32 v8, 0
	v_mov_b32_e32 v9, 0
	s_cmp_eq_u64 s[16:17], 0
	s_mov_b64 s[4:5], 0
	s_cbranch_scc1 .LBB4_559
; %bb.557:                              ;   in Loop: Header=BB4_549 Depth=1
	v_mov_b32_e32 v8, 0
	v_mov_b32_e32 v9, 0
	s_lshl_b64 s[20:21], s[18:19], 3
	s_mov_b64 s[22:23], s[10:11]
.LBB4_558:                              ;   Parent Loop BB4_549 Depth=1
                                        ; =>  This Inner Loop Header: Depth=2
	global_load_ubyte v2, v3, s[22:23]
	s_waitcnt vmcnt(0)
	v_and_b32_e32 v2, 0xffff, v2
	v_lshlrev_b64 v[10:11], s4, v[2:3]
	s_add_u32 s4, s4, 8
	s_addc_u32 s5, s5, 0
	s_add_u32 s22, s22, 1
	s_addc_u32 s23, s23, 0
	s_cmp_lg_u32 s20, s4
	v_or_b32_e32 v8, v10, v8
	v_or_b32_e32 v9, v11, v9
	s_cbranch_scc1 .LBB4_558
.LBB4_559:                              ;   in Loop: Header=BB4_549 Depth=1
	s_mov_b32 s25, 0
	s_mov_b64 s[4:5], s[10:11]
	s_cbranch_execnz .LBB4_551
.LBB4_560:                              ;   in Loop: Header=BB4_549 Depth=1
	global_load_dwordx2 v[8:9], v3, s[10:11]
	s_add_i32 s25, s18, -8
	s_add_u32 s4, s10, 8
	s_addc_u32 s5, s11, 0
	s_cmp_gt_u32 s25, 7
	s_cbranch_scc0 .LBB4_552
.LBB4_561:                              ;   in Loop: Header=BB4_549 Depth=1
                                        ; implicit-def: $vgpr10_vgpr11
                                        ; implicit-def: $sgpr26
.LBB4_562:                              ;   in Loop: Header=BB4_549 Depth=1
	global_load_dwordx2 v[10:11], v3, s[4:5]
	s_add_i32 s26, s25, -8
	s_add_u32 s4, s4, 8
	s_addc_u32 s5, s5, 0
.LBB4_563:                              ;   in Loop: Header=BB4_549 Depth=1
	s_cmp_gt_u32 s26, 7
	s_cbranch_scc1 .LBB4_568
; %bb.564:                              ;   in Loop: Header=BB4_549 Depth=1
	v_mov_b32_e32 v12, 0
	v_mov_b32_e32 v13, 0
	s_cmp_eq_u32 s26, 0
	s_cbranch_scc1 .LBB4_567
; %bb.565:                              ;   in Loop: Header=BB4_549 Depth=1
	s_mov_b64 s[20:21], 0
	s_mov_b64 s[22:23], 0
.LBB4_566:                              ;   Parent Loop BB4_549 Depth=1
                                        ; =>  This Inner Loop Header: Depth=2
	s_add_u32 s28, s4, s22
	s_addc_u32 s29, s5, s23
	s_add_u32 s22, s22, 1
	global_load_ubyte v2, v3, s[28:29]
	s_addc_u32 s23, s23, 0
	s_waitcnt vmcnt(0)
	v_and_b32_e32 v2, 0xffff, v2
	v_lshlrev_b64 v[14:15], s20, v[2:3]
	s_add_u32 s20, s20, 8
	s_addc_u32 s21, s21, 0
	s_cmp_lg_u32 s26, s22
	v_or_b32_e32 v12, v14, v12
	v_or_b32_e32 v13, v15, v13
	s_cbranch_scc1 .LBB4_566
.LBB4_567:                              ;   in Loop: Header=BB4_549 Depth=1
	s_mov_b32 s25, 0
	s_cbranch_execz .LBB4_569
	s_branch .LBB4_570
.LBB4_568:                              ;   in Loop: Header=BB4_549 Depth=1
                                        ; implicit-def: $sgpr25
.LBB4_569:                              ;   in Loop: Header=BB4_549 Depth=1
	global_load_dwordx2 v[12:13], v3, s[4:5]
	s_add_i32 s25, s26, -8
	s_add_u32 s4, s4, 8
	s_addc_u32 s5, s5, 0
.LBB4_570:                              ;   in Loop: Header=BB4_549 Depth=1
	s_cmp_gt_u32 s25, 7
	s_cbranch_scc1 .LBB4_575
; %bb.571:                              ;   in Loop: Header=BB4_549 Depth=1
	v_mov_b32_e32 v14, 0
	v_mov_b32_e32 v15, 0
	s_cmp_eq_u32 s25, 0
	s_cbranch_scc1 .LBB4_574
; %bb.572:                              ;   in Loop: Header=BB4_549 Depth=1
	s_mov_b64 s[20:21], 0
	s_mov_b64 s[22:23], 0
.LBB4_573:                              ;   Parent Loop BB4_549 Depth=1
                                        ; =>  This Inner Loop Header: Depth=2
	s_add_u32 s26, s4, s22
	s_addc_u32 s27, s5, s23
	s_add_u32 s22, s22, 1
	global_load_ubyte v2, v3, s[26:27]
	s_addc_u32 s23, s23, 0
	s_waitcnt vmcnt(0)
	v_and_b32_e32 v2, 0xffff, v2
	v_lshlrev_b64 v[16:17], s20, v[2:3]
	s_add_u32 s20, s20, 8
	s_addc_u32 s21, s21, 0
	s_cmp_lg_u32 s25, s22
	v_or_b32_e32 v14, v16, v14
	v_or_b32_e32 v15, v17, v15
	s_cbranch_scc1 .LBB4_573
.LBB4_574:                              ;   in Loop: Header=BB4_549 Depth=1
	s_mov_b32 s26, 0
	s_cbranch_execz .LBB4_576
	s_branch .LBB4_577
.LBB4_575:                              ;   in Loop: Header=BB4_549 Depth=1
                                        ; implicit-def: $vgpr14_vgpr15
                                        ; implicit-def: $sgpr26
.LBB4_576:                              ;   in Loop: Header=BB4_549 Depth=1
	global_load_dwordx2 v[14:15], v3, s[4:5]
	s_add_i32 s26, s25, -8
	s_add_u32 s4, s4, 8
	s_addc_u32 s5, s5, 0
.LBB4_577:                              ;   in Loop: Header=BB4_549 Depth=1
	s_cmp_gt_u32 s26, 7
	s_cbranch_scc1 .LBB4_582
; %bb.578:                              ;   in Loop: Header=BB4_549 Depth=1
	v_mov_b32_e32 v16, 0
	v_mov_b32_e32 v17, 0
	s_cmp_eq_u32 s26, 0
	s_cbranch_scc1 .LBB4_581
; %bb.579:                              ;   in Loop: Header=BB4_549 Depth=1
	s_mov_b64 s[20:21], 0
	s_mov_b64 s[22:23], 0
.LBB4_580:                              ;   Parent Loop BB4_549 Depth=1
                                        ; =>  This Inner Loop Header: Depth=2
	s_add_u32 s28, s4, s22
	s_addc_u32 s29, s5, s23
	s_add_u32 s22, s22, 1
	global_load_ubyte v2, v3, s[28:29]
	s_addc_u32 s23, s23, 0
	s_waitcnt vmcnt(0)
	v_and_b32_e32 v2, 0xffff, v2
	v_lshlrev_b64 v[18:19], s20, v[2:3]
	s_add_u32 s20, s20, 8
	s_addc_u32 s21, s21, 0
	s_cmp_lg_u32 s26, s22
	v_or_b32_e32 v16, v18, v16
	v_or_b32_e32 v17, v19, v17
	s_cbranch_scc1 .LBB4_580
.LBB4_581:                              ;   in Loop: Header=BB4_549 Depth=1
	s_mov_b32 s25, 0
	s_cbranch_execz .LBB4_583
	s_branch .LBB4_584
.LBB4_582:                              ;   in Loop: Header=BB4_549 Depth=1
                                        ; implicit-def: $sgpr25
.LBB4_583:                              ;   in Loop: Header=BB4_549 Depth=1
	global_load_dwordx2 v[16:17], v3, s[4:5]
	s_add_i32 s25, s26, -8
	s_add_u32 s4, s4, 8
	s_addc_u32 s5, s5, 0
.LBB4_584:                              ;   in Loop: Header=BB4_549 Depth=1
	s_cmp_gt_u32 s25, 7
	s_cbranch_scc1 .LBB4_589
; %bb.585:                              ;   in Loop: Header=BB4_549 Depth=1
	v_mov_b32_e32 v18, 0
	v_mov_b32_e32 v19, 0
	s_cmp_eq_u32 s25, 0
	s_cbranch_scc1 .LBB4_588
; %bb.586:                              ;   in Loop: Header=BB4_549 Depth=1
	s_mov_b64 s[20:21], 0
	s_mov_b64 s[22:23], 0
.LBB4_587:                              ;   Parent Loop BB4_549 Depth=1
                                        ; =>  This Inner Loop Header: Depth=2
	s_add_u32 s26, s4, s22
	s_addc_u32 s27, s5, s23
	s_add_u32 s22, s22, 1
	global_load_ubyte v2, v3, s[26:27]
	s_addc_u32 s23, s23, 0
	s_waitcnt vmcnt(0)
	v_and_b32_e32 v2, 0xffff, v2
	v_lshlrev_b64 v[20:21], s20, v[2:3]
	s_add_u32 s20, s20, 8
	s_addc_u32 s21, s21, 0
	s_cmp_lg_u32 s25, s22
	v_or_b32_e32 v18, v20, v18
	v_or_b32_e32 v19, v21, v19
	s_cbranch_scc1 .LBB4_587
.LBB4_588:                              ;   in Loop: Header=BB4_549 Depth=1
	s_mov_b32 s26, 0
	s_cbranch_execz .LBB4_590
	s_branch .LBB4_591
.LBB4_589:                              ;   in Loop: Header=BB4_549 Depth=1
                                        ; implicit-def: $vgpr18_vgpr19
                                        ; implicit-def: $sgpr26
.LBB4_590:                              ;   in Loop: Header=BB4_549 Depth=1
	global_load_dwordx2 v[18:19], v3, s[4:5]
	s_add_i32 s26, s25, -8
	s_add_u32 s4, s4, 8
	s_addc_u32 s5, s5, 0
.LBB4_591:                              ;   in Loop: Header=BB4_549 Depth=1
	s_cmp_gt_u32 s26, 7
	s_cbranch_scc1 .LBB4_596
; %bb.592:                              ;   in Loop: Header=BB4_549 Depth=1
	v_mov_b32_e32 v20, 0
	v_mov_b32_e32 v21, 0
	s_cmp_eq_u32 s26, 0
	s_cbranch_scc1 .LBB4_595
; %bb.593:                              ;   in Loop: Header=BB4_549 Depth=1
	s_mov_b64 s[20:21], 0
	s_mov_b64 s[22:23], s[4:5]
.LBB4_594:                              ;   Parent Loop BB4_549 Depth=1
                                        ; =>  This Inner Loop Header: Depth=2
	global_load_ubyte v2, v3, s[22:23]
	s_add_i32 s26, s26, -1
	s_waitcnt vmcnt(0)
	v_and_b32_e32 v2, 0xffff, v2
	v_lshlrev_b64 v[22:23], s20, v[2:3]
	s_add_u32 s20, s20, 8
	s_addc_u32 s21, s21, 0
	s_add_u32 s22, s22, 1
	s_addc_u32 s23, s23, 0
	s_cmp_lg_u32 s26, 0
	v_or_b32_e32 v20, v22, v20
	v_or_b32_e32 v21, v23, v21
	s_cbranch_scc1 .LBB4_594
.LBB4_595:                              ;   in Loop: Header=BB4_549 Depth=1
	s_cbranch_execz .LBB4_597
	s_branch .LBB4_598
.LBB4_596:                              ;   in Loop: Header=BB4_549 Depth=1
.LBB4_597:                              ;   in Loop: Header=BB4_549 Depth=1
	global_load_dwordx2 v[20:21], v3, s[4:5]
.LBB4_598:                              ;   in Loop: Header=BB4_549 Depth=1
	v_readfirstlane_b32 s4, v32
	v_mov_b32_e32 v26, 0
	v_mov_b32_e32 v27, 0
	v_cmp_eq_u32_e64 s4, s4, v32
	s_and_saveexec_b32 s5, s4
	s_cbranch_execz .LBB4_604
; %bb.599:                              ;   in Loop: Header=BB4_549 Depth=1
	global_load_dwordx2 v[24:25], v3, s[6:7] offset:24 glc dlc
	s_waitcnt vmcnt(0)
	buffer_gl1_inv
	buffer_gl0_inv
	s_clause 0x1
	global_load_dwordx2 v[22:23], v3, s[6:7] offset:40
	global_load_dwordx2 v[26:27], v3, s[6:7]
	s_mov_b32 s20, exec_lo
	s_waitcnt vmcnt(1)
	v_and_b32_e32 v2, v23, v25
	v_and_b32_e32 v22, v22, v24
	v_mul_lo_u32 v2, v2, 24
	v_mul_hi_u32 v23, v22, 24
	v_mul_lo_u32 v22, v22, 24
	v_add_nc_u32_e32 v2, v23, v2
	s_waitcnt vmcnt(0)
	v_add_co_u32 v22, vcc_lo, v26, v22
	v_add_co_ci_u32_e32 v23, vcc_lo, v27, v2, vcc_lo
	global_load_dwordx2 v[22:23], v[22:23], off glc dlc
	s_waitcnt vmcnt(0)
	global_atomic_cmpswap_x2 v[26:27], v3, v[22:25], s[6:7] offset:24 glc
	s_waitcnt vmcnt(0)
	buffer_gl1_inv
	buffer_gl0_inv
	v_cmpx_ne_u64_e64 v[26:27], v[24:25]
	s_cbranch_execz .LBB4_603
; %bb.600:                              ;   in Loop: Header=BB4_549 Depth=1
	s_mov_b32 s21, 0
	.p2align	6
.LBB4_601:                              ;   Parent Loop BB4_549 Depth=1
                                        ; =>  This Inner Loop Header: Depth=2
	s_sleep 1
	s_clause 0x1
	global_load_dwordx2 v[22:23], v3, s[6:7] offset:40
	global_load_dwordx2 v[28:29], v3, s[6:7]
	v_mov_b32_e32 v24, v26
	v_mov_b32_e32 v25, v27
	s_waitcnt vmcnt(1)
	v_and_b32_e32 v2, v22, v24
	v_and_b32_e32 v22, v23, v25
	s_waitcnt vmcnt(0)
	v_mad_u64_u32 v[26:27], null, v2, 24, v[28:29]
	v_mov_b32_e32 v2, v27
	v_mad_u64_u32 v[22:23], null, v22, 24, v[2:3]
	v_mov_b32_e32 v27, v22
	global_load_dwordx2 v[22:23], v[26:27], off glc dlc
	s_waitcnt vmcnt(0)
	global_atomic_cmpswap_x2 v[26:27], v3, v[22:25], s[6:7] offset:24 glc
	s_waitcnt vmcnt(0)
	buffer_gl1_inv
	buffer_gl0_inv
	v_cmp_eq_u64_e32 vcc_lo, v[26:27], v[24:25]
	s_or_b32 s21, vcc_lo, s21
	s_andn2_b32 exec_lo, exec_lo, s21
	s_cbranch_execnz .LBB4_601
; %bb.602:                              ;   in Loop: Header=BB4_549 Depth=1
	s_or_b32 exec_lo, exec_lo, s21
.LBB4_603:                              ;   in Loop: Header=BB4_549 Depth=1
	s_or_b32 exec_lo, exec_lo, s20
.LBB4_604:                              ;   in Loop: Header=BB4_549 Depth=1
	s_or_b32 exec_lo, exec_lo, s5
	s_clause 0x1
	global_load_dwordx2 v[28:29], v3, s[6:7] offset:40
	global_load_dwordx4 v[22:25], v3, s[6:7]
	v_readfirstlane_b32 s20, v26
	v_readfirstlane_b32 s21, v27
	s_mov_b32 s5, exec_lo
	s_waitcnt vmcnt(1)
	v_readfirstlane_b32 s22, v28
	v_readfirstlane_b32 s23, v29
	s_and_b64 s[22:23], s[20:21], s[22:23]
	s_mul_i32 s25, s23, 24
	s_mul_hi_u32 s26, s22, 24
	s_mul_i32 s27, s22, 24
	s_add_i32 s26, s26, s25
	s_waitcnt vmcnt(0)
	v_add_co_u32 v26, vcc_lo, v22, s27
	v_add_co_ci_u32_e32 v27, vcc_lo, s26, v23, vcc_lo
	s_and_saveexec_b32 s25, s4
	s_cbranch_execz .LBB4_606
; %bb.605:                              ;   in Loop: Header=BB4_549 Depth=1
	v_mov_b32_e32 v2, s5
	global_store_dwordx4 v[26:27], v[2:5], off offset:8
.LBB4_606:                              ;   in Loop: Header=BB4_549 Depth=1
	s_or_b32 exec_lo, exec_lo, s25
	s_lshl_b64 s[22:23], s[22:23], 12
	v_or_b32_e32 v2, 2, v6
	v_add_co_u32 v24, vcc_lo, v24, s22
	v_add_co_ci_u32_e32 v25, vcc_lo, s23, v25, vcc_lo
	v_cmp_gt_u64_e64 vcc_lo, s[16:17], 56
	s_lshl_b32 s5, s18, 2
	v_readfirstlane_b32 s22, v24
	s_add_i32 s5, s5, 28
	v_readfirstlane_b32 s23, v25
	s_and_b32 s5, s5, 0x1e0
	v_cndmask_b32_e32 v2, v2, v6, vcc_lo
	v_and_or_b32 v6, 0xffffff1f, v2, s5
	global_store_dwordx4 v31, v[10:13], s[22:23] offset:16
	global_store_dwordx4 v31, v[6:9], s[22:23]
	global_store_dwordx4 v31, v[14:17], s[22:23] offset:32
	global_store_dwordx4 v31, v[18:21], s[22:23] offset:48
	s_and_saveexec_b32 s5, s4
	s_cbranch_execz .LBB4_614
; %bb.607:                              ;   in Loop: Header=BB4_549 Depth=1
	s_clause 0x1
	global_load_dwordx2 v[14:15], v3, s[6:7] offset:32 glc dlc
	global_load_dwordx2 v[6:7], v3, s[6:7] offset:40
	v_mov_b32_e32 v12, s20
	v_mov_b32_e32 v13, s21
	s_waitcnt vmcnt(0)
	v_readfirstlane_b32 s22, v6
	v_readfirstlane_b32 s23, v7
	s_and_b64 s[22:23], s[22:23], s[20:21]
	s_mul_i32 s23, s23, 24
	s_mul_hi_u32 s25, s22, 24
	s_mul_i32 s22, s22, 24
	s_add_i32 s25, s25, s23
	v_add_co_u32 v10, vcc_lo, v22, s22
	v_add_co_ci_u32_e32 v11, vcc_lo, s25, v23, vcc_lo
	s_mov_b32 s22, exec_lo
	global_store_dwordx2 v[10:11], v[14:15], off
	s_waitcnt_vscnt null, 0x0
	global_atomic_cmpswap_x2 v[8:9], v3, v[12:15], s[6:7] offset:32 glc
	s_waitcnt vmcnt(0)
	v_cmpx_ne_u64_e64 v[8:9], v[14:15]
	s_cbranch_execz .LBB4_610
; %bb.608:                              ;   in Loop: Header=BB4_549 Depth=1
	s_mov_b32 s23, 0
.LBB4_609:                              ;   Parent Loop BB4_549 Depth=1
                                        ; =>  This Inner Loop Header: Depth=2
	v_mov_b32_e32 v6, s20
	v_mov_b32_e32 v7, s21
	s_sleep 1
	global_store_dwordx2 v[10:11], v[8:9], off
	s_waitcnt_vscnt null, 0x0
	global_atomic_cmpswap_x2 v[6:7], v3, v[6:9], s[6:7] offset:32 glc
	s_waitcnt vmcnt(0)
	v_cmp_eq_u64_e32 vcc_lo, v[6:7], v[8:9]
	v_mov_b32_e32 v9, v7
	v_mov_b32_e32 v8, v6
	s_or_b32 s23, vcc_lo, s23
	s_andn2_b32 exec_lo, exec_lo, s23
	s_cbranch_execnz .LBB4_609
.LBB4_610:                              ;   in Loop: Header=BB4_549 Depth=1
	s_or_b32 exec_lo, exec_lo, s22
	global_load_dwordx2 v[6:7], v3, s[6:7] offset:16
	s_mov_b32 s23, exec_lo
	s_mov_b32 s22, exec_lo
	v_mbcnt_lo_u32_b32 v2, s23, 0
	v_cmpx_eq_u32_e32 0, v2
	s_cbranch_execz .LBB4_612
; %bb.611:                              ;   in Loop: Header=BB4_549 Depth=1
	s_bcnt1_i32_b32 s23, s23
	v_mov_b32_e32 v2, s23
	s_waitcnt vmcnt(0)
	global_atomic_add_x2 v[6:7], v[2:3], off offset:8
.LBB4_612:                              ;   in Loop: Header=BB4_549 Depth=1
	s_or_b32 exec_lo, exec_lo, s22
	s_waitcnt vmcnt(0)
	global_load_dwordx2 v[8:9], v[6:7], off offset:16
	s_waitcnt vmcnt(0)
	v_cmp_eq_u64_e32 vcc_lo, 0, v[8:9]
	s_cbranch_vccnz .LBB4_614
; %bb.613:                              ;   in Loop: Header=BB4_549 Depth=1
	global_load_dword v2, v[6:7], off offset:24
	s_waitcnt vmcnt(0)
	v_and_b32_e32 v6, 0x7fffff, v2
	s_waitcnt_vscnt null, 0x0
	global_store_dwordx2 v[8:9], v[2:3], off
	v_readfirstlane_b32 m0, v6
	s_sendmsg sendmsg(MSG_INTERRUPT)
.LBB4_614:                              ;   in Loop: Header=BB4_549 Depth=1
	s_or_b32 exec_lo, exec_lo, s5
	v_add_co_u32 v6, vcc_lo, v24, v31
	v_add_co_ci_u32_e32 v7, vcc_lo, 0, v25, vcc_lo
	s_branch .LBB4_618
	.p2align	6
.LBB4_615:                              ;   in Loop: Header=BB4_618 Depth=2
	s_or_b32 exec_lo, exec_lo, s5
	v_readfirstlane_b32 s5, v2
	s_cmp_eq_u32 s5, 0
	s_cbranch_scc1 .LBB4_617
; %bb.616:                              ;   in Loop: Header=BB4_618 Depth=2
	s_sleep 1
	s_cbranch_execnz .LBB4_618
	s_branch .LBB4_620
	.p2align	6
.LBB4_617:                              ;   in Loop: Header=BB4_549 Depth=1
	s_branch .LBB4_620
.LBB4_618:                              ;   Parent Loop BB4_549 Depth=1
                                        ; =>  This Inner Loop Header: Depth=2
	v_mov_b32_e32 v2, 1
	s_and_saveexec_b32 s5, s4
	s_cbranch_execz .LBB4_615
; %bb.619:                              ;   in Loop: Header=BB4_618 Depth=2
	global_load_dword v2, v[26:27], off offset:20 glc dlc
	s_waitcnt vmcnt(0)
	buffer_gl1_inv
	buffer_gl0_inv
	v_and_b32_e32 v2, 1, v2
	s_branch .LBB4_615
.LBB4_620:                              ;   in Loop: Header=BB4_549 Depth=1
	global_load_dwordx4 v[6:9], v[6:7], off
	s_and_saveexec_b32 s5, s4
	s_cbranch_execz .LBB4_548
; %bb.621:                              ;   in Loop: Header=BB4_549 Depth=1
	s_clause 0x2
	global_load_dwordx2 v[10:11], v3, s[6:7] offset:40
	global_load_dwordx2 v[14:15], v3, s[6:7] offset:24 glc dlc
	global_load_dwordx2 v[12:13], v3, s[6:7]
	s_waitcnt vmcnt(2)
	v_add_co_u32 v2, vcc_lo, v10, 1
	v_add_co_ci_u32_e32 v16, vcc_lo, 0, v11, vcc_lo
	v_add_co_u32 v8, vcc_lo, v2, s20
	v_add_co_ci_u32_e32 v9, vcc_lo, s21, v16, vcc_lo
	v_cmp_eq_u64_e32 vcc_lo, 0, v[8:9]
	v_cndmask_b32_e32 v9, v9, v16, vcc_lo
	v_cndmask_b32_e32 v8, v8, v2, vcc_lo
	v_and_b32_e32 v2, v9, v11
	v_and_b32_e32 v10, v8, v10
	v_mul_lo_u32 v2, v2, 24
	v_mul_hi_u32 v11, v10, 24
	v_mul_lo_u32 v10, v10, 24
	v_add_nc_u32_e32 v2, v11, v2
	s_waitcnt vmcnt(0)
	v_add_co_u32 v12, vcc_lo, v12, v10
	v_mov_b32_e32 v10, v14
	v_mov_b32_e32 v11, v15
	v_add_co_ci_u32_e32 v13, vcc_lo, v13, v2, vcc_lo
	global_store_dwordx2 v[12:13], v[14:15], off
	s_waitcnt_vscnt null, 0x0
	global_atomic_cmpswap_x2 v[10:11], v3, v[8:11], s[6:7] offset:24 glc
	s_waitcnt vmcnt(0)
	v_cmp_ne_u64_e32 vcc_lo, v[10:11], v[14:15]
	s_and_b32 exec_lo, exec_lo, vcc_lo
	s_cbranch_execz .LBB4_548
; %bb.622:                              ;   in Loop: Header=BB4_549 Depth=1
	s_mov_b32 s4, 0
.LBB4_623:                              ;   Parent Loop BB4_549 Depth=1
                                        ; =>  This Inner Loop Header: Depth=2
	s_sleep 1
	global_store_dwordx2 v[12:13], v[10:11], off
	s_waitcnt_vscnt null, 0x0
	global_atomic_cmpswap_x2 v[14:15], v3, v[8:11], s[6:7] offset:24 glc
	s_waitcnt vmcnt(0)
	v_cmp_eq_u64_e32 vcc_lo, v[14:15], v[10:11]
	v_mov_b32_e32 v10, v14
	v_mov_b32_e32 v11, v15
	s_or_b32 s4, vcc_lo, s4
	s_andn2_b32 exec_lo, exec_lo, s4
	s_cbranch_execnz .LBB4_623
	s_branch .LBB4_548
.LBB4_624:
	s_branch .LBB4_653
.LBB4_625:
	s_cbranch_execz .LBB4_653
; %bb.626:
	v_readfirstlane_b32 s4, v32
	s_waitcnt vmcnt(0)
	v_mov_b32_e32 v8, 0
	v_mov_b32_e32 v9, 0
	v_cmp_eq_u32_e64 s4, s4, v32
	s_and_saveexec_b32 s5, s4
	s_cbranch_execz .LBB4_632
; %bb.627:
	v_mov_b32_e32 v2, 0
	s_mov_b32 s10, exec_lo
	global_load_dwordx2 v[5:6], v2, s[6:7] offset:24 glc dlc
	s_waitcnt vmcnt(0)
	buffer_gl1_inv
	buffer_gl0_inv
	s_clause 0x1
	global_load_dwordx2 v[3:4], v2, s[6:7] offset:40
	global_load_dwordx2 v[7:8], v2, s[6:7]
	s_waitcnt vmcnt(1)
	v_and_b32_e32 v4, v4, v6
	v_and_b32_e32 v3, v3, v5
	v_mul_lo_u32 v4, v4, 24
	v_mul_hi_u32 v9, v3, 24
	v_mul_lo_u32 v3, v3, 24
	v_add_nc_u32_e32 v4, v9, v4
	s_waitcnt vmcnt(0)
	v_add_co_u32 v3, vcc_lo, v7, v3
	v_add_co_ci_u32_e32 v4, vcc_lo, v8, v4, vcc_lo
	global_load_dwordx2 v[3:4], v[3:4], off glc dlc
	s_waitcnt vmcnt(0)
	global_atomic_cmpswap_x2 v[8:9], v2, v[3:6], s[6:7] offset:24 glc
	s_waitcnt vmcnt(0)
	buffer_gl1_inv
	buffer_gl0_inv
	v_cmpx_ne_u64_e64 v[8:9], v[5:6]
	s_cbranch_execz .LBB4_631
; %bb.628:
	s_mov_b32 s11, 0
	.p2align	6
.LBB4_629:                              ; =>This Inner Loop Header: Depth=1
	s_sleep 1
	s_clause 0x1
	global_load_dwordx2 v[3:4], v2, s[6:7] offset:40
	global_load_dwordx2 v[10:11], v2, s[6:7]
	v_mov_b32_e32 v5, v8
	v_mov_b32_e32 v6, v9
	s_waitcnt vmcnt(1)
	v_and_b32_e32 v3, v3, v5
	v_and_b32_e32 v4, v4, v6
	s_waitcnt vmcnt(0)
	v_mad_u64_u32 v[7:8], null, v3, 24, v[10:11]
	v_mov_b32_e32 v3, v8
	v_mad_u64_u32 v[3:4], null, v4, 24, v[3:4]
	v_mov_b32_e32 v8, v3
	global_load_dwordx2 v[3:4], v[7:8], off glc dlc
	s_waitcnt vmcnt(0)
	global_atomic_cmpswap_x2 v[8:9], v2, v[3:6], s[6:7] offset:24 glc
	s_waitcnt vmcnt(0)
	buffer_gl1_inv
	buffer_gl0_inv
	v_cmp_eq_u64_e32 vcc_lo, v[8:9], v[5:6]
	s_or_b32 s11, vcc_lo, s11
	s_andn2_b32 exec_lo, exec_lo, s11
	s_cbranch_execnz .LBB4_629
; %bb.630:
	s_or_b32 exec_lo, exec_lo, s11
.LBB4_631:
	s_or_b32 exec_lo, exec_lo, s10
.LBB4_632:
	s_or_b32 exec_lo, exec_lo, s5
	v_mov_b32_e32 v2, 0
	v_readfirstlane_b32 s10, v8
	v_readfirstlane_b32 s11, v9
	s_mov_b32 s5, exec_lo
	s_clause 0x1
	global_load_dwordx2 v[10:11], v2, s[6:7] offset:40
	global_load_dwordx4 v[4:7], v2, s[6:7]
	s_waitcnt vmcnt(1)
	v_readfirstlane_b32 s16, v10
	v_readfirstlane_b32 s17, v11
	s_and_b64 s[16:17], s[10:11], s[16:17]
	s_mul_i32 s18, s17, 24
	s_mul_hi_u32 s19, s16, 24
	s_mul_i32 s20, s16, 24
	s_add_i32 s19, s19, s18
	s_waitcnt vmcnt(0)
	v_add_co_u32 v8, vcc_lo, v4, s20
	v_add_co_ci_u32_e32 v9, vcc_lo, s19, v5, vcc_lo
	s_and_saveexec_b32 s18, s4
	s_cbranch_execz .LBB4_634
; %bb.633:
	v_mov_b32_e32 v10, s5
	v_mov_b32_e32 v11, v2
	;; [unrolled: 1-line block ×4, first 2 shown]
	global_store_dwordx4 v[8:9], v[10:13], off offset:8
.LBB4_634:
	s_or_b32 exec_lo, exec_lo, s18
	s_lshl_b64 s[16:17], s[16:17], 12
	v_and_or_b32 v0, 0xffffff1d, v0, 34
	v_add_co_u32 v6, vcc_lo, v6, s16
	v_add_co_ci_u32_e32 v7, vcc_lo, s17, v7, vcc_lo
	s_mov_b32 s16, 0
	v_mov_b32_e32 v3, v2
	s_mov_b32 s17, s16
	s_mov_b32 s18, s16
	;; [unrolled: 1-line block ×3, first 2 shown]
	v_readfirstlane_b32 s20, v6
	v_readfirstlane_b32 s21, v7
	v_mov_b32_e32 v10, s16
	v_mov_b32_e32 v11, s17
	;; [unrolled: 1-line block ×4, first 2 shown]
	global_store_dwordx4 v31, v[0:3], s[20:21]
	global_store_dwordx4 v31, v[10:13], s[20:21] offset:16
	global_store_dwordx4 v31, v[10:13], s[20:21] offset:32
	;; [unrolled: 1-line block ×3, first 2 shown]
	s_and_saveexec_b32 s5, s4
	s_cbranch_execz .LBB4_642
; %bb.635:
	v_mov_b32_e32 v6, 0
	v_mov_b32_e32 v10, s10
	;; [unrolled: 1-line block ×3, first 2 shown]
	s_clause 0x1
	global_load_dwordx2 v[12:13], v6, s[6:7] offset:32 glc dlc
	global_load_dwordx2 v[0:1], v6, s[6:7] offset:40
	s_waitcnt vmcnt(0)
	v_readfirstlane_b32 s16, v0
	v_readfirstlane_b32 s17, v1
	s_and_b64 s[16:17], s[16:17], s[10:11]
	s_mul_i32 s17, s17, 24
	s_mul_hi_u32 s18, s16, 24
	s_mul_i32 s16, s16, 24
	s_add_i32 s18, s18, s17
	v_add_co_u32 v4, vcc_lo, v4, s16
	v_add_co_ci_u32_e32 v5, vcc_lo, s18, v5, vcc_lo
	s_mov_b32 s16, exec_lo
	global_store_dwordx2 v[4:5], v[12:13], off
	s_waitcnt_vscnt null, 0x0
	global_atomic_cmpswap_x2 v[2:3], v6, v[10:13], s[6:7] offset:32 glc
	s_waitcnt vmcnt(0)
	v_cmpx_ne_u64_e64 v[2:3], v[12:13]
	s_cbranch_execz .LBB4_638
; %bb.636:
	s_mov_b32 s17, 0
.LBB4_637:                              ; =>This Inner Loop Header: Depth=1
	v_mov_b32_e32 v0, s10
	v_mov_b32_e32 v1, s11
	s_sleep 1
	global_store_dwordx2 v[4:5], v[2:3], off
	s_waitcnt_vscnt null, 0x0
	global_atomic_cmpswap_x2 v[0:1], v6, v[0:3], s[6:7] offset:32 glc
	s_waitcnt vmcnt(0)
	v_cmp_eq_u64_e32 vcc_lo, v[0:1], v[2:3]
	v_mov_b32_e32 v3, v1
	v_mov_b32_e32 v2, v0
	s_or_b32 s17, vcc_lo, s17
	s_andn2_b32 exec_lo, exec_lo, s17
	s_cbranch_execnz .LBB4_637
.LBB4_638:
	s_or_b32 exec_lo, exec_lo, s16
	v_mov_b32_e32 v3, 0
	s_mov_b32 s17, exec_lo
	s_mov_b32 s16, exec_lo
	v_mbcnt_lo_u32_b32 v2, s17, 0
	global_load_dwordx2 v[0:1], v3, s[6:7] offset:16
	v_cmpx_eq_u32_e32 0, v2
	s_cbranch_execz .LBB4_640
; %bb.639:
	s_bcnt1_i32_b32 s17, s17
	v_mov_b32_e32 v2, s17
	s_waitcnt vmcnt(0)
	global_atomic_add_x2 v[0:1], v[2:3], off offset:8
.LBB4_640:
	s_or_b32 exec_lo, exec_lo, s16
	s_waitcnt vmcnt(0)
	global_load_dwordx2 v[2:3], v[0:1], off offset:16
	s_waitcnt vmcnt(0)
	v_cmp_eq_u64_e32 vcc_lo, 0, v[2:3]
	s_cbranch_vccnz .LBB4_642
; %bb.641:
	global_load_dword v0, v[0:1], off offset:24
	v_mov_b32_e32 v1, 0
	s_waitcnt vmcnt(0)
	v_and_b32_e32 v4, 0x7fffff, v0
	s_waitcnt_vscnt null, 0x0
	global_store_dwordx2 v[2:3], v[0:1], off
	v_readfirstlane_b32 m0, v4
	s_sendmsg sendmsg(MSG_INTERRUPT)
.LBB4_642:
	s_or_b32 exec_lo, exec_lo, s5
	s_branch .LBB4_646
	.p2align	6
.LBB4_643:                              ;   in Loop: Header=BB4_646 Depth=1
	s_or_b32 exec_lo, exec_lo, s5
	v_readfirstlane_b32 s5, v0
	s_cmp_eq_u32 s5, 0
	s_cbranch_scc1 .LBB4_645
; %bb.644:                              ;   in Loop: Header=BB4_646 Depth=1
	s_sleep 1
	s_cbranch_execnz .LBB4_646
	s_branch .LBB4_648
	.p2align	6
.LBB4_645:
	s_branch .LBB4_648
.LBB4_646:                              ; =>This Inner Loop Header: Depth=1
	v_mov_b32_e32 v0, 1
	s_and_saveexec_b32 s5, s4
	s_cbranch_execz .LBB4_643
; %bb.647:                              ;   in Loop: Header=BB4_646 Depth=1
	global_load_dword v0, v[8:9], off offset:20 glc dlc
	s_waitcnt vmcnt(0)
	buffer_gl1_inv
	buffer_gl0_inv
	v_and_b32_e32 v0, 1, v0
	s_branch .LBB4_643
.LBB4_648:
	s_and_saveexec_b32 s5, s4
	s_cbranch_execz .LBB4_652
; %bb.649:
	v_mov_b32_e32 v6, 0
	s_clause 0x2
	global_load_dwordx2 v[2:3], v6, s[6:7] offset:40
	global_load_dwordx2 v[7:8], v6, s[6:7] offset:24 glc dlc
	global_load_dwordx2 v[4:5], v6, s[6:7]
	s_waitcnt vmcnt(2)
	v_add_co_u32 v9, vcc_lo, v2, 1
	v_add_co_ci_u32_e32 v10, vcc_lo, 0, v3, vcc_lo
	v_add_co_u32 v0, vcc_lo, v9, s10
	v_add_co_ci_u32_e32 v1, vcc_lo, s11, v10, vcc_lo
	v_cmp_eq_u64_e32 vcc_lo, 0, v[0:1]
	v_cndmask_b32_e32 v1, v1, v10, vcc_lo
	v_cndmask_b32_e32 v0, v0, v9, vcc_lo
	v_and_b32_e32 v3, v1, v3
	v_and_b32_e32 v2, v0, v2
	v_mul_lo_u32 v3, v3, 24
	v_mul_hi_u32 v9, v2, 24
	v_mul_lo_u32 v2, v2, 24
	v_add_nc_u32_e32 v3, v9, v3
	s_waitcnt vmcnt(0)
	v_add_co_u32 v4, vcc_lo, v4, v2
	v_mov_b32_e32 v2, v7
	v_add_co_ci_u32_e32 v5, vcc_lo, v5, v3, vcc_lo
	v_mov_b32_e32 v3, v8
	global_store_dwordx2 v[4:5], v[7:8], off
	s_waitcnt_vscnt null, 0x0
	global_atomic_cmpswap_x2 v[2:3], v6, v[0:3], s[6:7] offset:24 glc
	s_waitcnt vmcnt(0)
	v_cmp_ne_u64_e32 vcc_lo, v[2:3], v[7:8]
	s_and_b32 exec_lo, exec_lo, vcc_lo
	s_cbranch_execz .LBB4_652
; %bb.650:
	s_mov_b32 s4, 0
.LBB4_651:                              ; =>This Inner Loop Header: Depth=1
	s_sleep 1
	global_store_dwordx2 v[4:5], v[2:3], off
	s_waitcnt_vscnt null, 0x0
	global_atomic_cmpswap_x2 v[7:8], v6, v[0:3], s[6:7] offset:24 glc
	s_waitcnt vmcnt(0)
	v_cmp_eq_u64_e32 vcc_lo, v[7:8], v[2:3]
	v_mov_b32_e32 v2, v7
	v_mov_b32_e32 v3, v8
	s_or_b32 s4, vcc_lo, s4
	s_andn2_b32 exec_lo, exec_lo, s4
	s_cbranch_execnz .LBB4_651
.LBB4_652:
	s_or_b32 exec_lo, exec_lo, s5
.LBB4_653:
	v_readfirstlane_b32 s4, v32
	s_waitcnt vmcnt(0)
	v_mov_b32_e32 v6, 0
	v_mov_b32_e32 v7, 0
	v_cmp_eq_u32_e64 s4, s4, v32
	s_and_saveexec_b32 s5, s4
	s_cbranch_execz .LBB4_659
; %bb.654:
	v_mov_b32_e32 v0, 0
	s_mov_b32 s10, exec_lo
	global_load_dwordx2 v[3:4], v0, s[6:7] offset:24 glc dlc
	s_waitcnt vmcnt(0)
	buffer_gl1_inv
	buffer_gl0_inv
	s_clause 0x1
	global_load_dwordx2 v[1:2], v0, s[6:7] offset:40
	global_load_dwordx2 v[5:6], v0, s[6:7]
	s_waitcnt vmcnt(1)
	v_and_b32_e32 v2, v2, v4
	v_and_b32_e32 v1, v1, v3
	v_mul_lo_u32 v2, v2, 24
	v_mul_hi_u32 v7, v1, 24
	v_mul_lo_u32 v1, v1, 24
	v_add_nc_u32_e32 v2, v7, v2
	s_waitcnt vmcnt(0)
	v_add_co_u32 v1, vcc_lo, v5, v1
	v_add_co_ci_u32_e32 v2, vcc_lo, v6, v2, vcc_lo
	global_load_dwordx2 v[1:2], v[1:2], off glc dlc
	s_waitcnt vmcnt(0)
	global_atomic_cmpswap_x2 v[6:7], v0, v[1:4], s[6:7] offset:24 glc
	s_waitcnt vmcnt(0)
	buffer_gl1_inv
	buffer_gl0_inv
	v_cmpx_ne_u64_e64 v[6:7], v[3:4]
	s_cbranch_execz .LBB4_658
; %bb.655:
	s_mov_b32 s11, 0
	.p2align	6
.LBB4_656:                              ; =>This Inner Loop Header: Depth=1
	s_sleep 1
	s_clause 0x1
	global_load_dwordx2 v[1:2], v0, s[6:7] offset:40
	global_load_dwordx2 v[8:9], v0, s[6:7]
	v_mov_b32_e32 v3, v6
	v_mov_b32_e32 v4, v7
	s_waitcnt vmcnt(1)
	v_and_b32_e32 v1, v1, v3
	v_and_b32_e32 v2, v2, v4
	s_waitcnt vmcnt(0)
	v_mad_u64_u32 v[5:6], null, v1, 24, v[8:9]
	v_mov_b32_e32 v1, v6
	v_mad_u64_u32 v[1:2], null, v2, 24, v[1:2]
	v_mov_b32_e32 v6, v1
	global_load_dwordx2 v[1:2], v[5:6], off glc dlc
	s_waitcnt vmcnt(0)
	global_atomic_cmpswap_x2 v[6:7], v0, v[1:4], s[6:7] offset:24 glc
	s_waitcnt vmcnt(0)
	buffer_gl1_inv
	buffer_gl0_inv
	v_cmp_eq_u64_e32 vcc_lo, v[6:7], v[3:4]
	s_or_b32 s11, vcc_lo, s11
	s_andn2_b32 exec_lo, exec_lo, s11
	s_cbranch_execnz .LBB4_656
; %bb.657:
	s_or_b32 exec_lo, exec_lo, s11
.LBB4_658:
	s_or_b32 exec_lo, exec_lo, s10
.LBB4_659:
	s_or_b32 exec_lo, exec_lo, s5
	v_mov_b32_e32 v5, 0
	v_readfirstlane_b32 s10, v6
	v_readfirstlane_b32 s11, v7
	s_mov_b32 s5, exec_lo
	s_clause 0x1
	global_load_dwordx2 v[8:9], v5, s[6:7] offset:40
	global_load_dwordx4 v[0:3], v5, s[6:7]
	s_waitcnt vmcnt(1)
	v_readfirstlane_b32 s16, v8
	v_readfirstlane_b32 s17, v9
	s_and_b64 s[16:17], s[10:11], s[16:17]
	s_mul_i32 s18, s17, 24
	s_mul_hi_u32 s19, s16, 24
	s_mul_i32 s20, s16, 24
	s_add_i32 s19, s19, s18
	s_waitcnt vmcnt(0)
	v_add_co_u32 v8, vcc_lo, v0, s20
	v_add_co_ci_u32_e32 v9, vcc_lo, s19, v1, vcc_lo
	s_and_saveexec_b32 s18, s4
	s_cbranch_execz .LBB4_661
; %bb.660:
	v_mov_b32_e32 v4, s5
	v_mov_b32_e32 v6, 2
	;; [unrolled: 1-line block ×3, first 2 shown]
	global_store_dwordx4 v[8:9], v[4:7], off offset:8
.LBB4_661:
	s_or_b32 exec_lo, exec_lo, s18
	s_lshl_b64 s[16:17], s[16:17], 12
	v_mov_b32_e32 v4, 33
	v_add_co_u32 v2, vcc_lo, v2, s16
	v_add_co_ci_u32_e32 v3, vcc_lo, s17, v3, vcc_lo
	s_mov_b32 s16, 0
	v_add_co_u32 v10, vcc_lo, v2, v31
	s_mov_b32 s17, s16
	s_mov_b32 s18, s16
	;; [unrolled: 1-line block ×3, first 2 shown]
	v_mov_b32_e32 v6, v5
	v_mov_b32_e32 v7, v5
	v_readfirstlane_b32 s20, v2
	v_readfirstlane_b32 s21, v3
	v_mov_b32_e32 v12, s16
	v_add_co_ci_u32_e32 v11, vcc_lo, 0, v3, vcc_lo
	v_mov_b32_e32 v13, s17
	v_mov_b32_e32 v14, s18
	;; [unrolled: 1-line block ×3, first 2 shown]
	global_store_dwordx4 v31, v[4:7], s[20:21]
	global_store_dwordx4 v31, v[12:15], s[20:21] offset:16
	global_store_dwordx4 v31, v[12:15], s[20:21] offset:32
	;; [unrolled: 1-line block ×3, first 2 shown]
	s_and_saveexec_b32 s5, s4
	s_cbranch_execz .LBB4_669
; %bb.662:
	v_mov_b32_e32 v6, 0
	v_mov_b32_e32 v12, s10
	v_mov_b32_e32 v13, s11
	s_clause 0x1
	global_load_dwordx2 v[14:15], v6, s[6:7] offset:32 glc dlc
	global_load_dwordx2 v[2:3], v6, s[6:7] offset:40
	s_waitcnt vmcnt(0)
	v_readfirstlane_b32 s16, v2
	v_readfirstlane_b32 s17, v3
	s_and_b64 s[16:17], s[16:17], s[10:11]
	s_mul_i32 s17, s17, 24
	s_mul_hi_u32 s18, s16, 24
	s_mul_i32 s16, s16, 24
	s_add_i32 s18, s18, s17
	v_add_co_u32 v4, vcc_lo, v0, s16
	v_add_co_ci_u32_e32 v5, vcc_lo, s18, v1, vcc_lo
	s_mov_b32 s16, exec_lo
	global_store_dwordx2 v[4:5], v[14:15], off
	s_waitcnt_vscnt null, 0x0
	global_atomic_cmpswap_x2 v[2:3], v6, v[12:15], s[6:7] offset:32 glc
	s_waitcnt vmcnt(0)
	v_cmpx_ne_u64_e64 v[2:3], v[14:15]
	s_cbranch_execz .LBB4_665
; %bb.663:
	s_mov_b32 s17, 0
.LBB4_664:                              ; =>This Inner Loop Header: Depth=1
	v_mov_b32_e32 v0, s10
	v_mov_b32_e32 v1, s11
	s_sleep 1
	global_store_dwordx2 v[4:5], v[2:3], off
	s_waitcnt_vscnt null, 0x0
	global_atomic_cmpswap_x2 v[0:1], v6, v[0:3], s[6:7] offset:32 glc
	s_waitcnt vmcnt(0)
	v_cmp_eq_u64_e32 vcc_lo, v[0:1], v[2:3]
	v_mov_b32_e32 v3, v1
	v_mov_b32_e32 v2, v0
	s_or_b32 s17, vcc_lo, s17
	s_andn2_b32 exec_lo, exec_lo, s17
	s_cbranch_execnz .LBB4_664
.LBB4_665:
	s_or_b32 exec_lo, exec_lo, s16
	v_mov_b32_e32 v3, 0
	s_mov_b32 s17, exec_lo
	s_mov_b32 s16, exec_lo
	v_mbcnt_lo_u32_b32 v2, s17, 0
	global_load_dwordx2 v[0:1], v3, s[6:7] offset:16
	v_cmpx_eq_u32_e32 0, v2
	s_cbranch_execz .LBB4_667
; %bb.666:
	s_bcnt1_i32_b32 s17, s17
	v_mov_b32_e32 v2, s17
	s_waitcnt vmcnt(0)
	global_atomic_add_x2 v[0:1], v[2:3], off offset:8
.LBB4_667:
	s_or_b32 exec_lo, exec_lo, s16
	s_waitcnt vmcnt(0)
	global_load_dwordx2 v[2:3], v[0:1], off offset:16
	s_waitcnt vmcnt(0)
	v_cmp_eq_u64_e32 vcc_lo, 0, v[2:3]
	s_cbranch_vccnz .LBB4_669
; %bb.668:
	global_load_dword v0, v[0:1], off offset:24
	v_mov_b32_e32 v1, 0
	s_waitcnt vmcnt(0)
	v_and_b32_e32 v4, 0x7fffff, v0
	s_waitcnt_vscnt null, 0x0
	global_store_dwordx2 v[2:3], v[0:1], off
	v_readfirstlane_b32 m0, v4
	s_sendmsg sendmsg(MSG_INTERRUPT)
.LBB4_669:
	s_or_b32 exec_lo, exec_lo, s5
	s_branch .LBB4_673
	.p2align	6
.LBB4_670:                              ;   in Loop: Header=BB4_673 Depth=1
	s_or_b32 exec_lo, exec_lo, s5
	v_readfirstlane_b32 s5, v0
	s_cmp_eq_u32 s5, 0
	s_cbranch_scc1 .LBB4_672
; %bb.671:                              ;   in Loop: Header=BB4_673 Depth=1
	s_sleep 1
	s_cbranch_execnz .LBB4_673
	s_branch .LBB4_675
	.p2align	6
.LBB4_672:
	s_branch .LBB4_675
.LBB4_673:                              ; =>This Inner Loop Header: Depth=1
	v_mov_b32_e32 v0, 1
	s_and_saveexec_b32 s5, s4
	s_cbranch_execz .LBB4_670
; %bb.674:                              ;   in Loop: Header=BB4_673 Depth=1
	global_load_dword v0, v[8:9], off offset:20 glc dlc
	s_waitcnt vmcnt(0)
	buffer_gl1_inv
	buffer_gl0_inv
	v_and_b32_e32 v0, 1, v0
	s_branch .LBB4_670
.LBB4_675:
	global_load_dwordx2 v[0:1], v[10:11], off
	s_and_saveexec_b32 s5, s4
	s_cbranch_execz .LBB4_679
; %bb.676:
	v_mov_b32_e32 v8, 0
	s_clause 0x2
	global_load_dwordx2 v[4:5], v8, s[6:7] offset:40
	global_load_dwordx2 v[9:10], v8, s[6:7] offset:24 glc dlc
	global_load_dwordx2 v[6:7], v8, s[6:7]
	s_waitcnt vmcnt(2)
	v_add_co_u32 v11, vcc_lo, v4, 1
	v_add_co_ci_u32_e32 v12, vcc_lo, 0, v5, vcc_lo
	v_add_co_u32 v2, vcc_lo, v11, s10
	v_add_co_ci_u32_e32 v3, vcc_lo, s11, v12, vcc_lo
	v_cmp_eq_u64_e32 vcc_lo, 0, v[2:3]
	v_cndmask_b32_e32 v3, v3, v12, vcc_lo
	v_cndmask_b32_e32 v2, v2, v11, vcc_lo
	v_and_b32_e32 v5, v3, v5
	v_and_b32_e32 v4, v2, v4
	v_mul_lo_u32 v5, v5, 24
	v_mul_hi_u32 v11, v4, 24
	v_mul_lo_u32 v4, v4, 24
	v_add_nc_u32_e32 v5, v11, v5
	s_waitcnt vmcnt(0)
	v_add_co_u32 v6, vcc_lo, v6, v4
	v_mov_b32_e32 v4, v9
	v_add_co_ci_u32_e32 v7, vcc_lo, v7, v5, vcc_lo
	v_mov_b32_e32 v5, v10
	global_store_dwordx2 v[6:7], v[9:10], off
	s_waitcnt_vscnt null, 0x0
	global_atomic_cmpswap_x2 v[4:5], v8, v[2:5], s[6:7] offset:24 glc
	s_waitcnt vmcnt(0)
	v_cmp_ne_u64_e32 vcc_lo, v[4:5], v[9:10]
	s_and_b32 exec_lo, exec_lo, vcc_lo
	s_cbranch_execz .LBB4_679
; %bb.677:
	s_mov_b32 s4, 0
.LBB4_678:                              ; =>This Inner Loop Header: Depth=1
	s_sleep 1
	global_store_dwordx2 v[6:7], v[4:5], off
	s_waitcnt_vscnt null, 0x0
	global_atomic_cmpswap_x2 v[9:10], v8, v[2:5], s[6:7] offset:24 glc
	s_waitcnt vmcnt(0)
	v_cmp_eq_u64_e32 vcc_lo, v[9:10], v[4:5]
	v_mov_b32_e32 v4, v9
	v_mov_b32_e32 v5, v10
	s_or_b32 s4, vcc_lo, s4
	s_andn2_b32 exec_lo, exec_lo, s4
	s_cbranch_execnz .LBB4_678
.LBB4_679:
	s_or_b32 exec_lo, exec_lo, s5
	s_and_b32 vcc_lo, exec_lo, s24
	s_cbranch_vccz .LBB4_758
; %bb.680:
	s_waitcnt vmcnt(0)
	v_and_b32_e32 v33, 2, v0
	v_mov_b32_e32 v6, 0
	v_and_b32_e32 v2, -3, v0
	v_mov_b32_e32 v3, v1
	v_mov_b32_e32 v7, 2
	;; [unrolled: 1-line block ×3, first 2 shown]
	s_mov_b64 s[16:17], 3
	s_getpc_b64 s[10:11]
	s_add_u32 s10, s10, .str.6@rel32@lo+4
	s_addc_u32 s11, s11, .str.6@rel32@hi+12
	s_branch .LBB4_682
.LBB4_681:                              ;   in Loop: Header=BB4_682 Depth=1
	s_or_b32 exec_lo, exec_lo, s5
	s_sub_u32 s16, s16, s18
	s_subb_u32 s17, s17, s19
	s_add_u32 s10, s10, s18
	s_addc_u32 s11, s11, s19
	s_cmp_lg_u64 s[16:17], 0
	s_cbranch_scc0 .LBB4_757
.LBB4_682:                              ; =>This Loop Header: Depth=1
                                        ;     Child Loop BB4_691 Depth 2
                                        ;     Child Loop BB4_687 Depth 2
	;; [unrolled: 1-line block ×11, first 2 shown]
	v_cmp_lt_u64_e64 s4, s[16:17], 56
	v_cmp_gt_u64_e64 s5, s[16:17], 7
                                        ; implicit-def: $vgpr11_vgpr12
                                        ; implicit-def: $sgpr25
	s_and_b32 s4, s4, exec_lo
	s_cselect_b32 s19, s17, 0
	s_cselect_b32 s18, s16, 56
	s_and_b32 vcc_lo, exec_lo, s5
	s_mov_b32 s4, -1
	s_cbranch_vccz .LBB4_689
; %bb.683:                              ;   in Loop: Header=BB4_682 Depth=1
	s_andn2_b32 vcc_lo, exec_lo, s4
	s_mov_b64 s[4:5], s[10:11]
	s_cbranch_vccz .LBB4_693
.LBB4_684:                              ;   in Loop: Header=BB4_682 Depth=1
	s_cmp_gt_u32 s25, 7
	s_cbranch_scc1 .LBB4_694
.LBB4_685:                              ;   in Loop: Header=BB4_682 Depth=1
	v_mov_b32_e32 v13, 0
	v_mov_b32_e32 v14, 0
	s_cmp_eq_u32 s25, 0
	s_cbranch_scc1 .LBB4_688
; %bb.686:                              ;   in Loop: Header=BB4_682 Depth=1
	s_mov_b64 s[20:21], 0
	s_mov_b64 s[22:23], 0
.LBB4_687:                              ;   Parent Loop BB4_682 Depth=1
                                        ; =>  This Inner Loop Header: Depth=2
	s_add_u32 s26, s4, s22
	s_addc_u32 s27, s5, s23
	s_add_u32 s22, s22, 1
	global_load_ubyte v4, v6, s[26:27]
	s_addc_u32 s23, s23, 0
	s_waitcnt vmcnt(0)
	v_and_b32_e32 v5, 0xffff, v4
	v_lshlrev_b64 v[4:5], s20, v[5:6]
	s_add_u32 s20, s20, 8
	s_addc_u32 s21, s21, 0
	s_cmp_lg_u32 s25, s22
	v_or_b32_e32 v13, v4, v13
	v_or_b32_e32 v14, v5, v14
	s_cbranch_scc1 .LBB4_687
.LBB4_688:                              ;   in Loop: Header=BB4_682 Depth=1
	s_mov_b32 s26, 0
	s_cbranch_execz .LBB4_695
	s_branch .LBB4_696
.LBB4_689:                              ;   in Loop: Header=BB4_682 Depth=1
	v_mov_b32_e32 v11, 0
	v_mov_b32_e32 v12, 0
	s_cmp_eq_u64 s[16:17], 0
	s_mov_b64 s[4:5], 0
	s_cbranch_scc1 .LBB4_692
; %bb.690:                              ;   in Loop: Header=BB4_682 Depth=1
	v_mov_b32_e32 v11, 0
	v_mov_b32_e32 v12, 0
	s_lshl_b64 s[20:21], s[18:19], 3
	s_mov_b64 s[22:23], s[10:11]
.LBB4_691:                              ;   Parent Loop BB4_682 Depth=1
                                        ; =>  This Inner Loop Header: Depth=2
	global_load_ubyte v4, v6, s[22:23]
	s_waitcnt vmcnt(0)
	v_and_b32_e32 v5, 0xffff, v4
	v_lshlrev_b64 v[4:5], s4, v[5:6]
	s_add_u32 s4, s4, 8
	s_addc_u32 s5, s5, 0
	s_add_u32 s22, s22, 1
	s_addc_u32 s23, s23, 0
	s_cmp_lg_u32 s20, s4
	v_or_b32_e32 v11, v4, v11
	v_or_b32_e32 v12, v5, v12
	s_cbranch_scc1 .LBB4_691
.LBB4_692:                              ;   in Loop: Header=BB4_682 Depth=1
	s_mov_b32 s25, 0
	s_mov_b64 s[4:5], s[10:11]
	s_cbranch_execnz .LBB4_684
.LBB4_693:                              ;   in Loop: Header=BB4_682 Depth=1
	global_load_dwordx2 v[11:12], v6, s[10:11]
	s_add_i32 s25, s18, -8
	s_add_u32 s4, s10, 8
	s_addc_u32 s5, s11, 0
	s_cmp_gt_u32 s25, 7
	s_cbranch_scc0 .LBB4_685
.LBB4_694:                              ;   in Loop: Header=BB4_682 Depth=1
                                        ; implicit-def: $vgpr13_vgpr14
                                        ; implicit-def: $sgpr26
.LBB4_695:                              ;   in Loop: Header=BB4_682 Depth=1
	global_load_dwordx2 v[13:14], v6, s[4:5]
	s_add_i32 s26, s25, -8
	s_add_u32 s4, s4, 8
	s_addc_u32 s5, s5, 0
.LBB4_696:                              ;   in Loop: Header=BB4_682 Depth=1
	s_cmp_gt_u32 s26, 7
	s_cbranch_scc1 .LBB4_701
; %bb.697:                              ;   in Loop: Header=BB4_682 Depth=1
	v_mov_b32_e32 v15, 0
	v_mov_b32_e32 v16, 0
	s_cmp_eq_u32 s26, 0
	s_cbranch_scc1 .LBB4_700
; %bb.698:                              ;   in Loop: Header=BB4_682 Depth=1
	s_mov_b64 s[20:21], 0
	s_mov_b64 s[22:23], 0
.LBB4_699:                              ;   Parent Loop BB4_682 Depth=1
                                        ; =>  This Inner Loop Header: Depth=2
	s_add_u32 s28, s4, s22
	s_addc_u32 s29, s5, s23
	s_add_u32 s22, s22, 1
	global_load_ubyte v4, v6, s[28:29]
	s_addc_u32 s23, s23, 0
	s_waitcnt vmcnt(0)
	v_and_b32_e32 v5, 0xffff, v4
	v_lshlrev_b64 v[4:5], s20, v[5:6]
	s_add_u32 s20, s20, 8
	s_addc_u32 s21, s21, 0
	s_cmp_lg_u32 s26, s22
	v_or_b32_e32 v15, v4, v15
	v_or_b32_e32 v16, v5, v16
	s_cbranch_scc1 .LBB4_699
.LBB4_700:                              ;   in Loop: Header=BB4_682 Depth=1
	s_mov_b32 s25, 0
	s_cbranch_execz .LBB4_702
	s_branch .LBB4_703
.LBB4_701:                              ;   in Loop: Header=BB4_682 Depth=1
                                        ; implicit-def: $sgpr25
.LBB4_702:                              ;   in Loop: Header=BB4_682 Depth=1
	global_load_dwordx2 v[15:16], v6, s[4:5]
	s_add_i32 s25, s26, -8
	s_add_u32 s4, s4, 8
	s_addc_u32 s5, s5, 0
.LBB4_703:                              ;   in Loop: Header=BB4_682 Depth=1
	s_cmp_gt_u32 s25, 7
	s_cbranch_scc1 .LBB4_708
; %bb.704:                              ;   in Loop: Header=BB4_682 Depth=1
	v_mov_b32_e32 v17, 0
	v_mov_b32_e32 v18, 0
	s_cmp_eq_u32 s25, 0
	s_cbranch_scc1 .LBB4_707
; %bb.705:                              ;   in Loop: Header=BB4_682 Depth=1
	s_mov_b64 s[20:21], 0
	s_mov_b64 s[22:23], 0
.LBB4_706:                              ;   Parent Loop BB4_682 Depth=1
                                        ; =>  This Inner Loop Header: Depth=2
	s_add_u32 s26, s4, s22
	s_addc_u32 s27, s5, s23
	s_add_u32 s22, s22, 1
	global_load_ubyte v4, v6, s[26:27]
	s_addc_u32 s23, s23, 0
	s_waitcnt vmcnt(0)
	v_and_b32_e32 v5, 0xffff, v4
	v_lshlrev_b64 v[4:5], s20, v[5:6]
	s_add_u32 s20, s20, 8
	s_addc_u32 s21, s21, 0
	s_cmp_lg_u32 s25, s22
	v_or_b32_e32 v17, v4, v17
	v_or_b32_e32 v18, v5, v18
	s_cbranch_scc1 .LBB4_706
.LBB4_707:                              ;   in Loop: Header=BB4_682 Depth=1
	s_mov_b32 s26, 0
	s_cbranch_execz .LBB4_709
	s_branch .LBB4_710
.LBB4_708:                              ;   in Loop: Header=BB4_682 Depth=1
                                        ; implicit-def: $vgpr17_vgpr18
                                        ; implicit-def: $sgpr26
.LBB4_709:                              ;   in Loop: Header=BB4_682 Depth=1
	global_load_dwordx2 v[17:18], v6, s[4:5]
	s_add_i32 s26, s25, -8
	s_add_u32 s4, s4, 8
	s_addc_u32 s5, s5, 0
.LBB4_710:                              ;   in Loop: Header=BB4_682 Depth=1
	s_cmp_gt_u32 s26, 7
	s_cbranch_scc1 .LBB4_715
; %bb.711:                              ;   in Loop: Header=BB4_682 Depth=1
	v_mov_b32_e32 v19, 0
	v_mov_b32_e32 v20, 0
	s_cmp_eq_u32 s26, 0
	s_cbranch_scc1 .LBB4_714
; %bb.712:                              ;   in Loop: Header=BB4_682 Depth=1
	s_mov_b64 s[20:21], 0
	s_mov_b64 s[22:23], 0
.LBB4_713:                              ;   Parent Loop BB4_682 Depth=1
                                        ; =>  This Inner Loop Header: Depth=2
	s_add_u32 s28, s4, s22
	s_addc_u32 s29, s5, s23
	s_add_u32 s22, s22, 1
	global_load_ubyte v4, v6, s[28:29]
	s_addc_u32 s23, s23, 0
	s_waitcnt vmcnt(0)
	v_and_b32_e32 v5, 0xffff, v4
	v_lshlrev_b64 v[4:5], s20, v[5:6]
	s_add_u32 s20, s20, 8
	s_addc_u32 s21, s21, 0
	s_cmp_lg_u32 s26, s22
	v_or_b32_e32 v19, v4, v19
	v_or_b32_e32 v20, v5, v20
	s_cbranch_scc1 .LBB4_713
.LBB4_714:                              ;   in Loop: Header=BB4_682 Depth=1
	s_mov_b32 s25, 0
	s_cbranch_execz .LBB4_716
	s_branch .LBB4_717
.LBB4_715:                              ;   in Loop: Header=BB4_682 Depth=1
                                        ; implicit-def: $sgpr25
.LBB4_716:                              ;   in Loop: Header=BB4_682 Depth=1
	global_load_dwordx2 v[19:20], v6, s[4:5]
	s_add_i32 s25, s26, -8
	s_add_u32 s4, s4, 8
	s_addc_u32 s5, s5, 0
.LBB4_717:                              ;   in Loop: Header=BB4_682 Depth=1
	s_cmp_gt_u32 s25, 7
	s_cbranch_scc1 .LBB4_722
; %bb.718:                              ;   in Loop: Header=BB4_682 Depth=1
	v_mov_b32_e32 v21, 0
	v_mov_b32_e32 v22, 0
	s_cmp_eq_u32 s25, 0
	s_cbranch_scc1 .LBB4_721
; %bb.719:                              ;   in Loop: Header=BB4_682 Depth=1
	s_mov_b64 s[20:21], 0
	s_mov_b64 s[22:23], 0
.LBB4_720:                              ;   Parent Loop BB4_682 Depth=1
                                        ; =>  This Inner Loop Header: Depth=2
	s_add_u32 s26, s4, s22
	s_addc_u32 s27, s5, s23
	s_add_u32 s22, s22, 1
	global_load_ubyte v4, v6, s[26:27]
	s_addc_u32 s23, s23, 0
	s_waitcnt vmcnt(0)
	v_and_b32_e32 v5, 0xffff, v4
	v_lshlrev_b64 v[4:5], s20, v[5:6]
	s_add_u32 s20, s20, 8
	s_addc_u32 s21, s21, 0
	s_cmp_lg_u32 s25, s22
	v_or_b32_e32 v21, v4, v21
	v_or_b32_e32 v22, v5, v22
	s_cbranch_scc1 .LBB4_720
.LBB4_721:                              ;   in Loop: Header=BB4_682 Depth=1
	s_mov_b32 s26, 0
	s_cbranch_execz .LBB4_723
	s_branch .LBB4_724
.LBB4_722:                              ;   in Loop: Header=BB4_682 Depth=1
                                        ; implicit-def: $vgpr21_vgpr22
                                        ; implicit-def: $sgpr26
.LBB4_723:                              ;   in Loop: Header=BB4_682 Depth=1
	global_load_dwordx2 v[21:22], v6, s[4:5]
	s_add_i32 s26, s25, -8
	s_add_u32 s4, s4, 8
	s_addc_u32 s5, s5, 0
.LBB4_724:                              ;   in Loop: Header=BB4_682 Depth=1
	s_cmp_gt_u32 s26, 7
	s_cbranch_scc1 .LBB4_729
; %bb.725:                              ;   in Loop: Header=BB4_682 Depth=1
	v_mov_b32_e32 v23, 0
	v_mov_b32_e32 v24, 0
	s_cmp_eq_u32 s26, 0
	s_cbranch_scc1 .LBB4_728
; %bb.726:                              ;   in Loop: Header=BB4_682 Depth=1
	s_mov_b64 s[20:21], 0
	s_mov_b64 s[22:23], s[4:5]
.LBB4_727:                              ;   Parent Loop BB4_682 Depth=1
                                        ; =>  This Inner Loop Header: Depth=2
	global_load_ubyte v4, v6, s[22:23]
	s_add_i32 s26, s26, -1
	s_waitcnt vmcnt(0)
	v_and_b32_e32 v5, 0xffff, v4
	v_lshlrev_b64 v[4:5], s20, v[5:6]
	s_add_u32 s20, s20, 8
	s_addc_u32 s21, s21, 0
	s_add_u32 s22, s22, 1
	s_addc_u32 s23, s23, 0
	s_cmp_lg_u32 s26, 0
	v_or_b32_e32 v23, v4, v23
	v_or_b32_e32 v24, v5, v24
	s_cbranch_scc1 .LBB4_727
.LBB4_728:                              ;   in Loop: Header=BB4_682 Depth=1
	s_cbranch_execz .LBB4_730
	s_branch .LBB4_731
.LBB4_729:                              ;   in Loop: Header=BB4_682 Depth=1
.LBB4_730:                              ;   in Loop: Header=BB4_682 Depth=1
	global_load_dwordx2 v[23:24], v6, s[4:5]
.LBB4_731:                              ;   in Loop: Header=BB4_682 Depth=1
	v_readfirstlane_b32 s4, v32
	s_waitcnt vmcnt(0)
	v_mov_b32_e32 v4, 0
	v_mov_b32_e32 v5, 0
	v_cmp_eq_u32_e64 s4, s4, v32
	s_and_saveexec_b32 s5, s4
	s_cbranch_execz .LBB4_737
; %bb.732:                              ;   in Loop: Header=BB4_682 Depth=1
	global_load_dwordx2 v[27:28], v6, s[6:7] offset:24 glc dlc
	s_waitcnt vmcnt(0)
	buffer_gl1_inv
	buffer_gl0_inv
	s_clause 0x1
	global_load_dwordx2 v[4:5], v6, s[6:7] offset:40
	global_load_dwordx2 v[9:10], v6, s[6:7]
	s_mov_b32 s20, exec_lo
	s_waitcnt vmcnt(1)
	v_and_b32_e32 v5, v5, v28
	v_and_b32_e32 v4, v4, v27
	v_mul_lo_u32 v5, v5, 24
	v_mul_hi_u32 v25, v4, 24
	v_mul_lo_u32 v4, v4, 24
	v_add_nc_u32_e32 v5, v25, v5
	s_waitcnt vmcnt(0)
	v_add_co_u32 v4, vcc_lo, v9, v4
	v_add_co_ci_u32_e32 v5, vcc_lo, v10, v5, vcc_lo
	global_load_dwordx2 v[25:26], v[4:5], off glc dlc
	s_waitcnt vmcnt(0)
	global_atomic_cmpswap_x2 v[4:5], v6, v[25:28], s[6:7] offset:24 glc
	s_waitcnt vmcnt(0)
	buffer_gl1_inv
	buffer_gl0_inv
	v_cmpx_ne_u64_e64 v[4:5], v[27:28]
	s_cbranch_execz .LBB4_736
; %bb.733:                              ;   in Loop: Header=BB4_682 Depth=1
	s_mov_b32 s21, 0
	.p2align	6
.LBB4_734:                              ;   Parent Loop BB4_682 Depth=1
                                        ; =>  This Inner Loop Header: Depth=2
	s_sleep 1
	s_clause 0x1
	global_load_dwordx2 v[9:10], v6, s[6:7] offset:40
	global_load_dwordx2 v[25:26], v6, s[6:7]
	v_mov_b32_e32 v28, v5
	v_mov_b32_e32 v27, v4
	s_waitcnt vmcnt(1)
	v_and_b32_e32 v4, v9, v27
	v_and_b32_e32 v9, v10, v28
	s_waitcnt vmcnt(0)
	v_mad_u64_u32 v[4:5], null, v4, 24, v[25:26]
	v_mad_u64_u32 v[9:10], null, v9, 24, v[5:6]
	v_mov_b32_e32 v5, v9
	global_load_dwordx2 v[25:26], v[4:5], off glc dlc
	s_waitcnt vmcnt(0)
	global_atomic_cmpswap_x2 v[4:5], v6, v[25:28], s[6:7] offset:24 glc
	s_waitcnt vmcnt(0)
	buffer_gl1_inv
	buffer_gl0_inv
	v_cmp_eq_u64_e32 vcc_lo, v[4:5], v[27:28]
	s_or_b32 s21, vcc_lo, s21
	s_andn2_b32 exec_lo, exec_lo, s21
	s_cbranch_execnz .LBB4_734
; %bb.735:                              ;   in Loop: Header=BB4_682 Depth=1
	s_or_b32 exec_lo, exec_lo, s21
.LBB4_736:                              ;   in Loop: Header=BB4_682 Depth=1
	s_or_b32 exec_lo, exec_lo, s20
.LBB4_737:                              ;   in Loop: Header=BB4_682 Depth=1
	s_or_b32 exec_lo, exec_lo, s5
	s_clause 0x1
	global_load_dwordx2 v[9:10], v6, s[6:7] offset:40
	global_load_dwordx4 v[25:28], v6, s[6:7]
	v_readfirstlane_b32 s20, v4
	v_readfirstlane_b32 s21, v5
	s_mov_b32 s5, exec_lo
	s_waitcnt vmcnt(1)
	v_readfirstlane_b32 s22, v9
	v_readfirstlane_b32 s23, v10
	s_and_b64 s[22:23], s[20:21], s[22:23]
	s_mul_i32 s25, s23, 24
	s_mul_hi_u32 s26, s22, 24
	s_mul_i32 s27, s22, 24
	s_add_i32 s26, s26, s25
	s_waitcnt vmcnt(0)
	v_add_co_u32 v29, vcc_lo, v25, s27
	v_add_co_ci_u32_e32 v30, vcc_lo, s26, v26, vcc_lo
	s_and_saveexec_b32 s25, s4
	s_cbranch_execz .LBB4_739
; %bb.738:                              ;   in Loop: Header=BB4_682 Depth=1
	v_mov_b32_e32 v5, s5
	global_store_dwordx4 v[29:30], v[5:8], off offset:8
.LBB4_739:                              ;   in Loop: Header=BB4_682 Depth=1
	s_or_b32 exec_lo, exec_lo, s25
	s_lshl_b64 s[22:23], s[22:23], 12
	v_cmp_gt_u64_e64 vcc_lo, s[16:17], 56
	v_or_b32_e32 v5, v2, v33
	v_add_co_u32 v27, s5, v27, s22
	v_add_co_ci_u32_e64 v28, s5, s23, v28, s5
	s_lshl_b32 s5, s18, 2
	v_or_b32_e32 v4, 0, v3
	v_cndmask_b32_e32 v2, v5, v2, vcc_lo
	s_add_i32 s5, s5, 28
	v_readfirstlane_b32 s22, v27
	s_and_b32 s5, s5, 0x1e0
	v_cndmask_b32_e32 v10, v4, v3, vcc_lo
	v_readfirstlane_b32 s23, v28
	v_and_or_b32 v9, 0xffffff1f, v2, s5
	global_store_dwordx4 v31, v[9:12], s[22:23]
	global_store_dwordx4 v31, v[13:16], s[22:23] offset:16
	global_store_dwordx4 v31, v[17:20], s[22:23] offset:32
	;; [unrolled: 1-line block ×3, first 2 shown]
	s_and_saveexec_b32 s5, s4
	s_cbranch_execz .LBB4_747
; %bb.740:                              ;   in Loop: Header=BB4_682 Depth=1
	s_clause 0x1
	global_load_dwordx2 v[13:14], v6, s[6:7] offset:32 glc dlc
	global_load_dwordx2 v[2:3], v6, s[6:7] offset:40
	v_mov_b32_e32 v11, s20
	v_mov_b32_e32 v12, s21
	s_waitcnt vmcnt(0)
	v_readfirstlane_b32 s22, v2
	v_readfirstlane_b32 s23, v3
	s_and_b64 s[22:23], s[22:23], s[20:21]
	s_mul_i32 s23, s23, 24
	s_mul_hi_u32 s25, s22, 24
	s_mul_i32 s22, s22, 24
	s_add_i32 s25, s25, s23
	v_add_co_u32 v9, vcc_lo, v25, s22
	v_add_co_ci_u32_e32 v10, vcc_lo, s25, v26, vcc_lo
	s_mov_b32 s22, exec_lo
	global_store_dwordx2 v[9:10], v[13:14], off
	s_waitcnt_vscnt null, 0x0
	global_atomic_cmpswap_x2 v[4:5], v6, v[11:14], s[6:7] offset:32 glc
	s_waitcnt vmcnt(0)
	v_cmpx_ne_u64_e64 v[4:5], v[13:14]
	s_cbranch_execz .LBB4_743
; %bb.741:                              ;   in Loop: Header=BB4_682 Depth=1
	s_mov_b32 s23, 0
.LBB4_742:                              ;   Parent Loop BB4_682 Depth=1
                                        ; =>  This Inner Loop Header: Depth=2
	v_mov_b32_e32 v2, s20
	v_mov_b32_e32 v3, s21
	s_sleep 1
	global_store_dwordx2 v[9:10], v[4:5], off
	s_waitcnt_vscnt null, 0x0
	global_atomic_cmpswap_x2 v[2:3], v6, v[2:5], s[6:7] offset:32 glc
	s_waitcnt vmcnt(0)
	v_cmp_eq_u64_e32 vcc_lo, v[2:3], v[4:5]
	v_mov_b32_e32 v5, v3
	v_mov_b32_e32 v4, v2
	s_or_b32 s23, vcc_lo, s23
	s_andn2_b32 exec_lo, exec_lo, s23
	s_cbranch_execnz .LBB4_742
.LBB4_743:                              ;   in Loop: Header=BB4_682 Depth=1
	s_or_b32 exec_lo, exec_lo, s22
	global_load_dwordx2 v[2:3], v6, s[6:7] offset:16
	s_mov_b32 s23, exec_lo
	s_mov_b32 s22, exec_lo
	v_mbcnt_lo_u32_b32 v4, s23, 0
	v_cmpx_eq_u32_e32 0, v4
	s_cbranch_execz .LBB4_745
; %bb.744:                              ;   in Loop: Header=BB4_682 Depth=1
	s_bcnt1_i32_b32 s23, s23
	v_mov_b32_e32 v5, s23
	s_waitcnt vmcnt(0)
	global_atomic_add_x2 v[2:3], v[5:6], off offset:8
.LBB4_745:                              ;   in Loop: Header=BB4_682 Depth=1
	s_or_b32 exec_lo, exec_lo, s22
	s_waitcnt vmcnt(0)
	global_load_dwordx2 v[9:10], v[2:3], off offset:16
	s_waitcnt vmcnt(0)
	v_cmp_eq_u64_e32 vcc_lo, 0, v[9:10]
	s_cbranch_vccnz .LBB4_747
; %bb.746:                              ;   in Loop: Header=BB4_682 Depth=1
	global_load_dword v5, v[2:3], off offset:24
	s_waitcnt vmcnt(0)
	v_and_b32_e32 v2, 0x7fffff, v5
	s_waitcnt_vscnt null, 0x0
	global_store_dwordx2 v[9:10], v[5:6], off
	v_readfirstlane_b32 m0, v2
	s_sendmsg sendmsg(MSG_INTERRUPT)
.LBB4_747:                              ;   in Loop: Header=BB4_682 Depth=1
	s_or_b32 exec_lo, exec_lo, s5
	v_add_co_u32 v2, vcc_lo, v27, v31
	v_add_co_ci_u32_e32 v3, vcc_lo, 0, v28, vcc_lo
	s_branch .LBB4_751
	.p2align	6
.LBB4_748:                              ;   in Loop: Header=BB4_751 Depth=2
	s_or_b32 exec_lo, exec_lo, s5
	v_readfirstlane_b32 s5, v4
	s_cmp_eq_u32 s5, 0
	s_cbranch_scc1 .LBB4_750
; %bb.749:                              ;   in Loop: Header=BB4_751 Depth=2
	s_sleep 1
	s_cbranch_execnz .LBB4_751
	s_branch .LBB4_753
	.p2align	6
.LBB4_750:                              ;   in Loop: Header=BB4_682 Depth=1
	s_branch .LBB4_753
.LBB4_751:                              ;   Parent Loop BB4_682 Depth=1
                                        ; =>  This Inner Loop Header: Depth=2
	v_mov_b32_e32 v4, 1
	s_and_saveexec_b32 s5, s4
	s_cbranch_execz .LBB4_748
; %bb.752:                              ;   in Loop: Header=BB4_751 Depth=2
	global_load_dword v4, v[29:30], off offset:20 glc dlc
	s_waitcnt vmcnt(0)
	buffer_gl1_inv
	buffer_gl0_inv
	v_and_b32_e32 v4, 1, v4
	s_branch .LBB4_748
.LBB4_753:                              ;   in Loop: Header=BB4_682 Depth=1
	global_load_dwordx4 v[2:5], v[2:3], off
	s_and_saveexec_b32 s5, s4
	s_cbranch_execz .LBB4_681
; %bb.754:                              ;   in Loop: Header=BB4_682 Depth=1
	s_clause 0x2
	global_load_dwordx2 v[4:5], v6, s[6:7] offset:40
	global_load_dwordx2 v[13:14], v6, s[6:7] offset:24 glc dlc
	global_load_dwordx2 v[11:12], v6, s[6:7]
	s_waitcnt vmcnt(2)
	v_add_co_u32 v15, vcc_lo, v4, 1
	v_add_co_ci_u32_e32 v16, vcc_lo, 0, v5, vcc_lo
	v_add_co_u32 v9, vcc_lo, v15, s20
	v_add_co_ci_u32_e32 v10, vcc_lo, s21, v16, vcc_lo
	v_cmp_eq_u64_e32 vcc_lo, 0, v[9:10]
	v_cndmask_b32_e32 v10, v10, v16, vcc_lo
	v_cndmask_b32_e32 v9, v9, v15, vcc_lo
	v_and_b32_e32 v5, v10, v5
	v_and_b32_e32 v4, v9, v4
	v_mul_lo_u32 v5, v5, 24
	v_mul_hi_u32 v15, v4, 24
	v_mul_lo_u32 v4, v4, 24
	v_add_nc_u32_e32 v5, v15, v5
	s_waitcnt vmcnt(0)
	v_add_co_u32 v4, vcc_lo, v11, v4
	v_mov_b32_e32 v11, v13
	v_add_co_ci_u32_e32 v5, vcc_lo, v12, v5, vcc_lo
	v_mov_b32_e32 v12, v14
	global_store_dwordx2 v[4:5], v[13:14], off
	s_waitcnt_vscnt null, 0x0
	global_atomic_cmpswap_x2 v[11:12], v6, v[9:12], s[6:7] offset:24 glc
	s_waitcnt vmcnt(0)
	v_cmp_ne_u64_e32 vcc_lo, v[11:12], v[13:14]
	s_and_b32 exec_lo, exec_lo, vcc_lo
	s_cbranch_execz .LBB4_681
; %bb.755:                              ;   in Loop: Header=BB4_682 Depth=1
	s_mov_b32 s4, 0
.LBB4_756:                              ;   Parent Loop BB4_682 Depth=1
                                        ; =>  This Inner Loop Header: Depth=2
	s_sleep 1
	global_store_dwordx2 v[4:5], v[11:12], off
	s_waitcnt_vscnt null, 0x0
	global_atomic_cmpswap_x2 v[13:14], v6, v[9:12], s[6:7] offset:24 glc
	s_waitcnt vmcnt(0)
	v_cmp_eq_u64_e32 vcc_lo, v[13:14], v[11:12]
	v_mov_b32_e32 v11, v13
	v_mov_b32_e32 v12, v14
	s_or_b32 s4, vcc_lo, s4
	s_andn2_b32 exec_lo, exec_lo, s4
	s_cbranch_execnz .LBB4_756
	s_branch .LBB4_681
.LBB4_757:
	s_branch .LBB4_786
.LBB4_758:
                                        ; implicit-def: $vgpr2_vgpr3
	s_cbranch_execz .LBB4_786
; %bb.759:
	v_readfirstlane_b32 s4, v32
	v_mov_b32_e32 v8, 0
	v_mov_b32_e32 v9, 0
	v_cmp_eq_u32_e64 s4, s4, v32
	s_and_saveexec_b32 s5, s4
	s_cbranch_execz .LBB4_765
; %bb.760:
	s_waitcnt vmcnt(0)
	v_mov_b32_e32 v2, 0
	s_mov_b32 s10, exec_lo
	global_load_dwordx2 v[5:6], v2, s[6:7] offset:24 glc dlc
	s_waitcnt vmcnt(0)
	buffer_gl1_inv
	buffer_gl0_inv
	s_clause 0x1
	global_load_dwordx2 v[3:4], v2, s[6:7] offset:40
	global_load_dwordx2 v[7:8], v2, s[6:7]
	s_waitcnt vmcnt(1)
	v_and_b32_e32 v4, v4, v6
	v_and_b32_e32 v3, v3, v5
	v_mul_lo_u32 v4, v4, 24
	v_mul_hi_u32 v9, v3, 24
	v_mul_lo_u32 v3, v3, 24
	v_add_nc_u32_e32 v4, v9, v4
	s_waitcnt vmcnt(0)
	v_add_co_u32 v3, vcc_lo, v7, v3
	v_add_co_ci_u32_e32 v4, vcc_lo, v8, v4, vcc_lo
	global_load_dwordx2 v[3:4], v[3:4], off glc dlc
	s_waitcnt vmcnt(0)
	global_atomic_cmpswap_x2 v[8:9], v2, v[3:6], s[6:7] offset:24 glc
	s_waitcnt vmcnt(0)
	buffer_gl1_inv
	buffer_gl0_inv
	v_cmpx_ne_u64_e64 v[8:9], v[5:6]
	s_cbranch_execz .LBB4_764
; %bb.761:
	s_mov_b32 s11, 0
	.p2align	6
.LBB4_762:                              ; =>This Inner Loop Header: Depth=1
	s_sleep 1
	s_clause 0x1
	global_load_dwordx2 v[3:4], v2, s[6:7] offset:40
	global_load_dwordx2 v[10:11], v2, s[6:7]
	v_mov_b32_e32 v5, v8
	v_mov_b32_e32 v6, v9
	s_waitcnt vmcnt(1)
	v_and_b32_e32 v3, v3, v5
	v_and_b32_e32 v4, v4, v6
	s_waitcnt vmcnt(0)
	v_mad_u64_u32 v[7:8], null, v3, 24, v[10:11]
	v_mov_b32_e32 v3, v8
	v_mad_u64_u32 v[3:4], null, v4, 24, v[3:4]
	v_mov_b32_e32 v8, v3
	global_load_dwordx2 v[3:4], v[7:8], off glc dlc
	s_waitcnt vmcnt(0)
	global_atomic_cmpswap_x2 v[8:9], v2, v[3:6], s[6:7] offset:24 glc
	s_waitcnt vmcnt(0)
	buffer_gl1_inv
	buffer_gl0_inv
	v_cmp_eq_u64_e32 vcc_lo, v[8:9], v[5:6]
	s_or_b32 s11, vcc_lo, s11
	s_andn2_b32 exec_lo, exec_lo, s11
	s_cbranch_execnz .LBB4_762
; %bb.763:
	s_or_b32 exec_lo, exec_lo, s11
.LBB4_764:
	s_or_b32 exec_lo, exec_lo, s10
.LBB4_765:
	s_or_b32 exec_lo, exec_lo, s5
	s_waitcnt vmcnt(0)
	v_mov_b32_e32 v2, 0
	v_readfirstlane_b32 s10, v8
	v_readfirstlane_b32 s11, v9
	s_mov_b32 s5, exec_lo
	s_clause 0x1
	global_load_dwordx2 v[10:11], v2, s[6:7] offset:40
	global_load_dwordx4 v[4:7], v2, s[6:7]
	s_waitcnt vmcnt(1)
	v_readfirstlane_b32 s16, v10
	v_readfirstlane_b32 s17, v11
	s_and_b64 s[16:17], s[10:11], s[16:17]
	s_mul_i32 s18, s17, 24
	s_mul_hi_u32 s19, s16, 24
	s_mul_i32 s20, s16, 24
	s_add_i32 s19, s19, s18
	s_waitcnt vmcnt(0)
	v_add_co_u32 v8, vcc_lo, v4, s20
	v_add_co_ci_u32_e32 v9, vcc_lo, s19, v5, vcc_lo
	s_and_saveexec_b32 s18, s4
	s_cbranch_execz .LBB4_767
; %bb.766:
	v_mov_b32_e32 v10, s5
	v_mov_b32_e32 v11, v2
	;; [unrolled: 1-line block ×4, first 2 shown]
	global_store_dwordx4 v[8:9], v[10:13], off offset:8
.LBB4_767:
	s_or_b32 exec_lo, exec_lo, s18
	s_lshl_b64 s[16:17], s[16:17], 12
	v_and_or_b32 v0, 0xffffff1f, v0, 32
	v_add_co_u32 v6, vcc_lo, v6, s16
	v_add_co_ci_u32_e32 v7, vcc_lo, s17, v7, vcc_lo
	s_mov_b32 s16, 0
	v_readfirstlane_b32 s20, v6
	v_add_co_u32 v6, vcc_lo, v6, v31
	s_mov_b32 s17, s16
	s_mov_b32 s18, s16
	;; [unrolled: 1-line block ×3, first 2 shown]
	v_mov_b32_e32 v3, v2
	v_readfirstlane_b32 s21, v7
	v_mov_b32_e32 v10, s16
	v_add_co_ci_u32_e32 v7, vcc_lo, 0, v7, vcc_lo
	v_mov_b32_e32 v11, s17
	v_mov_b32_e32 v12, s18
	;; [unrolled: 1-line block ×3, first 2 shown]
	global_store_dwordx4 v31, v[0:3], s[20:21]
	global_store_dwordx4 v31, v[10:13], s[20:21] offset:16
	global_store_dwordx4 v31, v[10:13], s[20:21] offset:32
	global_store_dwordx4 v31, v[10:13], s[20:21] offset:48
	s_and_saveexec_b32 s5, s4
	s_cbranch_execz .LBB4_775
; %bb.768:
	v_mov_b32_e32 v10, 0
	v_mov_b32_e32 v11, s10
	;; [unrolled: 1-line block ×3, first 2 shown]
	s_clause 0x1
	global_load_dwordx2 v[13:14], v10, s[6:7] offset:32 glc dlc
	global_load_dwordx2 v[0:1], v10, s[6:7] offset:40
	s_waitcnt vmcnt(0)
	v_readfirstlane_b32 s16, v0
	v_readfirstlane_b32 s17, v1
	s_and_b64 s[16:17], s[16:17], s[10:11]
	s_mul_i32 s17, s17, 24
	s_mul_hi_u32 s18, s16, 24
	s_mul_i32 s16, s16, 24
	s_add_i32 s18, s18, s17
	v_add_co_u32 v4, vcc_lo, v4, s16
	v_add_co_ci_u32_e32 v5, vcc_lo, s18, v5, vcc_lo
	s_mov_b32 s16, exec_lo
	global_store_dwordx2 v[4:5], v[13:14], off
	s_waitcnt_vscnt null, 0x0
	global_atomic_cmpswap_x2 v[2:3], v10, v[11:14], s[6:7] offset:32 glc
	s_waitcnt vmcnt(0)
	v_cmpx_ne_u64_e64 v[2:3], v[13:14]
	s_cbranch_execz .LBB4_771
; %bb.769:
	s_mov_b32 s17, 0
.LBB4_770:                              ; =>This Inner Loop Header: Depth=1
	v_mov_b32_e32 v0, s10
	v_mov_b32_e32 v1, s11
	s_sleep 1
	global_store_dwordx2 v[4:5], v[2:3], off
	s_waitcnt_vscnt null, 0x0
	global_atomic_cmpswap_x2 v[0:1], v10, v[0:3], s[6:7] offset:32 glc
	s_waitcnt vmcnt(0)
	v_cmp_eq_u64_e32 vcc_lo, v[0:1], v[2:3]
	v_mov_b32_e32 v3, v1
	v_mov_b32_e32 v2, v0
	s_or_b32 s17, vcc_lo, s17
	s_andn2_b32 exec_lo, exec_lo, s17
	s_cbranch_execnz .LBB4_770
.LBB4_771:
	s_or_b32 exec_lo, exec_lo, s16
	v_mov_b32_e32 v3, 0
	s_mov_b32 s17, exec_lo
	s_mov_b32 s16, exec_lo
	v_mbcnt_lo_u32_b32 v2, s17, 0
	global_load_dwordx2 v[0:1], v3, s[6:7] offset:16
	v_cmpx_eq_u32_e32 0, v2
	s_cbranch_execz .LBB4_773
; %bb.772:
	s_bcnt1_i32_b32 s17, s17
	v_mov_b32_e32 v2, s17
	s_waitcnt vmcnt(0)
	global_atomic_add_x2 v[0:1], v[2:3], off offset:8
.LBB4_773:
	s_or_b32 exec_lo, exec_lo, s16
	s_waitcnt vmcnt(0)
	global_load_dwordx2 v[2:3], v[0:1], off offset:16
	s_waitcnt vmcnt(0)
	v_cmp_eq_u64_e32 vcc_lo, 0, v[2:3]
	s_cbranch_vccnz .LBB4_775
; %bb.774:
	global_load_dword v0, v[0:1], off offset:24
	v_mov_b32_e32 v1, 0
	s_waitcnt vmcnt(0)
	v_and_b32_e32 v4, 0x7fffff, v0
	s_waitcnt_vscnt null, 0x0
	global_store_dwordx2 v[2:3], v[0:1], off
	v_readfirstlane_b32 m0, v4
	s_sendmsg sendmsg(MSG_INTERRUPT)
.LBB4_775:
	s_or_b32 exec_lo, exec_lo, s5
	s_branch .LBB4_779
	.p2align	6
.LBB4_776:                              ;   in Loop: Header=BB4_779 Depth=1
	s_or_b32 exec_lo, exec_lo, s5
	v_readfirstlane_b32 s5, v0
	s_cmp_eq_u32 s5, 0
	s_cbranch_scc1 .LBB4_778
; %bb.777:                              ;   in Loop: Header=BB4_779 Depth=1
	s_sleep 1
	s_cbranch_execnz .LBB4_779
	s_branch .LBB4_781
	.p2align	6
.LBB4_778:
	s_branch .LBB4_781
.LBB4_779:                              ; =>This Inner Loop Header: Depth=1
	v_mov_b32_e32 v0, 1
	s_and_saveexec_b32 s5, s4
	s_cbranch_execz .LBB4_776
; %bb.780:                              ;   in Loop: Header=BB4_779 Depth=1
	global_load_dword v0, v[8:9], off offset:20 glc dlc
	s_waitcnt vmcnt(0)
	buffer_gl1_inv
	buffer_gl0_inv
	v_and_b32_e32 v0, 1, v0
	s_branch .LBB4_776
.LBB4_781:
	global_load_dwordx2 v[2:3], v[6:7], off
	s_and_saveexec_b32 s5, s4
	s_cbranch_execz .LBB4_785
; %bb.782:
	v_mov_b32_e32 v8, 0
	s_clause 0x2
	global_load_dwordx2 v[0:1], v8, s[6:7] offset:40
	global_load_dwordx2 v[9:10], v8, s[6:7] offset:24 glc dlc
	global_load_dwordx2 v[6:7], v8, s[6:7]
	s_waitcnt vmcnt(2)
	v_add_co_u32 v11, vcc_lo, v0, 1
	v_add_co_ci_u32_e32 v12, vcc_lo, 0, v1, vcc_lo
	v_add_co_u32 v4, vcc_lo, v11, s10
	v_add_co_ci_u32_e32 v5, vcc_lo, s11, v12, vcc_lo
	v_cmp_eq_u64_e32 vcc_lo, 0, v[4:5]
	v_cndmask_b32_e32 v5, v5, v12, vcc_lo
	v_cndmask_b32_e32 v4, v4, v11, vcc_lo
	v_and_b32_e32 v1, v5, v1
	v_and_b32_e32 v0, v4, v0
	v_mul_lo_u32 v1, v1, 24
	v_mul_hi_u32 v11, v0, 24
	v_mul_lo_u32 v0, v0, 24
	v_add_nc_u32_e32 v1, v11, v1
	s_waitcnt vmcnt(0)
	v_add_co_u32 v0, vcc_lo, v6, v0
	v_mov_b32_e32 v6, v9
	v_add_co_ci_u32_e32 v1, vcc_lo, v7, v1, vcc_lo
	v_mov_b32_e32 v7, v10
	global_store_dwordx2 v[0:1], v[9:10], off
	s_waitcnt_vscnt null, 0x0
	global_atomic_cmpswap_x2 v[6:7], v8, v[4:7], s[6:7] offset:24 glc
	s_waitcnt vmcnt(0)
	v_cmp_ne_u64_e32 vcc_lo, v[6:7], v[9:10]
	s_and_b32 exec_lo, exec_lo, vcc_lo
	s_cbranch_execz .LBB4_785
; %bb.783:
	s_mov_b32 s4, 0
.LBB4_784:                              ; =>This Inner Loop Header: Depth=1
	s_sleep 1
	global_store_dwordx2 v[0:1], v[6:7], off
	s_waitcnt_vscnt null, 0x0
	global_atomic_cmpswap_x2 v[9:10], v8, v[4:7], s[6:7] offset:24 glc
	s_waitcnt vmcnt(0)
	v_cmp_eq_u64_e32 vcc_lo, v[9:10], v[6:7]
	v_mov_b32_e32 v6, v9
	v_mov_b32_e32 v7, v10
	s_or_b32 s4, vcc_lo, s4
	s_andn2_b32 exec_lo, exec_lo, s4
	s_cbranch_execnz .LBB4_784
.LBB4_785:
	s_or_b32 exec_lo, exec_lo, s5
.LBB4_786:
	v_readfirstlane_b32 s4, v32
	s_waitcnt vmcnt(0)
	v_mov_b32_e32 v0, 0
	v_mov_b32_e32 v1, 0
	v_cmp_eq_u32_e64 s4, s4, v32
	s_and_saveexec_b32 s5, s4
	s_cbranch_execz .LBB4_792
; %bb.787:
	v_mov_b32_e32 v4, 0
	s_mov_b32 s10, exec_lo
	global_load_dwordx2 v[7:8], v4, s[6:7] offset:24 glc dlc
	s_waitcnt vmcnt(0)
	buffer_gl1_inv
	buffer_gl0_inv
	s_clause 0x1
	global_load_dwordx2 v[0:1], v4, s[6:7] offset:40
	global_load_dwordx2 v[5:6], v4, s[6:7]
	s_waitcnt vmcnt(1)
	v_and_b32_e32 v1, v1, v8
	v_and_b32_e32 v0, v0, v7
	v_mul_lo_u32 v1, v1, 24
	v_mul_hi_u32 v9, v0, 24
	v_mul_lo_u32 v0, v0, 24
	v_add_nc_u32_e32 v1, v9, v1
	s_waitcnt vmcnt(0)
	v_add_co_u32 v0, vcc_lo, v5, v0
	v_add_co_ci_u32_e32 v1, vcc_lo, v6, v1, vcc_lo
	global_load_dwordx2 v[5:6], v[0:1], off glc dlc
	s_waitcnt vmcnt(0)
	global_atomic_cmpswap_x2 v[0:1], v4, v[5:8], s[6:7] offset:24 glc
	s_waitcnt vmcnt(0)
	buffer_gl1_inv
	buffer_gl0_inv
	v_cmpx_ne_u64_e64 v[0:1], v[7:8]
	s_cbranch_execz .LBB4_791
; %bb.788:
	s_mov_b32 s11, 0
	.p2align	6
.LBB4_789:                              ; =>This Inner Loop Header: Depth=1
	s_sleep 1
	s_clause 0x1
	global_load_dwordx2 v[5:6], v4, s[6:7] offset:40
	global_load_dwordx2 v[9:10], v4, s[6:7]
	v_mov_b32_e32 v8, v1
	v_mov_b32_e32 v7, v0
	s_waitcnt vmcnt(1)
	v_and_b32_e32 v0, v5, v7
	v_and_b32_e32 v5, v6, v8
	s_waitcnt vmcnt(0)
	v_mad_u64_u32 v[0:1], null, v0, 24, v[9:10]
	v_mad_u64_u32 v[5:6], null, v5, 24, v[1:2]
	v_mov_b32_e32 v1, v5
	global_load_dwordx2 v[5:6], v[0:1], off glc dlc
	s_waitcnt vmcnt(0)
	global_atomic_cmpswap_x2 v[0:1], v4, v[5:8], s[6:7] offset:24 glc
	s_waitcnt vmcnt(0)
	buffer_gl1_inv
	buffer_gl0_inv
	v_cmp_eq_u64_e32 vcc_lo, v[0:1], v[7:8]
	s_or_b32 s11, vcc_lo, s11
	s_andn2_b32 exec_lo, exec_lo, s11
	s_cbranch_execnz .LBB4_789
; %bb.790:
	s_or_b32 exec_lo, exec_lo, s11
.LBB4_791:
	s_or_b32 exec_lo, exec_lo, s10
.LBB4_792:
	s_or_b32 exec_lo, exec_lo, s5
	v_mov_b32_e32 v5, 0
	v_readfirstlane_b32 s10, v0
	v_readfirstlane_b32 s11, v1
	s_mov_b32 s5, exec_lo
	s_clause 0x1
	global_load_dwordx2 v[10:11], v5, s[6:7] offset:40
	global_load_dwordx4 v[6:9], v5, s[6:7]
	s_waitcnt vmcnt(1)
	v_readfirstlane_b32 s16, v10
	v_readfirstlane_b32 s17, v11
	s_and_b64 s[16:17], s[10:11], s[16:17]
	s_mul_i32 s18, s17, 24
	s_mul_hi_u32 s19, s16, 24
	s_mul_i32 s20, s16, 24
	s_add_i32 s19, s19, s18
	s_waitcnt vmcnt(0)
	v_add_co_u32 v10, vcc_lo, v6, s20
	v_add_co_ci_u32_e32 v11, vcc_lo, s19, v7, vcc_lo
	s_and_saveexec_b32 s18, s4
	s_cbranch_execz .LBB4_794
; %bb.793:
	v_mov_b32_e32 v4, s5
	v_mov_b32_e32 v13, v5
	;; [unrolled: 1-line block ×5, first 2 shown]
	global_store_dwordx4 v[10:11], v[12:15], off offset:8
.LBB4_794:
	s_or_b32 exec_lo, exec_lo, s18
	s_lshl_b64 s[16:17], s[16:17], 12
	v_and_or_b32 v2, 0xffffff1d, v2, 34
	v_add_co_u32 v0, vcc_lo, v8, s16
	v_add_co_ci_u32_e32 v1, vcc_lo, s17, v9, vcc_lo
	s_mov_b32 s16, 0
	v_mov_b32_e32 v4, 58
	s_mov_b32 s17, s16
	s_mov_b32 s18, s16
	;; [unrolled: 1-line block ×3, first 2 shown]
	v_readfirstlane_b32 s20, v0
	v_readfirstlane_b32 s21, v1
	v_mov_b32_e32 v12, s16
	v_mov_b32_e32 v13, s17
	;; [unrolled: 1-line block ×4, first 2 shown]
	global_store_dwordx4 v31, v[2:5], s[20:21]
	global_store_dwordx4 v31, v[12:15], s[20:21] offset:16
	global_store_dwordx4 v31, v[12:15], s[20:21] offset:32
	;; [unrolled: 1-line block ×3, first 2 shown]
	s_and_saveexec_b32 s5, s4
	s_cbranch_execz .LBB4_802
; %bb.795:
	v_mov_b32_e32 v8, 0
	v_mov_b32_e32 v12, s10
	;; [unrolled: 1-line block ×3, first 2 shown]
	s_clause 0x1
	global_load_dwordx2 v[14:15], v8, s[6:7] offset:32 glc dlc
	global_load_dwordx2 v[0:1], v8, s[6:7] offset:40
	s_waitcnt vmcnt(0)
	v_readfirstlane_b32 s16, v0
	v_readfirstlane_b32 s17, v1
	s_and_b64 s[16:17], s[16:17], s[10:11]
	s_mul_i32 s17, s17, 24
	s_mul_hi_u32 s18, s16, 24
	s_mul_i32 s16, s16, 24
	s_add_i32 s18, s18, s17
	v_add_co_u32 v4, vcc_lo, v6, s16
	v_add_co_ci_u32_e32 v5, vcc_lo, s18, v7, vcc_lo
	s_mov_b32 s16, exec_lo
	global_store_dwordx2 v[4:5], v[14:15], off
	s_waitcnt_vscnt null, 0x0
	global_atomic_cmpswap_x2 v[2:3], v8, v[12:15], s[6:7] offset:32 glc
	s_waitcnt vmcnt(0)
	v_cmpx_ne_u64_e64 v[2:3], v[14:15]
	s_cbranch_execz .LBB4_798
; %bb.796:
	s_mov_b32 s17, 0
.LBB4_797:                              ; =>This Inner Loop Header: Depth=1
	v_mov_b32_e32 v0, s10
	v_mov_b32_e32 v1, s11
	s_sleep 1
	global_store_dwordx2 v[4:5], v[2:3], off
	s_waitcnt_vscnt null, 0x0
	global_atomic_cmpswap_x2 v[0:1], v8, v[0:3], s[6:7] offset:32 glc
	s_waitcnt vmcnt(0)
	v_cmp_eq_u64_e32 vcc_lo, v[0:1], v[2:3]
	v_mov_b32_e32 v3, v1
	v_mov_b32_e32 v2, v0
	s_or_b32 s17, vcc_lo, s17
	s_andn2_b32 exec_lo, exec_lo, s17
	s_cbranch_execnz .LBB4_797
.LBB4_798:
	s_or_b32 exec_lo, exec_lo, s16
	v_mov_b32_e32 v3, 0
	s_mov_b32 s17, exec_lo
	s_mov_b32 s16, exec_lo
	v_mbcnt_lo_u32_b32 v2, s17, 0
	global_load_dwordx2 v[0:1], v3, s[6:7] offset:16
	v_cmpx_eq_u32_e32 0, v2
	s_cbranch_execz .LBB4_800
; %bb.799:
	s_bcnt1_i32_b32 s17, s17
	v_mov_b32_e32 v2, s17
	s_waitcnt vmcnt(0)
	global_atomic_add_x2 v[0:1], v[2:3], off offset:8
.LBB4_800:
	s_or_b32 exec_lo, exec_lo, s16
	s_waitcnt vmcnt(0)
	global_load_dwordx2 v[2:3], v[0:1], off offset:16
	s_waitcnt vmcnt(0)
	v_cmp_eq_u64_e32 vcc_lo, 0, v[2:3]
	s_cbranch_vccnz .LBB4_802
; %bb.801:
	global_load_dword v0, v[0:1], off offset:24
	v_mov_b32_e32 v1, 0
	s_waitcnt vmcnt(0)
	v_and_b32_e32 v4, 0x7fffff, v0
	s_waitcnt_vscnt null, 0x0
	global_store_dwordx2 v[2:3], v[0:1], off
	v_readfirstlane_b32 m0, v4
	s_sendmsg sendmsg(MSG_INTERRUPT)
.LBB4_802:
	s_or_b32 exec_lo, exec_lo, s5
	s_branch .LBB4_806
	.p2align	6
.LBB4_803:                              ;   in Loop: Header=BB4_806 Depth=1
	s_or_b32 exec_lo, exec_lo, s5
	v_readfirstlane_b32 s5, v0
	s_cmp_eq_u32 s5, 0
	s_cbranch_scc1 .LBB4_805
; %bb.804:                              ;   in Loop: Header=BB4_806 Depth=1
	s_sleep 1
	s_cbranch_execnz .LBB4_806
	s_branch .LBB4_808
	.p2align	6
.LBB4_805:
	s_branch .LBB4_808
.LBB4_806:                              ; =>This Inner Loop Header: Depth=1
	v_mov_b32_e32 v0, 1
	s_and_saveexec_b32 s5, s4
	s_cbranch_execz .LBB4_803
; %bb.807:                              ;   in Loop: Header=BB4_806 Depth=1
	global_load_dword v0, v[10:11], off offset:20 glc dlc
	s_waitcnt vmcnt(0)
	buffer_gl1_inv
	buffer_gl0_inv
	v_and_b32_e32 v0, 1, v0
	s_branch .LBB4_803
.LBB4_808:
	s_and_saveexec_b32 s5, s4
	s_cbranch_execz .LBB4_812
; %bb.809:
	v_mov_b32_e32 v6, 0
	s_clause 0x2
	global_load_dwordx2 v[2:3], v6, s[6:7] offset:40
	global_load_dwordx2 v[7:8], v6, s[6:7] offset:24 glc dlc
	global_load_dwordx2 v[4:5], v6, s[6:7]
	s_waitcnt vmcnt(2)
	v_add_co_u32 v9, vcc_lo, v2, 1
	v_add_co_ci_u32_e32 v10, vcc_lo, 0, v3, vcc_lo
	v_add_co_u32 v0, vcc_lo, v9, s10
	v_add_co_ci_u32_e32 v1, vcc_lo, s11, v10, vcc_lo
	v_cmp_eq_u64_e32 vcc_lo, 0, v[0:1]
	v_cndmask_b32_e32 v1, v1, v10, vcc_lo
	v_cndmask_b32_e32 v0, v0, v9, vcc_lo
	v_and_b32_e32 v3, v1, v3
	v_and_b32_e32 v2, v0, v2
	v_mul_lo_u32 v3, v3, 24
	v_mul_hi_u32 v9, v2, 24
	v_mul_lo_u32 v2, v2, 24
	v_add_nc_u32_e32 v3, v9, v3
	s_waitcnt vmcnt(0)
	v_add_co_u32 v4, vcc_lo, v4, v2
	v_mov_b32_e32 v2, v7
	v_add_co_ci_u32_e32 v5, vcc_lo, v5, v3, vcc_lo
	v_mov_b32_e32 v3, v8
	global_store_dwordx2 v[4:5], v[7:8], off
	s_waitcnt_vscnt null, 0x0
	global_atomic_cmpswap_x2 v[2:3], v6, v[0:3], s[6:7] offset:24 glc
	s_waitcnt vmcnt(0)
	v_cmp_ne_u64_e32 vcc_lo, v[2:3], v[7:8]
	s_and_b32 exec_lo, exec_lo, vcc_lo
	s_cbranch_execz .LBB4_812
; %bb.810:
	s_mov_b32 s4, 0
.LBB4_811:                              ; =>This Inner Loop Header: Depth=1
	s_sleep 1
	global_store_dwordx2 v[4:5], v[2:3], off
	s_waitcnt_vscnt null, 0x0
	global_atomic_cmpswap_x2 v[7:8], v6, v[0:3], s[6:7] offset:24 glc
	s_waitcnt vmcnt(0)
	v_cmp_eq_u64_e32 vcc_lo, v[7:8], v[2:3]
	v_mov_b32_e32 v2, v7
	v_mov_b32_e32 v3, v8
	s_or_b32 s4, vcc_lo, s4
	s_andn2_b32 exec_lo, exec_lo, s4
	s_cbranch_execnz .LBB4_811
.LBB4_812:
	s_or_b32 exec_lo, exec_lo, s5
	v_readfirstlane_b32 s4, v32
	v_mov_b32_e32 v6, 0
	v_mov_b32_e32 v7, 0
	v_cmp_eq_u32_e64 s4, s4, v32
	s_and_saveexec_b32 s5, s4
	s_cbranch_execz .LBB4_818
; %bb.813:
	v_mov_b32_e32 v0, 0
	s_mov_b32 s10, exec_lo
	global_load_dwordx2 v[3:4], v0, s[6:7] offset:24 glc dlc
	s_waitcnt vmcnt(0)
	buffer_gl1_inv
	buffer_gl0_inv
	s_clause 0x1
	global_load_dwordx2 v[1:2], v0, s[6:7] offset:40
	global_load_dwordx2 v[5:6], v0, s[6:7]
	s_waitcnt vmcnt(1)
	v_and_b32_e32 v2, v2, v4
	v_and_b32_e32 v1, v1, v3
	v_mul_lo_u32 v2, v2, 24
	v_mul_hi_u32 v7, v1, 24
	v_mul_lo_u32 v1, v1, 24
	v_add_nc_u32_e32 v2, v7, v2
	s_waitcnt vmcnt(0)
	v_add_co_u32 v1, vcc_lo, v5, v1
	v_add_co_ci_u32_e32 v2, vcc_lo, v6, v2, vcc_lo
	global_load_dwordx2 v[1:2], v[1:2], off glc dlc
	s_waitcnt vmcnt(0)
	global_atomic_cmpswap_x2 v[6:7], v0, v[1:4], s[6:7] offset:24 glc
	s_waitcnt vmcnt(0)
	buffer_gl1_inv
	buffer_gl0_inv
	v_cmpx_ne_u64_e64 v[6:7], v[3:4]
	s_cbranch_execz .LBB4_817
; %bb.814:
	s_mov_b32 s11, 0
	.p2align	6
.LBB4_815:                              ; =>This Inner Loop Header: Depth=1
	s_sleep 1
	s_clause 0x1
	global_load_dwordx2 v[1:2], v0, s[6:7] offset:40
	global_load_dwordx2 v[8:9], v0, s[6:7]
	v_mov_b32_e32 v3, v6
	v_mov_b32_e32 v4, v7
	s_waitcnt vmcnt(1)
	v_and_b32_e32 v1, v1, v3
	v_and_b32_e32 v2, v2, v4
	s_waitcnt vmcnt(0)
	v_mad_u64_u32 v[5:6], null, v1, 24, v[8:9]
	v_mov_b32_e32 v1, v6
	v_mad_u64_u32 v[1:2], null, v2, 24, v[1:2]
	v_mov_b32_e32 v6, v1
	global_load_dwordx2 v[1:2], v[5:6], off glc dlc
	s_waitcnt vmcnt(0)
	global_atomic_cmpswap_x2 v[6:7], v0, v[1:4], s[6:7] offset:24 glc
	s_waitcnt vmcnt(0)
	buffer_gl1_inv
	buffer_gl0_inv
	v_cmp_eq_u64_e32 vcc_lo, v[6:7], v[3:4]
	s_or_b32 s11, vcc_lo, s11
	s_andn2_b32 exec_lo, exec_lo, s11
	s_cbranch_execnz .LBB4_815
; %bb.816:
	s_or_b32 exec_lo, exec_lo, s11
.LBB4_817:
	s_or_b32 exec_lo, exec_lo, s10
.LBB4_818:
	s_or_b32 exec_lo, exec_lo, s5
	v_mov_b32_e32 v5, 0
	v_readfirstlane_b32 s10, v6
	v_readfirstlane_b32 s11, v7
	s_mov_b32 s5, exec_lo
	s_clause 0x1
	global_load_dwordx2 v[8:9], v5, s[6:7] offset:40
	global_load_dwordx4 v[0:3], v5, s[6:7]
	s_waitcnt vmcnt(1)
	v_readfirstlane_b32 s16, v8
	v_readfirstlane_b32 s17, v9
	s_and_b64 s[16:17], s[10:11], s[16:17]
	s_mul_i32 s18, s17, 24
	s_mul_hi_u32 s19, s16, 24
	s_mul_i32 s20, s16, 24
	s_add_i32 s19, s19, s18
	s_waitcnt vmcnt(0)
	v_add_co_u32 v8, vcc_lo, v0, s20
	v_add_co_ci_u32_e32 v9, vcc_lo, s19, v1, vcc_lo
	s_and_saveexec_b32 s18, s4
	s_cbranch_execz .LBB4_820
; %bb.819:
	v_mov_b32_e32 v4, s5
	v_mov_b32_e32 v6, 2
	;; [unrolled: 1-line block ×3, first 2 shown]
	global_store_dwordx4 v[8:9], v[4:7], off offset:8
.LBB4_820:
	s_or_b32 exec_lo, exec_lo, s18
	s_lshl_b64 s[16:17], s[16:17], 12
	v_mov_b32_e32 v4, 33
	v_add_co_u32 v2, vcc_lo, v2, s16
	v_add_co_ci_u32_e32 v3, vcc_lo, s17, v3, vcc_lo
	s_mov_b32 s16, 0
	v_add_co_u32 v10, vcc_lo, v2, v31
	s_mov_b32 s17, s16
	s_mov_b32 s18, s16
	;; [unrolled: 1-line block ×3, first 2 shown]
	v_mov_b32_e32 v6, v5
	v_mov_b32_e32 v7, v5
	v_readfirstlane_b32 s20, v2
	v_readfirstlane_b32 s21, v3
	v_mov_b32_e32 v12, s16
	v_add_co_ci_u32_e32 v11, vcc_lo, 0, v3, vcc_lo
	v_mov_b32_e32 v13, s17
	v_mov_b32_e32 v14, s18
	;; [unrolled: 1-line block ×3, first 2 shown]
	global_store_dwordx4 v31, v[4:7], s[20:21]
	global_store_dwordx4 v31, v[12:15], s[20:21] offset:16
	global_store_dwordx4 v31, v[12:15], s[20:21] offset:32
	global_store_dwordx4 v31, v[12:15], s[20:21] offset:48
	s_and_saveexec_b32 s5, s4
	s_cbranch_execz .LBB4_828
; %bb.821:
	v_mov_b32_e32 v6, 0
	v_mov_b32_e32 v12, s10
	;; [unrolled: 1-line block ×3, first 2 shown]
	s_clause 0x1
	global_load_dwordx2 v[14:15], v6, s[6:7] offset:32 glc dlc
	global_load_dwordx2 v[2:3], v6, s[6:7] offset:40
	s_waitcnt vmcnt(0)
	v_readfirstlane_b32 s16, v2
	v_readfirstlane_b32 s17, v3
	s_and_b64 s[16:17], s[16:17], s[10:11]
	s_mul_i32 s17, s17, 24
	s_mul_hi_u32 s18, s16, 24
	s_mul_i32 s16, s16, 24
	s_add_i32 s18, s18, s17
	v_add_co_u32 v4, vcc_lo, v0, s16
	v_add_co_ci_u32_e32 v5, vcc_lo, s18, v1, vcc_lo
	s_mov_b32 s16, exec_lo
	global_store_dwordx2 v[4:5], v[14:15], off
	s_waitcnt_vscnt null, 0x0
	global_atomic_cmpswap_x2 v[2:3], v6, v[12:15], s[6:7] offset:32 glc
	s_waitcnt vmcnt(0)
	v_cmpx_ne_u64_e64 v[2:3], v[14:15]
	s_cbranch_execz .LBB4_824
; %bb.822:
	s_mov_b32 s17, 0
.LBB4_823:                              ; =>This Inner Loop Header: Depth=1
	v_mov_b32_e32 v0, s10
	v_mov_b32_e32 v1, s11
	s_sleep 1
	global_store_dwordx2 v[4:5], v[2:3], off
	s_waitcnt_vscnt null, 0x0
	global_atomic_cmpswap_x2 v[0:1], v6, v[0:3], s[6:7] offset:32 glc
	s_waitcnt vmcnt(0)
	v_cmp_eq_u64_e32 vcc_lo, v[0:1], v[2:3]
	v_mov_b32_e32 v3, v1
	v_mov_b32_e32 v2, v0
	s_or_b32 s17, vcc_lo, s17
	s_andn2_b32 exec_lo, exec_lo, s17
	s_cbranch_execnz .LBB4_823
.LBB4_824:
	s_or_b32 exec_lo, exec_lo, s16
	v_mov_b32_e32 v3, 0
	s_mov_b32 s17, exec_lo
	s_mov_b32 s16, exec_lo
	v_mbcnt_lo_u32_b32 v2, s17, 0
	global_load_dwordx2 v[0:1], v3, s[6:7] offset:16
	v_cmpx_eq_u32_e32 0, v2
	s_cbranch_execz .LBB4_826
; %bb.825:
	s_bcnt1_i32_b32 s17, s17
	v_mov_b32_e32 v2, s17
	s_waitcnt vmcnt(0)
	global_atomic_add_x2 v[0:1], v[2:3], off offset:8
.LBB4_826:
	s_or_b32 exec_lo, exec_lo, s16
	s_waitcnt vmcnt(0)
	global_load_dwordx2 v[2:3], v[0:1], off offset:16
	s_waitcnt vmcnt(0)
	v_cmp_eq_u64_e32 vcc_lo, 0, v[2:3]
	s_cbranch_vccnz .LBB4_828
; %bb.827:
	global_load_dword v0, v[0:1], off offset:24
	v_mov_b32_e32 v1, 0
	s_waitcnt vmcnt(0)
	v_and_b32_e32 v4, 0x7fffff, v0
	s_waitcnt_vscnt null, 0x0
	global_store_dwordx2 v[2:3], v[0:1], off
	v_readfirstlane_b32 m0, v4
	s_sendmsg sendmsg(MSG_INTERRUPT)
.LBB4_828:
	s_or_b32 exec_lo, exec_lo, s5
	s_branch .LBB4_832
	.p2align	6
.LBB4_829:                              ;   in Loop: Header=BB4_832 Depth=1
	s_or_b32 exec_lo, exec_lo, s5
	v_readfirstlane_b32 s5, v0
	s_cmp_eq_u32 s5, 0
	s_cbranch_scc1 .LBB4_831
; %bb.830:                              ;   in Loop: Header=BB4_832 Depth=1
	s_sleep 1
	s_cbranch_execnz .LBB4_832
	s_branch .LBB4_834
	.p2align	6
.LBB4_831:
	s_branch .LBB4_834
.LBB4_832:                              ; =>This Inner Loop Header: Depth=1
	v_mov_b32_e32 v0, 1
	s_and_saveexec_b32 s5, s4
	s_cbranch_execz .LBB4_829
; %bb.833:                              ;   in Loop: Header=BB4_832 Depth=1
	global_load_dword v0, v[8:9], off offset:20 glc dlc
	s_waitcnt vmcnt(0)
	buffer_gl1_inv
	buffer_gl0_inv
	v_and_b32_e32 v0, 1, v0
	s_branch .LBB4_829
.LBB4_834:
	global_load_dwordx2 v[0:1], v[10:11], off
	s_and_saveexec_b32 s5, s4
	s_cbranch_execz .LBB4_838
; %bb.835:
	v_mov_b32_e32 v8, 0
	s_clause 0x2
	global_load_dwordx2 v[4:5], v8, s[6:7] offset:40
	global_load_dwordx2 v[9:10], v8, s[6:7] offset:24 glc dlc
	global_load_dwordx2 v[6:7], v8, s[6:7]
	s_waitcnt vmcnt(2)
	v_add_co_u32 v11, vcc_lo, v4, 1
	v_add_co_ci_u32_e32 v12, vcc_lo, 0, v5, vcc_lo
	v_add_co_u32 v2, vcc_lo, v11, s10
	v_add_co_ci_u32_e32 v3, vcc_lo, s11, v12, vcc_lo
	v_cmp_eq_u64_e32 vcc_lo, 0, v[2:3]
	v_cndmask_b32_e32 v3, v3, v12, vcc_lo
	v_cndmask_b32_e32 v2, v2, v11, vcc_lo
	v_and_b32_e32 v5, v3, v5
	v_and_b32_e32 v4, v2, v4
	v_mul_lo_u32 v5, v5, 24
	v_mul_hi_u32 v11, v4, 24
	v_mul_lo_u32 v4, v4, 24
	v_add_nc_u32_e32 v5, v11, v5
	s_waitcnt vmcnt(0)
	v_add_co_u32 v6, vcc_lo, v6, v4
	v_mov_b32_e32 v4, v9
	v_add_co_ci_u32_e32 v7, vcc_lo, v7, v5, vcc_lo
	v_mov_b32_e32 v5, v10
	global_store_dwordx2 v[6:7], v[9:10], off
	s_waitcnt_vscnt null, 0x0
	global_atomic_cmpswap_x2 v[4:5], v8, v[2:5], s[6:7] offset:24 glc
	s_waitcnt vmcnt(0)
	v_cmp_ne_u64_e32 vcc_lo, v[4:5], v[9:10]
	s_and_b32 exec_lo, exec_lo, vcc_lo
	s_cbranch_execz .LBB4_838
; %bb.836:
	s_mov_b32 s4, 0
.LBB4_837:                              ; =>This Inner Loop Header: Depth=1
	s_sleep 1
	global_store_dwordx2 v[6:7], v[4:5], off
	s_waitcnt_vscnt null, 0x0
	global_atomic_cmpswap_x2 v[9:10], v8, v[2:5], s[6:7] offset:24 glc
	s_waitcnt vmcnt(0)
	v_cmp_eq_u64_e32 vcc_lo, v[9:10], v[4:5]
	v_mov_b32_e32 v4, v9
	v_mov_b32_e32 v5, v10
	s_or_b32 s4, vcc_lo, s4
	s_andn2_b32 exec_lo, exec_lo, s4
	s_cbranch_execnz .LBB4_837
.LBB4_838:
	s_or_b32 exec_lo, exec_lo, s5
	s_getpc_b64 s[10:11]
	s_add_u32 s10, s10, .str.7@rel32@lo+4
	s_addc_u32 s11, s11, .str.7@rel32@hi+12
	s_cmp_lg_u64 s[10:11], 0
	s_cbranch_scc0 .LBB4_917
; %bb.839:
	s_waitcnt vmcnt(0)
	v_and_b32_e32 v33, 2, v0
	v_mov_b32_e32 v6, 0
	v_and_b32_e32 v2, -3, v0
	v_mov_b32_e32 v3, v1
	v_mov_b32_e32 v7, 2
	;; [unrolled: 1-line block ×3, first 2 shown]
	s_mov_b64 s[16:17], 4
	s_branch .LBB4_841
.LBB4_840:                              ;   in Loop: Header=BB4_841 Depth=1
	s_or_b32 exec_lo, exec_lo, s5
	s_sub_u32 s16, s16, s18
	s_subb_u32 s17, s17, s19
	s_add_u32 s10, s10, s18
	s_addc_u32 s11, s11, s19
	s_cmp_lg_u64 s[16:17], 0
	s_cbranch_scc0 .LBB4_916
.LBB4_841:                              ; =>This Loop Header: Depth=1
                                        ;     Child Loop BB4_850 Depth 2
                                        ;     Child Loop BB4_846 Depth 2
	;; [unrolled: 1-line block ×11, first 2 shown]
	v_cmp_lt_u64_e64 s4, s[16:17], 56
	v_cmp_gt_u64_e64 s5, s[16:17], 7
                                        ; implicit-def: $vgpr11_vgpr12
                                        ; implicit-def: $sgpr25
	s_and_b32 s4, s4, exec_lo
	s_cselect_b32 s19, s17, 0
	s_cselect_b32 s18, s16, 56
	s_and_b32 vcc_lo, exec_lo, s5
	s_mov_b32 s4, -1
	s_cbranch_vccz .LBB4_848
; %bb.842:                              ;   in Loop: Header=BB4_841 Depth=1
	s_andn2_b32 vcc_lo, exec_lo, s4
	s_mov_b64 s[4:5], s[10:11]
	s_cbranch_vccz .LBB4_852
.LBB4_843:                              ;   in Loop: Header=BB4_841 Depth=1
	s_cmp_gt_u32 s25, 7
	s_cbranch_scc1 .LBB4_853
.LBB4_844:                              ;   in Loop: Header=BB4_841 Depth=1
	v_mov_b32_e32 v13, 0
	v_mov_b32_e32 v14, 0
	s_cmp_eq_u32 s25, 0
	s_cbranch_scc1 .LBB4_847
; %bb.845:                              ;   in Loop: Header=BB4_841 Depth=1
	s_mov_b64 s[20:21], 0
	s_mov_b64 s[22:23], 0
.LBB4_846:                              ;   Parent Loop BB4_841 Depth=1
                                        ; =>  This Inner Loop Header: Depth=2
	s_add_u32 s26, s4, s22
	s_addc_u32 s27, s5, s23
	s_add_u32 s22, s22, 1
	global_load_ubyte v4, v6, s[26:27]
	s_addc_u32 s23, s23, 0
	s_waitcnt vmcnt(0)
	v_and_b32_e32 v5, 0xffff, v4
	v_lshlrev_b64 v[4:5], s20, v[5:6]
	s_add_u32 s20, s20, 8
	s_addc_u32 s21, s21, 0
	s_cmp_lg_u32 s25, s22
	v_or_b32_e32 v13, v4, v13
	v_or_b32_e32 v14, v5, v14
	s_cbranch_scc1 .LBB4_846
.LBB4_847:                              ;   in Loop: Header=BB4_841 Depth=1
	s_mov_b32 s26, 0
	s_cbranch_execz .LBB4_854
	s_branch .LBB4_855
.LBB4_848:                              ;   in Loop: Header=BB4_841 Depth=1
	v_mov_b32_e32 v11, 0
	v_mov_b32_e32 v12, 0
	s_cmp_eq_u64 s[16:17], 0
	s_mov_b64 s[4:5], 0
	s_cbranch_scc1 .LBB4_851
; %bb.849:                              ;   in Loop: Header=BB4_841 Depth=1
	v_mov_b32_e32 v11, 0
	v_mov_b32_e32 v12, 0
	s_lshl_b64 s[20:21], s[18:19], 3
	s_mov_b64 s[22:23], s[10:11]
.LBB4_850:                              ;   Parent Loop BB4_841 Depth=1
                                        ; =>  This Inner Loop Header: Depth=2
	global_load_ubyte v4, v6, s[22:23]
	s_waitcnt vmcnt(0)
	v_and_b32_e32 v5, 0xffff, v4
	v_lshlrev_b64 v[4:5], s4, v[5:6]
	s_add_u32 s4, s4, 8
	s_addc_u32 s5, s5, 0
	s_add_u32 s22, s22, 1
	s_addc_u32 s23, s23, 0
	s_cmp_lg_u32 s20, s4
	v_or_b32_e32 v11, v4, v11
	v_or_b32_e32 v12, v5, v12
	s_cbranch_scc1 .LBB4_850
.LBB4_851:                              ;   in Loop: Header=BB4_841 Depth=1
	s_mov_b32 s25, 0
	s_mov_b64 s[4:5], s[10:11]
	s_cbranch_execnz .LBB4_843
.LBB4_852:                              ;   in Loop: Header=BB4_841 Depth=1
	global_load_dwordx2 v[11:12], v6, s[10:11]
	s_add_i32 s25, s18, -8
	s_add_u32 s4, s10, 8
	s_addc_u32 s5, s11, 0
	s_cmp_gt_u32 s25, 7
	s_cbranch_scc0 .LBB4_844
.LBB4_853:                              ;   in Loop: Header=BB4_841 Depth=1
                                        ; implicit-def: $vgpr13_vgpr14
                                        ; implicit-def: $sgpr26
.LBB4_854:                              ;   in Loop: Header=BB4_841 Depth=1
	global_load_dwordx2 v[13:14], v6, s[4:5]
	s_add_i32 s26, s25, -8
	s_add_u32 s4, s4, 8
	s_addc_u32 s5, s5, 0
.LBB4_855:                              ;   in Loop: Header=BB4_841 Depth=1
	s_cmp_gt_u32 s26, 7
	s_cbranch_scc1 .LBB4_860
; %bb.856:                              ;   in Loop: Header=BB4_841 Depth=1
	v_mov_b32_e32 v15, 0
	v_mov_b32_e32 v16, 0
	s_cmp_eq_u32 s26, 0
	s_cbranch_scc1 .LBB4_859
; %bb.857:                              ;   in Loop: Header=BB4_841 Depth=1
	s_mov_b64 s[20:21], 0
	s_mov_b64 s[22:23], 0
.LBB4_858:                              ;   Parent Loop BB4_841 Depth=1
                                        ; =>  This Inner Loop Header: Depth=2
	s_add_u32 s28, s4, s22
	s_addc_u32 s29, s5, s23
	s_add_u32 s22, s22, 1
	global_load_ubyte v4, v6, s[28:29]
	s_addc_u32 s23, s23, 0
	s_waitcnt vmcnt(0)
	v_and_b32_e32 v5, 0xffff, v4
	v_lshlrev_b64 v[4:5], s20, v[5:6]
	s_add_u32 s20, s20, 8
	s_addc_u32 s21, s21, 0
	s_cmp_lg_u32 s26, s22
	v_or_b32_e32 v15, v4, v15
	v_or_b32_e32 v16, v5, v16
	s_cbranch_scc1 .LBB4_858
.LBB4_859:                              ;   in Loop: Header=BB4_841 Depth=1
	s_mov_b32 s25, 0
	s_cbranch_execz .LBB4_861
	s_branch .LBB4_862
.LBB4_860:                              ;   in Loop: Header=BB4_841 Depth=1
                                        ; implicit-def: $sgpr25
.LBB4_861:                              ;   in Loop: Header=BB4_841 Depth=1
	global_load_dwordx2 v[15:16], v6, s[4:5]
	s_add_i32 s25, s26, -8
	s_add_u32 s4, s4, 8
	s_addc_u32 s5, s5, 0
.LBB4_862:                              ;   in Loop: Header=BB4_841 Depth=1
	s_cmp_gt_u32 s25, 7
	s_cbranch_scc1 .LBB4_867
; %bb.863:                              ;   in Loop: Header=BB4_841 Depth=1
	v_mov_b32_e32 v17, 0
	v_mov_b32_e32 v18, 0
	s_cmp_eq_u32 s25, 0
	s_cbranch_scc1 .LBB4_866
; %bb.864:                              ;   in Loop: Header=BB4_841 Depth=1
	s_mov_b64 s[20:21], 0
	s_mov_b64 s[22:23], 0
.LBB4_865:                              ;   Parent Loop BB4_841 Depth=1
                                        ; =>  This Inner Loop Header: Depth=2
	s_add_u32 s26, s4, s22
	s_addc_u32 s27, s5, s23
	s_add_u32 s22, s22, 1
	global_load_ubyte v4, v6, s[26:27]
	s_addc_u32 s23, s23, 0
	s_waitcnt vmcnt(0)
	v_and_b32_e32 v5, 0xffff, v4
	v_lshlrev_b64 v[4:5], s20, v[5:6]
	s_add_u32 s20, s20, 8
	s_addc_u32 s21, s21, 0
	s_cmp_lg_u32 s25, s22
	v_or_b32_e32 v17, v4, v17
	v_or_b32_e32 v18, v5, v18
	s_cbranch_scc1 .LBB4_865
.LBB4_866:                              ;   in Loop: Header=BB4_841 Depth=1
	s_mov_b32 s26, 0
	s_cbranch_execz .LBB4_868
	s_branch .LBB4_869
.LBB4_867:                              ;   in Loop: Header=BB4_841 Depth=1
                                        ; implicit-def: $vgpr17_vgpr18
                                        ; implicit-def: $sgpr26
.LBB4_868:                              ;   in Loop: Header=BB4_841 Depth=1
	global_load_dwordx2 v[17:18], v6, s[4:5]
	s_add_i32 s26, s25, -8
	s_add_u32 s4, s4, 8
	s_addc_u32 s5, s5, 0
.LBB4_869:                              ;   in Loop: Header=BB4_841 Depth=1
	s_cmp_gt_u32 s26, 7
	s_cbranch_scc1 .LBB4_874
; %bb.870:                              ;   in Loop: Header=BB4_841 Depth=1
	v_mov_b32_e32 v19, 0
	v_mov_b32_e32 v20, 0
	s_cmp_eq_u32 s26, 0
	s_cbranch_scc1 .LBB4_873
; %bb.871:                              ;   in Loop: Header=BB4_841 Depth=1
	s_mov_b64 s[20:21], 0
	s_mov_b64 s[22:23], 0
.LBB4_872:                              ;   Parent Loop BB4_841 Depth=1
                                        ; =>  This Inner Loop Header: Depth=2
	s_add_u32 s28, s4, s22
	s_addc_u32 s29, s5, s23
	s_add_u32 s22, s22, 1
	global_load_ubyte v4, v6, s[28:29]
	s_addc_u32 s23, s23, 0
	s_waitcnt vmcnt(0)
	v_and_b32_e32 v5, 0xffff, v4
	v_lshlrev_b64 v[4:5], s20, v[5:6]
	s_add_u32 s20, s20, 8
	s_addc_u32 s21, s21, 0
	s_cmp_lg_u32 s26, s22
	v_or_b32_e32 v19, v4, v19
	v_or_b32_e32 v20, v5, v20
	s_cbranch_scc1 .LBB4_872
.LBB4_873:                              ;   in Loop: Header=BB4_841 Depth=1
	s_mov_b32 s25, 0
	s_cbranch_execz .LBB4_875
	s_branch .LBB4_876
.LBB4_874:                              ;   in Loop: Header=BB4_841 Depth=1
                                        ; implicit-def: $sgpr25
.LBB4_875:                              ;   in Loop: Header=BB4_841 Depth=1
	global_load_dwordx2 v[19:20], v6, s[4:5]
	s_add_i32 s25, s26, -8
	s_add_u32 s4, s4, 8
	s_addc_u32 s5, s5, 0
.LBB4_876:                              ;   in Loop: Header=BB4_841 Depth=1
	s_cmp_gt_u32 s25, 7
	s_cbranch_scc1 .LBB4_881
; %bb.877:                              ;   in Loop: Header=BB4_841 Depth=1
	v_mov_b32_e32 v21, 0
	v_mov_b32_e32 v22, 0
	s_cmp_eq_u32 s25, 0
	s_cbranch_scc1 .LBB4_880
; %bb.878:                              ;   in Loop: Header=BB4_841 Depth=1
	s_mov_b64 s[20:21], 0
	s_mov_b64 s[22:23], 0
.LBB4_879:                              ;   Parent Loop BB4_841 Depth=1
                                        ; =>  This Inner Loop Header: Depth=2
	s_add_u32 s26, s4, s22
	s_addc_u32 s27, s5, s23
	s_add_u32 s22, s22, 1
	global_load_ubyte v4, v6, s[26:27]
	s_addc_u32 s23, s23, 0
	s_waitcnt vmcnt(0)
	v_and_b32_e32 v5, 0xffff, v4
	v_lshlrev_b64 v[4:5], s20, v[5:6]
	s_add_u32 s20, s20, 8
	s_addc_u32 s21, s21, 0
	s_cmp_lg_u32 s25, s22
	v_or_b32_e32 v21, v4, v21
	v_or_b32_e32 v22, v5, v22
	s_cbranch_scc1 .LBB4_879
.LBB4_880:                              ;   in Loop: Header=BB4_841 Depth=1
	s_mov_b32 s26, 0
	s_cbranch_execz .LBB4_882
	s_branch .LBB4_883
.LBB4_881:                              ;   in Loop: Header=BB4_841 Depth=1
                                        ; implicit-def: $vgpr21_vgpr22
                                        ; implicit-def: $sgpr26
.LBB4_882:                              ;   in Loop: Header=BB4_841 Depth=1
	global_load_dwordx2 v[21:22], v6, s[4:5]
	s_add_i32 s26, s25, -8
	s_add_u32 s4, s4, 8
	s_addc_u32 s5, s5, 0
.LBB4_883:                              ;   in Loop: Header=BB4_841 Depth=1
	s_cmp_gt_u32 s26, 7
	s_cbranch_scc1 .LBB4_888
; %bb.884:                              ;   in Loop: Header=BB4_841 Depth=1
	v_mov_b32_e32 v23, 0
	v_mov_b32_e32 v24, 0
	s_cmp_eq_u32 s26, 0
	s_cbranch_scc1 .LBB4_887
; %bb.885:                              ;   in Loop: Header=BB4_841 Depth=1
	s_mov_b64 s[20:21], 0
	s_mov_b64 s[22:23], s[4:5]
.LBB4_886:                              ;   Parent Loop BB4_841 Depth=1
                                        ; =>  This Inner Loop Header: Depth=2
	global_load_ubyte v4, v6, s[22:23]
	s_add_i32 s26, s26, -1
	s_waitcnt vmcnt(0)
	v_and_b32_e32 v5, 0xffff, v4
	v_lshlrev_b64 v[4:5], s20, v[5:6]
	s_add_u32 s20, s20, 8
	s_addc_u32 s21, s21, 0
	s_add_u32 s22, s22, 1
	s_addc_u32 s23, s23, 0
	s_cmp_lg_u32 s26, 0
	v_or_b32_e32 v23, v4, v23
	v_or_b32_e32 v24, v5, v24
	s_cbranch_scc1 .LBB4_886
.LBB4_887:                              ;   in Loop: Header=BB4_841 Depth=1
	s_cbranch_execz .LBB4_889
	s_branch .LBB4_890
.LBB4_888:                              ;   in Loop: Header=BB4_841 Depth=1
.LBB4_889:                              ;   in Loop: Header=BB4_841 Depth=1
	global_load_dwordx2 v[23:24], v6, s[4:5]
.LBB4_890:                              ;   in Loop: Header=BB4_841 Depth=1
	v_readfirstlane_b32 s4, v32
	s_waitcnt vmcnt(0)
	v_mov_b32_e32 v4, 0
	v_mov_b32_e32 v5, 0
	v_cmp_eq_u32_e64 s4, s4, v32
	s_and_saveexec_b32 s5, s4
	s_cbranch_execz .LBB4_896
; %bb.891:                              ;   in Loop: Header=BB4_841 Depth=1
	global_load_dwordx2 v[27:28], v6, s[6:7] offset:24 glc dlc
	s_waitcnt vmcnt(0)
	buffer_gl1_inv
	buffer_gl0_inv
	s_clause 0x1
	global_load_dwordx2 v[4:5], v6, s[6:7] offset:40
	global_load_dwordx2 v[9:10], v6, s[6:7]
	s_mov_b32 s20, exec_lo
	s_waitcnt vmcnt(1)
	v_and_b32_e32 v5, v5, v28
	v_and_b32_e32 v4, v4, v27
	v_mul_lo_u32 v5, v5, 24
	v_mul_hi_u32 v25, v4, 24
	v_mul_lo_u32 v4, v4, 24
	v_add_nc_u32_e32 v5, v25, v5
	s_waitcnt vmcnt(0)
	v_add_co_u32 v4, vcc_lo, v9, v4
	v_add_co_ci_u32_e32 v5, vcc_lo, v10, v5, vcc_lo
	global_load_dwordx2 v[25:26], v[4:5], off glc dlc
	s_waitcnt vmcnt(0)
	global_atomic_cmpswap_x2 v[4:5], v6, v[25:28], s[6:7] offset:24 glc
	s_waitcnt vmcnt(0)
	buffer_gl1_inv
	buffer_gl0_inv
	v_cmpx_ne_u64_e64 v[4:5], v[27:28]
	s_cbranch_execz .LBB4_895
; %bb.892:                              ;   in Loop: Header=BB4_841 Depth=1
	s_mov_b32 s21, 0
	.p2align	6
.LBB4_893:                              ;   Parent Loop BB4_841 Depth=1
                                        ; =>  This Inner Loop Header: Depth=2
	s_sleep 1
	s_clause 0x1
	global_load_dwordx2 v[9:10], v6, s[6:7] offset:40
	global_load_dwordx2 v[25:26], v6, s[6:7]
	v_mov_b32_e32 v28, v5
	v_mov_b32_e32 v27, v4
	s_waitcnt vmcnt(1)
	v_and_b32_e32 v4, v9, v27
	v_and_b32_e32 v9, v10, v28
	s_waitcnt vmcnt(0)
	v_mad_u64_u32 v[4:5], null, v4, 24, v[25:26]
	v_mad_u64_u32 v[9:10], null, v9, 24, v[5:6]
	v_mov_b32_e32 v5, v9
	global_load_dwordx2 v[25:26], v[4:5], off glc dlc
	s_waitcnt vmcnt(0)
	global_atomic_cmpswap_x2 v[4:5], v6, v[25:28], s[6:7] offset:24 glc
	s_waitcnt vmcnt(0)
	buffer_gl1_inv
	buffer_gl0_inv
	v_cmp_eq_u64_e32 vcc_lo, v[4:5], v[27:28]
	s_or_b32 s21, vcc_lo, s21
	s_andn2_b32 exec_lo, exec_lo, s21
	s_cbranch_execnz .LBB4_893
; %bb.894:                              ;   in Loop: Header=BB4_841 Depth=1
	s_or_b32 exec_lo, exec_lo, s21
.LBB4_895:                              ;   in Loop: Header=BB4_841 Depth=1
	s_or_b32 exec_lo, exec_lo, s20
.LBB4_896:                              ;   in Loop: Header=BB4_841 Depth=1
	s_or_b32 exec_lo, exec_lo, s5
	s_clause 0x1
	global_load_dwordx2 v[9:10], v6, s[6:7] offset:40
	global_load_dwordx4 v[25:28], v6, s[6:7]
	v_readfirstlane_b32 s20, v4
	v_readfirstlane_b32 s21, v5
	s_mov_b32 s5, exec_lo
	s_waitcnt vmcnt(1)
	v_readfirstlane_b32 s22, v9
	v_readfirstlane_b32 s23, v10
	s_and_b64 s[22:23], s[20:21], s[22:23]
	s_mul_i32 s25, s23, 24
	s_mul_hi_u32 s26, s22, 24
	s_mul_i32 s27, s22, 24
	s_add_i32 s26, s26, s25
	s_waitcnt vmcnt(0)
	v_add_co_u32 v29, vcc_lo, v25, s27
	v_add_co_ci_u32_e32 v30, vcc_lo, s26, v26, vcc_lo
	s_and_saveexec_b32 s25, s4
	s_cbranch_execz .LBB4_898
; %bb.897:                              ;   in Loop: Header=BB4_841 Depth=1
	v_mov_b32_e32 v5, s5
	global_store_dwordx4 v[29:30], v[5:8], off offset:8
.LBB4_898:                              ;   in Loop: Header=BB4_841 Depth=1
	s_or_b32 exec_lo, exec_lo, s25
	s_lshl_b64 s[22:23], s[22:23], 12
	v_cmp_gt_u64_e64 vcc_lo, s[16:17], 56
	v_or_b32_e32 v5, v2, v33
	v_add_co_u32 v27, s5, v27, s22
	v_add_co_ci_u32_e64 v28, s5, s23, v28, s5
	s_lshl_b32 s5, s18, 2
	v_or_b32_e32 v4, 0, v3
	v_cndmask_b32_e32 v2, v5, v2, vcc_lo
	s_add_i32 s5, s5, 28
	v_readfirstlane_b32 s22, v27
	s_and_b32 s5, s5, 0x1e0
	v_cndmask_b32_e32 v10, v4, v3, vcc_lo
	v_readfirstlane_b32 s23, v28
	v_and_or_b32 v9, 0xffffff1f, v2, s5
	global_store_dwordx4 v31, v[9:12], s[22:23]
	global_store_dwordx4 v31, v[13:16], s[22:23] offset:16
	global_store_dwordx4 v31, v[17:20], s[22:23] offset:32
	;; [unrolled: 1-line block ×3, first 2 shown]
	s_and_saveexec_b32 s5, s4
	s_cbranch_execz .LBB4_906
; %bb.899:                              ;   in Loop: Header=BB4_841 Depth=1
	s_clause 0x1
	global_load_dwordx2 v[13:14], v6, s[6:7] offset:32 glc dlc
	global_load_dwordx2 v[2:3], v6, s[6:7] offset:40
	v_mov_b32_e32 v11, s20
	v_mov_b32_e32 v12, s21
	s_waitcnt vmcnt(0)
	v_readfirstlane_b32 s22, v2
	v_readfirstlane_b32 s23, v3
	s_and_b64 s[22:23], s[22:23], s[20:21]
	s_mul_i32 s23, s23, 24
	s_mul_hi_u32 s25, s22, 24
	s_mul_i32 s22, s22, 24
	s_add_i32 s25, s25, s23
	v_add_co_u32 v9, vcc_lo, v25, s22
	v_add_co_ci_u32_e32 v10, vcc_lo, s25, v26, vcc_lo
	s_mov_b32 s22, exec_lo
	global_store_dwordx2 v[9:10], v[13:14], off
	s_waitcnt_vscnt null, 0x0
	global_atomic_cmpswap_x2 v[4:5], v6, v[11:14], s[6:7] offset:32 glc
	s_waitcnt vmcnt(0)
	v_cmpx_ne_u64_e64 v[4:5], v[13:14]
	s_cbranch_execz .LBB4_902
; %bb.900:                              ;   in Loop: Header=BB4_841 Depth=1
	s_mov_b32 s23, 0
.LBB4_901:                              ;   Parent Loop BB4_841 Depth=1
                                        ; =>  This Inner Loop Header: Depth=2
	v_mov_b32_e32 v2, s20
	v_mov_b32_e32 v3, s21
	s_sleep 1
	global_store_dwordx2 v[9:10], v[4:5], off
	s_waitcnt_vscnt null, 0x0
	global_atomic_cmpswap_x2 v[2:3], v6, v[2:5], s[6:7] offset:32 glc
	s_waitcnt vmcnt(0)
	v_cmp_eq_u64_e32 vcc_lo, v[2:3], v[4:5]
	v_mov_b32_e32 v5, v3
	v_mov_b32_e32 v4, v2
	s_or_b32 s23, vcc_lo, s23
	s_andn2_b32 exec_lo, exec_lo, s23
	s_cbranch_execnz .LBB4_901
.LBB4_902:                              ;   in Loop: Header=BB4_841 Depth=1
	s_or_b32 exec_lo, exec_lo, s22
	global_load_dwordx2 v[2:3], v6, s[6:7] offset:16
	s_mov_b32 s23, exec_lo
	s_mov_b32 s22, exec_lo
	v_mbcnt_lo_u32_b32 v4, s23, 0
	v_cmpx_eq_u32_e32 0, v4
	s_cbranch_execz .LBB4_904
; %bb.903:                              ;   in Loop: Header=BB4_841 Depth=1
	s_bcnt1_i32_b32 s23, s23
	v_mov_b32_e32 v5, s23
	s_waitcnt vmcnt(0)
	global_atomic_add_x2 v[2:3], v[5:6], off offset:8
.LBB4_904:                              ;   in Loop: Header=BB4_841 Depth=1
	s_or_b32 exec_lo, exec_lo, s22
	s_waitcnt vmcnt(0)
	global_load_dwordx2 v[9:10], v[2:3], off offset:16
	s_waitcnt vmcnt(0)
	v_cmp_eq_u64_e32 vcc_lo, 0, v[9:10]
	s_cbranch_vccnz .LBB4_906
; %bb.905:                              ;   in Loop: Header=BB4_841 Depth=1
	global_load_dword v5, v[2:3], off offset:24
	s_waitcnt vmcnt(0)
	v_and_b32_e32 v2, 0x7fffff, v5
	s_waitcnt_vscnt null, 0x0
	global_store_dwordx2 v[9:10], v[5:6], off
	v_readfirstlane_b32 m0, v2
	s_sendmsg sendmsg(MSG_INTERRUPT)
.LBB4_906:                              ;   in Loop: Header=BB4_841 Depth=1
	s_or_b32 exec_lo, exec_lo, s5
	v_add_co_u32 v2, vcc_lo, v27, v31
	v_add_co_ci_u32_e32 v3, vcc_lo, 0, v28, vcc_lo
	s_branch .LBB4_910
	.p2align	6
.LBB4_907:                              ;   in Loop: Header=BB4_910 Depth=2
	s_or_b32 exec_lo, exec_lo, s5
	v_readfirstlane_b32 s5, v4
	s_cmp_eq_u32 s5, 0
	s_cbranch_scc1 .LBB4_909
; %bb.908:                              ;   in Loop: Header=BB4_910 Depth=2
	s_sleep 1
	s_cbranch_execnz .LBB4_910
	s_branch .LBB4_912
	.p2align	6
.LBB4_909:                              ;   in Loop: Header=BB4_841 Depth=1
	s_branch .LBB4_912
.LBB4_910:                              ;   Parent Loop BB4_841 Depth=1
                                        ; =>  This Inner Loop Header: Depth=2
	v_mov_b32_e32 v4, 1
	s_and_saveexec_b32 s5, s4
	s_cbranch_execz .LBB4_907
; %bb.911:                              ;   in Loop: Header=BB4_910 Depth=2
	global_load_dword v4, v[29:30], off offset:20 glc dlc
	s_waitcnt vmcnt(0)
	buffer_gl1_inv
	buffer_gl0_inv
	v_and_b32_e32 v4, 1, v4
	s_branch .LBB4_907
.LBB4_912:                              ;   in Loop: Header=BB4_841 Depth=1
	global_load_dwordx4 v[2:5], v[2:3], off
	s_and_saveexec_b32 s5, s4
	s_cbranch_execz .LBB4_840
; %bb.913:                              ;   in Loop: Header=BB4_841 Depth=1
	s_clause 0x2
	global_load_dwordx2 v[4:5], v6, s[6:7] offset:40
	global_load_dwordx2 v[13:14], v6, s[6:7] offset:24 glc dlc
	global_load_dwordx2 v[11:12], v6, s[6:7]
	s_waitcnt vmcnt(2)
	v_add_co_u32 v15, vcc_lo, v4, 1
	v_add_co_ci_u32_e32 v16, vcc_lo, 0, v5, vcc_lo
	v_add_co_u32 v9, vcc_lo, v15, s20
	v_add_co_ci_u32_e32 v10, vcc_lo, s21, v16, vcc_lo
	v_cmp_eq_u64_e32 vcc_lo, 0, v[9:10]
	v_cndmask_b32_e32 v10, v10, v16, vcc_lo
	v_cndmask_b32_e32 v9, v9, v15, vcc_lo
	v_and_b32_e32 v5, v10, v5
	v_and_b32_e32 v4, v9, v4
	v_mul_lo_u32 v5, v5, 24
	v_mul_hi_u32 v15, v4, 24
	v_mul_lo_u32 v4, v4, 24
	v_add_nc_u32_e32 v5, v15, v5
	s_waitcnt vmcnt(0)
	v_add_co_u32 v4, vcc_lo, v11, v4
	v_mov_b32_e32 v11, v13
	v_add_co_ci_u32_e32 v5, vcc_lo, v12, v5, vcc_lo
	v_mov_b32_e32 v12, v14
	global_store_dwordx2 v[4:5], v[13:14], off
	s_waitcnt_vscnt null, 0x0
	global_atomic_cmpswap_x2 v[11:12], v6, v[9:12], s[6:7] offset:24 glc
	s_waitcnt vmcnt(0)
	v_cmp_ne_u64_e32 vcc_lo, v[11:12], v[13:14]
	s_and_b32 exec_lo, exec_lo, vcc_lo
	s_cbranch_execz .LBB4_840
; %bb.914:                              ;   in Loop: Header=BB4_841 Depth=1
	s_mov_b32 s4, 0
.LBB4_915:                              ;   Parent Loop BB4_841 Depth=1
                                        ; =>  This Inner Loop Header: Depth=2
	s_sleep 1
	global_store_dwordx2 v[4:5], v[11:12], off
	s_waitcnt_vscnt null, 0x0
	global_atomic_cmpswap_x2 v[13:14], v6, v[9:12], s[6:7] offset:24 glc
	s_waitcnt vmcnt(0)
	v_cmp_eq_u64_e32 vcc_lo, v[13:14], v[11:12]
	v_mov_b32_e32 v11, v13
	v_mov_b32_e32 v12, v14
	s_or_b32 s4, vcc_lo, s4
	s_andn2_b32 exec_lo, exec_lo, s4
	s_cbranch_execnz .LBB4_915
	s_branch .LBB4_840
.LBB4_916:
	s_branch .LBB4_945
.LBB4_917:
                                        ; implicit-def: $vgpr2_vgpr3
	s_cbranch_execz .LBB4_945
; %bb.918:
	v_readfirstlane_b32 s4, v32
	v_mov_b32_e32 v8, 0
	v_mov_b32_e32 v9, 0
	v_cmp_eq_u32_e64 s4, s4, v32
	s_and_saveexec_b32 s5, s4
	s_cbranch_execz .LBB4_924
; %bb.919:
	s_waitcnt vmcnt(0)
	v_mov_b32_e32 v2, 0
	s_mov_b32 s10, exec_lo
	global_load_dwordx2 v[5:6], v2, s[6:7] offset:24 glc dlc
	s_waitcnt vmcnt(0)
	buffer_gl1_inv
	buffer_gl0_inv
	s_clause 0x1
	global_load_dwordx2 v[3:4], v2, s[6:7] offset:40
	global_load_dwordx2 v[7:8], v2, s[6:7]
	s_waitcnt vmcnt(1)
	v_and_b32_e32 v4, v4, v6
	v_and_b32_e32 v3, v3, v5
	v_mul_lo_u32 v4, v4, 24
	v_mul_hi_u32 v9, v3, 24
	v_mul_lo_u32 v3, v3, 24
	v_add_nc_u32_e32 v4, v9, v4
	s_waitcnt vmcnt(0)
	v_add_co_u32 v3, vcc_lo, v7, v3
	v_add_co_ci_u32_e32 v4, vcc_lo, v8, v4, vcc_lo
	global_load_dwordx2 v[3:4], v[3:4], off glc dlc
	s_waitcnt vmcnt(0)
	global_atomic_cmpswap_x2 v[8:9], v2, v[3:6], s[6:7] offset:24 glc
	s_waitcnt vmcnt(0)
	buffer_gl1_inv
	buffer_gl0_inv
	v_cmpx_ne_u64_e64 v[8:9], v[5:6]
	s_cbranch_execz .LBB4_923
; %bb.920:
	s_mov_b32 s11, 0
	.p2align	6
.LBB4_921:                              ; =>This Inner Loop Header: Depth=1
	s_sleep 1
	s_clause 0x1
	global_load_dwordx2 v[3:4], v2, s[6:7] offset:40
	global_load_dwordx2 v[10:11], v2, s[6:7]
	v_mov_b32_e32 v5, v8
	v_mov_b32_e32 v6, v9
	s_waitcnt vmcnt(1)
	v_and_b32_e32 v3, v3, v5
	v_and_b32_e32 v4, v4, v6
	s_waitcnt vmcnt(0)
	v_mad_u64_u32 v[7:8], null, v3, 24, v[10:11]
	v_mov_b32_e32 v3, v8
	v_mad_u64_u32 v[3:4], null, v4, 24, v[3:4]
	v_mov_b32_e32 v8, v3
	global_load_dwordx2 v[3:4], v[7:8], off glc dlc
	s_waitcnt vmcnt(0)
	global_atomic_cmpswap_x2 v[8:9], v2, v[3:6], s[6:7] offset:24 glc
	s_waitcnt vmcnt(0)
	buffer_gl1_inv
	buffer_gl0_inv
	v_cmp_eq_u64_e32 vcc_lo, v[8:9], v[5:6]
	s_or_b32 s11, vcc_lo, s11
	s_andn2_b32 exec_lo, exec_lo, s11
	s_cbranch_execnz .LBB4_921
; %bb.922:
	s_or_b32 exec_lo, exec_lo, s11
.LBB4_923:
	s_or_b32 exec_lo, exec_lo, s10
.LBB4_924:
	s_or_b32 exec_lo, exec_lo, s5
	s_waitcnt vmcnt(0)
	v_mov_b32_e32 v2, 0
	v_readfirstlane_b32 s10, v8
	v_readfirstlane_b32 s11, v9
	s_mov_b32 s5, exec_lo
	s_clause 0x1
	global_load_dwordx2 v[10:11], v2, s[6:7] offset:40
	global_load_dwordx4 v[4:7], v2, s[6:7]
	s_waitcnt vmcnt(1)
	v_readfirstlane_b32 s16, v10
	v_readfirstlane_b32 s17, v11
	s_and_b64 s[16:17], s[10:11], s[16:17]
	s_mul_i32 s18, s17, 24
	s_mul_hi_u32 s19, s16, 24
	s_mul_i32 s20, s16, 24
	s_add_i32 s19, s19, s18
	s_waitcnt vmcnt(0)
	v_add_co_u32 v8, vcc_lo, v4, s20
	v_add_co_ci_u32_e32 v9, vcc_lo, s19, v5, vcc_lo
	s_and_saveexec_b32 s18, s4
	s_cbranch_execz .LBB4_926
; %bb.925:
	v_mov_b32_e32 v10, s5
	v_mov_b32_e32 v11, v2
	;; [unrolled: 1-line block ×4, first 2 shown]
	global_store_dwordx4 v[8:9], v[10:13], off offset:8
.LBB4_926:
	s_or_b32 exec_lo, exec_lo, s18
	s_lshl_b64 s[16:17], s[16:17], 12
	v_and_or_b32 v0, 0xffffff1f, v0, 32
	v_add_co_u32 v6, vcc_lo, v6, s16
	v_add_co_ci_u32_e32 v7, vcc_lo, s17, v7, vcc_lo
	s_mov_b32 s16, 0
	v_readfirstlane_b32 s20, v6
	v_add_co_u32 v6, vcc_lo, v6, v31
	s_mov_b32 s17, s16
	s_mov_b32 s18, s16
	;; [unrolled: 1-line block ×3, first 2 shown]
	v_mov_b32_e32 v3, v2
	v_readfirstlane_b32 s21, v7
	v_mov_b32_e32 v10, s16
	v_add_co_ci_u32_e32 v7, vcc_lo, 0, v7, vcc_lo
	v_mov_b32_e32 v11, s17
	v_mov_b32_e32 v12, s18
	;; [unrolled: 1-line block ×3, first 2 shown]
	global_store_dwordx4 v31, v[0:3], s[20:21]
	global_store_dwordx4 v31, v[10:13], s[20:21] offset:16
	global_store_dwordx4 v31, v[10:13], s[20:21] offset:32
	;; [unrolled: 1-line block ×3, first 2 shown]
	s_and_saveexec_b32 s5, s4
	s_cbranch_execz .LBB4_934
; %bb.927:
	v_mov_b32_e32 v10, 0
	v_mov_b32_e32 v11, s10
	;; [unrolled: 1-line block ×3, first 2 shown]
	s_clause 0x1
	global_load_dwordx2 v[13:14], v10, s[6:7] offset:32 glc dlc
	global_load_dwordx2 v[0:1], v10, s[6:7] offset:40
	s_waitcnt vmcnt(0)
	v_readfirstlane_b32 s16, v0
	v_readfirstlane_b32 s17, v1
	s_and_b64 s[16:17], s[16:17], s[10:11]
	s_mul_i32 s17, s17, 24
	s_mul_hi_u32 s18, s16, 24
	s_mul_i32 s16, s16, 24
	s_add_i32 s18, s18, s17
	v_add_co_u32 v4, vcc_lo, v4, s16
	v_add_co_ci_u32_e32 v5, vcc_lo, s18, v5, vcc_lo
	s_mov_b32 s16, exec_lo
	global_store_dwordx2 v[4:5], v[13:14], off
	s_waitcnt_vscnt null, 0x0
	global_atomic_cmpswap_x2 v[2:3], v10, v[11:14], s[6:7] offset:32 glc
	s_waitcnt vmcnt(0)
	v_cmpx_ne_u64_e64 v[2:3], v[13:14]
	s_cbranch_execz .LBB4_930
; %bb.928:
	s_mov_b32 s17, 0
.LBB4_929:                              ; =>This Inner Loop Header: Depth=1
	v_mov_b32_e32 v0, s10
	v_mov_b32_e32 v1, s11
	s_sleep 1
	global_store_dwordx2 v[4:5], v[2:3], off
	s_waitcnt_vscnt null, 0x0
	global_atomic_cmpswap_x2 v[0:1], v10, v[0:3], s[6:7] offset:32 glc
	s_waitcnt vmcnt(0)
	v_cmp_eq_u64_e32 vcc_lo, v[0:1], v[2:3]
	v_mov_b32_e32 v3, v1
	v_mov_b32_e32 v2, v0
	s_or_b32 s17, vcc_lo, s17
	s_andn2_b32 exec_lo, exec_lo, s17
	s_cbranch_execnz .LBB4_929
.LBB4_930:
	s_or_b32 exec_lo, exec_lo, s16
	v_mov_b32_e32 v3, 0
	s_mov_b32 s17, exec_lo
	s_mov_b32 s16, exec_lo
	v_mbcnt_lo_u32_b32 v2, s17, 0
	global_load_dwordx2 v[0:1], v3, s[6:7] offset:16
	v_cmpx_eq_u32_e32 0, v2
	s_cbranch_execz .LBB4_932
; %bb.931:
	s_bcnt1_i32_b32 s17, s17
	v_mov_b32_e32 v2, s17
	s_waitcnt vmcnt(0)
	global_atomic_add_x2 v[0:1], v[2:3], off offset:8
.LBB4_932:
	s_or_b32 exec_lo, exec_lo, s16
	s_waitcnt vmcnt(0)
	global_load_dwordx2 v[2:3], v[0:1], off offset:16
	s_waitcnt vmcnt(0)
	v_cmp_eq_u64_e32 vcc_lo, 0, v[2:3]
	s_cbranch_vccnz .LBB4_934
; %bb.933:
	global_load_dword v0, v[0:1], off offset:24
	v_mov_b32_e32 v1, 0
	s_waitcnt vmcnt(0)
	v_and_b32_e32 v4, 0x7fffff, v0
	s_waitcnt_vscnt null, 0x0
	global_store_dwordx2 v[2:3], v[0:1], off
	v_readfirstlane_b32 m0, v4
	s_sendmsg sendmsg(MSG_INTERRUPT)
.LBB4_934:
	s_or_b32 exec_lo, exec_lo, s5
	s_branch .LBB4_938
	.p2align	6
.LBB4_935:                              ;   in Loop: Header=BB4_938 Depth=1
	s_or_b32 exec_lo, exec_lo, s5
	v_readfirstlane_b32 s5, v0
	s_cmp_eq_u32 s5, 0
	s_cbranch_scc1 .LBB4_937
; %bb.936:                              ;   in Loop: Header=BB4_938 Depth=1
	s_sleep 1
	s_cbranch_execnz .LBB4_938
	s_branch .LBB4_940
	.p2align	6
.LBB4_937:
	s_branch .LBB4_940
.LBB4_938:                              ; =>This Inner Loop Header: Depth=1
	v_mov_b32_e32 v0, 1
	s_and_saveexec_b32 s5, s4
	s_cbranch_execz .LBB4_935
; %bb.939:                              ;   in Loop: Header=BB4_938 Depth=1
	global_load_dword v0, v[8:9], off offset:20 glc dlc
	s_waitcnt vmcnt(0)
	buffer_gl1_inv
	buffer_gl0_inv
	v_and_b32_e32 v0, 1, v0
	s_branch .LBB4_935
.LBB4_940:
	global_load_dwordx2 v[2:3], v[6:7], off
	s_and_saveexec_b32 s5, s4
	s_cbranch_execz .LBB4_944
; %bb.941:
	v_mov_b32_e32 v8, 0
	s_clause 0x2
	global_load_dwordx2 v[0:1], v8, s[6:7] offset:40
	global_load_dwordx2 v[9:10], v8, s[6:7] offset:24 glc dlc
	global_load_dwordx2 v[6:7], v8, s[6:7]
	s_waitcnt vmcnt(2)
	v_add_co_u32 v11, vcc_lo, v0, 1
	v_add_co_ci_u32_e32 v12, vcc_lo, 0, v1, vcc_lo
	v_add_co_u32 v4, vcc_lo, v11, s10
	v_add_co_ci_u32_e32 v5, vcc_lo, s11, v12, vcc_lo
	v_cmp_eq_u64_e32 vcc_lo, 0, v[4:5]
	v_cndmask_b32_e32 v5, v5, v12, vcc_lo
	v_cndmask_b32_e32 v4, v4, v11, vcc_lo
	v_and_b32_e32 v1, v5, v1
	v_and_b32_e32 v0, v4, v0
	v_mul_lo_u32 v1, v1, 24
	v_mul_hi_u32 v11, v0, 24
	v_mul_lo_u32 v0, v0, 24
	v_add_nc_u32_e32 v1, v11, v1
	s_waitcnt vmcnt(0)
	v_add_co_u32 v0, vcc_lo, v6, v0
	v_mov_b32_e32 v6, v9
	v_add_co_ci_u32_e32 v1, vcc_lo, v7, v1, vcc_lo
	v_mov_b32_e32 v7, v10
	global_store_dwordx2 v[0:1], v[9:10], off
	s_waitcnt_vscnt null, 0x0
	global_atomic_cmpswap_x2 v[6:7], v8, v[4:7], s[6:7] offset:24 glc
	s_waitcnt vmcnt(0)
	v_cmp_ne_u64_e32 vcc_lo, v[6:7], v[9:10]
	s_and_b32 exec_lo, exec_lo, vcc_lo
	s_cbranch_execz .LBB4_944
; %bb.942:
	s_mov_b32 s4, 0
.LBB4_943:                              ; =>This Inner Loop Header: Depth=1
	s_sleep 1
	global_store_dwordx2 v[0:1], v[6:7], off
	s_waitcnt_vscnt null, 0x0
	global_atomic_cmpswap_x2 v[9:10], v8, v[4:7], s[6:7] offset:24 glc
	s_waitcnt vmcnt(0)
	v_cmp_eq_u64_e32 vcc_lo, v[9:10], v[6:7]
	v_mov_b32_e32 v6, v9
	v_mov_b32_e32 v7, v10
	s_or_b32 s4, vcc_lo, s4
	s_andn2_b32 exec_lo, exec_lo, s4
	s_cbranch_execnz .LBB4_943
.LBB4_944:
	s_or_b32 exec_lo, exec_lo, s5
.LBB4_945:
	v_readfirstlane_b32 s4, v32
	s_waitcnt vmcnt(0)
	v_mov_b32_e32 v0, 0
	v_mov_b32_e32 v1, 0
	v_cmp_eq_u32_e64 s4, s4, v32
	s_and_saveexec_b32 s5, s4
	s_cbranch_execz .LBB4_951
; %bb.946:
	v_mov_b32_e32 v4, 0
	s_mov_b32 s10, exec_lo
	global_load_dwordx2 v[7:8], v4, s[6:7] offset:24 glc dlc
	s_waitcnt vmcnt(0)
	buffer_gl1_inv
	buffer_gl0_inv
	s_clause 0x1
	global_load_dwordx2 v[0:1], v4, s[6:7] offset:40
	global_load_dwordx2 v[5:6], v4, s[6:7]
	s_waitcnt vmcnt(1)
	v_and_b32_e32 v1, v1, v8
	v_and_b32_e32 v0, v0, v7
	v_mul_lo_u32 v1, v1, 24
	v_mul_hi_u32 v9, v0, 24
	v_mul_lo_u32 v0, v0, 24
	v_add_nc_u32_e32 v1, v9, v1
	s_waitcnt vmcnt(0)
	v_add_co_u32 v0, vcc_lo, v5, v0
	v_add_co_ci_u32_e32 v1, vcc_lo, v6, v1, vcc_lo
	global_load_dwordx2 v[5:6], v[0:1], off glc dlc
	s_waitcnt vmcnt(0)
	global_atomic_cmpswap_x2 v[0:1], v4, v[5:8], s[6:7] offset:24 glc
	s_waitcnt vmcnt(0)
	buffer_gl1_inv
	buffer_gl0_inv
	v_cmpx_ne_u64_e64 v[0:1], v[7:8]
	s_cbranch_execz .LBB4_950
; %bb.947:
	s_mov_b32 s11, 0
	.p2align	6
.LBB4_948:                              ; =>This Inner Loop Header: Depth=1
	s_sleep 1
	s_clause 0x1
	global_load_dwordx2 v[5:6], v4, s[6:7] offset:40
	global_load_dwordx2 v[9:10], v4, s[6:7]
	v_mov_b32_e32 v8, v1
	v_mov_b32_e32 v7, v0
	s_waitcnt vmcnt(1)
	v_and_b32_e32 v0, v5, v7
	v_and_b32_e32 v5, v6, v8
	s_waitcnt vmcnt(0)
	v_mad_u64_u32 v[0:1], null, v0, 24, v[9:10]
	v_mad_u64_u32 v[5:6], null, v5, 24, v[1:2]
	v_mov_b32_e32 v1, v5
	global_load_dwordx2 v[5:6], v[0:1], off glc dlc
	s_waitcnt vmcnt(0)
	global_atomic_cmpswap_x2 v[0:1], v4, v[5:8], s[6:7] offset:24 glc
	s_waitcnt vmcnt(0)
	buffer_gl1_inv
	buffer_gl0_inv
	v_cmp_eq_u64_e32 vcc_lo, v[0:1], v[7:8]
	s_or_b32 s11, vcc_lo, s11
	s_andn2_b32 exec_lo, exec_lo, s11
	s_cbranch_execnz .LBB4_948
; %bb.949:
	s_or_b32 exec_lo, exec_lo, s11
.LBB4_950:
	s_or_b32 exec_lo, exec_lo, s10
.LBB4_951:
	s_or_b32 exec_lo, exec_lo, s5
	v_mov_b32_e32 v5, 0
	v_readfirstlane_b32 s10, v0
	v_readfirstlane_b32 s11, v1
	s_mov_b32 s5, exec_lo
	s_clause 0x1
	global_load_dwordx2 v[10:11], v5, s[6:7] offset:40
	global_load_dwordx4 v[6:9], v5, s[6:7]
	s_waitcnt vmcnt(1)
	v_readfirstlane_b32 s16, v10
	v_readfirstlane_b32 s17, v11
	s_and_b64 s[16:17], s[10:11], s[16:17]
	s_mul_i32 s18, s17, 24
	s_mul_hi_u32 s19, s16, 24
	s_mul_i32 s20, s16, 24
	s_add_i32 s19, s19, s18
	s_waitcnt vmcnt(0)
	v_add_co_u32 v10, vcc_lo, v6, s20
	v_add_co_ci_u32_e32 v11, vcc_lo, s19, v7, vcc_lo
	s_and_saveexec_b32 s18, s4
	s_cbranch_execz .LBB4_953
; %bb.952:
	v_mov_b32_e32 v4, s5
	v_mov_b32_e32 v13, v5
	;; [unrolled: 1-line block ×5, first 2 shown]
	global_store_dwordx4 v[10:11], v[12:15], off offset:8
.LBB4_953:
	s_or_b32 exec_lo, exec_lo, s18
	s_lshl_b64 s[16:17], s[16:17], 12
	v_and_or_b32 v2, 0xffffff1d, v2, 34
	v_add_co_u32 v0, vcc_lo, v8, s16
	v_add_co_ci_u32_e32 v1, vcc_lo, s17, v9, vcc_lo
	s_mov_b32 s16, 0
	v_mov_b32_e32 v4, 0x414
	s_mov_b32 s17, s16
	s_mov_b32 s18, s16
	s_mov_b32 s19, s16
	v_readfirstlane_b32 s20, v0
	v_readfirstlane_b32 s21, v1
	v_mov_b32_e32 v12, s16
	v_mov_b32_e32 v13, s17
	;; [unrolled: 1-line block ×4, first 2 shown]
	global_store_dwordx4 v31, v[2:5], s[20:21]
	global_store_dwordx4 v31, v[12:15], s[20:21] offset:16
	global_store_dwordx4 v31, v[12:15], s[20:21] offset:32
	global_store_dwordx4 v31, v[12:15], s[20:21] offset:48
	s_and_saveexec_b32 s5, s4
	s_cbranch_execz .LBB4_961
; %bb.954:
	v_mov_b32_e32 v8, 0
	v_mov_b32_e32 v12, s10
	;; [unrolled: 1-line block ×3, first 2 shown]
	s_clause 0x1
	global_load_dwordx2 v[14:15], v8, s[6:7] offset:32 glc dlc
	global_load_dwordx2 v[0:1], v8, s[6:7] offset:40
	s_waitcnt vmcnt(0)
	v_readfirstlane_b32 s16, v0
	v_readfirstlane_b32 s17, v1
	s_and_b64 s[16:17], s[16:17], s[10:11]
	s_mul_i32 s17, s17, 24
	s_mul_hi_u32 s18, s16, 24
	s_mul_i32 s16, s16, 24
	s_add_i32 s18, s18, s17
	v_add_co_u32 v4, vcc_lo, v6, s16
	v_add_co_ci_u32_e32 v5, vcc_lo, s18, v7, vcc_lo
	s_mov_b32 s16, exec_lo
	global_store_dwordx2 v[4:5], v[14:15], off
	s_waitcnt_vscnt null, 0x0
	global_atomic_cmpswap_x2 v[2:3], v8, v[12:15], s[6:7] offset:32 glc
	s_waitcnt vmcnt(0)
	v_cmpx_ne_u64_e64 v[2:3], v[14:15]
	s_cbranch_execz .LBB4_957
; %bb.955:
	s_mov_b32 s17, 0
.LBB4_956:                              ; =>This Inner Loop Header: Depth=1
	v_mov_b32_e32 v0, s10
	v_mov_b32_e32 v1, s11
	s_sleep 1
	global_store_dwordx2 v[4:5], v[2:3], off
	s_waitcnt_vscnt null, 0x0
	global_atomic_cmpswap_x2 v[0:1], v8, v[0:3], s[6:7] offset:32 glc
	s_waitcnt vmcnt(0)
	v_cmp_eq_u64_e32 vcc_lo, v[0:1], v[2:3]
	v_mov_b32_e32 v3, v1
	v_mov_b32_e32 v2, v0
	s_or_b32 s17, vcc_lo, s17
	s_andn2_b32 exec_lo, exec_lo, s17
	s_cbranch_execnz .LBB4_956
.LBB4_957:
	s_or_b32 exec_lo, exec_lo, s16
	v_mov_b32_e32 v3, 0
	s_mov_b32 s17, exec_lo
	s_mov_b32 s16, exec_lo
	v_mbcnt_lo_u32_b32 v2, s17, 0
	global_load_dwordx2 v[0:1], v3, s[6:7] offset:16
	v_cmpx_eq_u32_e32 0, v2
	s_cbranch_execz .LBB4_959
; %bb.958:
	s_bcnt1_i32_b32 s17, s17
	v_mov_b32_e32 v2, s17
	s_waitcnt vmcnt(0)
	global_atomic_add_x2 v[0:1], v[2:3], off offset:8
.LBB4_959:
	s_or_b32 exec_lo, exec_lo, s16
	s_waitcnt vmcnt(0)
	global_load_dwordx2 v[2:3], v[0:1], off offset:16
	s_waitcnt vmcnt(0)
	v_cmp_eq_u64_e32 vcc_lo, 0, v[2:3]
	s_cbranch_vccnz .LBB4_961
; %bb.960:
	global_load_dword v0, v[0:1], off offset:24
	v_mov_b32_e32 v1, 0
	s_waitcnt vmcnt(0)
	v_and_b32_e32 v4, 0x7fffff, v0
	s_waitcnt_vscnt null, 0x0
	global_store_dwordx2 v[2:3], v[0:1], off
	v_readfirstlane_b32 m0, v4
	s_sendmsg sendmsg(MSG_INTERRUPT)
.LBB4_961:
	s_or_b32 exec_lo, exec_lo, s5
	s_branch .LBB4_965
	.p2align	6
.LBB4_962:                              ;   in Loop: Header=BB4_965 Depth=1
	s_or_b32 exec_lo, exec_lo, s5
	v_readfirstlane_b32 s5, v0
	s_cmp_eq_u32 s5, 0
	s_cbranch_scc1 .LBB4_964
; %bb.963:                              ;   in Loop: Header=BB4_965 Depth=1
	s_sleep 1
	s_cbranch_execnz .LBB4_965
	s_branch .LBB4_967
	.p2align	6
.LBB4_964:
	s_branch .LBB4_967
.LBB4_965:                              ; =>This Inner Loop Header: Depth=1
	v_mov_b32_e32 v0, 1
	s_and_saveexec_b32 s5, s4
	s_cbranch_execz .LBB4_962
; %bb.966:                              ;   in Loop: Header=BB4_965 Depth=1
	global_load_dword v0, v[10:11], off offset:20 glc dlc
	s_waitcnt vmcnt(0)
	buffer_gl1_inv
	buffer_gl0_inv
	v_and_b32_e32 v0, 1, v0
	s_branch .LBB4_962
.LBB4_967:
	s_and_saveexec_b32 s5, s4
	s_cbranch_execz .LBB4_971
; %bb.968:
	v_mov_b32_e32 v6, 0
	s_clause 0x2
	global_load_dwordx2 v[2:3], v6, s[6:7] offset:40
	global_load_dwordx2 v[7:8], v6, s[6:7] offset:24 glc dlc
	global_load_dwordx2 v[4:5], v6, s[6:7]
	s_waitcnt vmcnt(2)
	v_add_co_u32 v9, vcc_lo, v2, 1
	v_add_co_ci_u32_e32 v10, vcc_lo, 0, v3, vcc_lo
	v_add_co_u32 v0, vcc_lo, v9, s10
	v_add_co_ci_u32_e32 v1, vcc_lo, s11, v10, vcc_lo
	v_cmp_eq_u64_e32 vcc_lo, 0, v[0:1]
	v_cndmask_b32_e32 v1, v1, v10, vcc_lo
	v_cndmask_b32_e32 v0, v0, v9, vcc_lo
	v_and_b32_e32 v3, v1, v3
	v_and_b32_e32 v2, v0, v2
	v_mul_lo_u32 v3, v3, 24
	v_mul_hi_u32 v9, v2, 24
	v_mul_lo_u32 v2, v2, 24
	v_add_nc_u32_e32 v3, v9, v3
	s_waitcnt vmcnt(0)
	v_add_co_u32 v4, vcc_lo, v4, v2
	v_mov_b32_e32 v2, v7
	v_add_co_ci_u32_e32 v5, vcc_lo, v5, v3, vcc_lo
	v_mov_b32_e32 v3, v8
	global_store_dwordx2 v[4:5], v[7:8], off
	s_waitcnt_vscnt null, 0x0
	global_atomic_cmpswap_x2 v[2:3], v6, v[0:3], s[6:7] offset:24 glc
	s_waitcnt vmcnt(0)
	v_cmp_ne_u64_e32 vcc_lo, v[2:3], v[7:8]
	s_and_b32 exec_lo, exec_lo, vcc_lo
	s_cbranch_execz .LBB4_971
; %bb.969:
	s_mov_b32 s4, 0
.LBB4_970:                              ; =>This Inner Loop Header: Depth=1
	s_sleep 1
	global_store_dwordx2 v[4:5], v[2:3], off
	s_waitcnt_vscnt null, 0x0
	global_atomic_cmpswap_x2 v[7:8], v6, v[0:3], s[6:7] offset:24 glc
	s_waitcnt vmcnt(0)
	v_cmp_eq_u64_e32 vcc_lo, v[7:8], v[2:3]
	v_mov_b32_e32 v2, v7
	v_mov_b32_e32 v3, v8
	s_or_b32 s4, vcc_lo, s4
	s_andn2_b32 exec_lo, exec_lo, s4
	s_cbranch_execnz .LBB4_970
.LBB4_971:
	s_or_b32 exec_lo, exec_lo, s5
	v_readfirstlane_b32 s4, v32
	v_mov_b32_e32 v6, 0
	v_mov_b32_e32 v7, 0
	v_cmp_eq_u32_e64 s4, s4, v32
	s_and_saveexec_b32 s5, s4
	s_cbranch_execz .LBB4_977
; %bb.972:
	v_mov_b32_e32 v0, 0
	s_mov_b32 s10, exec_lo
	global_load_dwordx2 v[3:4], v0, s[6:7] offset:24 glc dlc
	s_waitcnt vmcnt(0)
	buffer_gl1_inv
	buffer_gl0_inv
	s_clause 0x1
	global_load_dwordx2 v[1:2], v0, s[6:7] offset:40
	global_load_dwordx2 v[5:6], v0, s[6:7]
	s_waitcnt vmcnt(1)
	v_and_b32_e32 v2, v2, v4
	v_and_b32_e32 v1, v1, v3
	v_mul_lo_u32 v2, v2, 24
	v_mul_hi_u32 v7, v1, 24
	v_mul_lo_u32 v1, v1, 24
	v_add_nc_u32_e32 v2, v7, v2
	s_waitcnt vmcnt(0)
	v_add_co_u32 v1, vcc_lo, v5, v1
	v_add_co_ci_u32_e32 v2, vcc_lo, v6, v2, vcc_lo
	global_load_dwordx2 v[1:2], v[1:2], off glc dlc
	s_waitcnt vmcnt(0)
	global_atomic_cmpswap_x2 v[6:7], v0, v[1:4], s[6:7] offset:24 glc
	s_waitcnt vmcnt(0)
	buffer_gl1_inv
	buffer_gl0_inv
	v_cmpx_ne_u64_e64 v[6:7], v[3:4]
	s_cbranch_execz .LBB4_976
; %bb.973:
	s_mov_b32 s11, 0
	.p2align	6
.LBB4_974:                              ; =>This Inner Loop Header: Depth=1
	s_sleep 1
	s_clause 0x1
	global_load_dwordx2 v[1:2], v0, s[6:7] offset:40
	global_load_dwordx2 v[8:9], v0, s[6:7]
	v_mov_b32_e32 v3, v6
	v_mov_b32_e32 v4, v7
	s_waitcnt vmcnt(1)
	v_and_b32_e32 v1, v1, v3
	v_and_b32_e32 v2, v2, v4
	s_waitcnt vmcnt(0)
	v_mad_u64_u32 v[5:6], null, v1, 24, v[8:9]
	v_mov_b32_e32 v1, v6
	v_mad_u64_u32 v[1:2], null, v2, 24, v[1:2]
	v_mov_b32_e32 v6, v1
	global_load_dwordx2 v[1:2], v[5:6], off glc dlc
	s_waitcnt vmcnt(0)
	global_atomic_cmpswap_x2 v[6:7], v0, v[1:4], s[6:7] offset:24 glc
	s_waitcnt vmcnt(0)
	buffer_gl1_inv
	buffer_gl0_inv
	v_cmp_eq_u64_e32 vcc_lo, v[6:7], v[3:4]
	s_or_b32 s11, vcc_lo, s11
	s_andn2_b32 exec_lo, exec_lo, s11
	s_cbranch_execnz .LBB4_974
; %bb.975:
	s_or_b32 exec_lo, exec_lo, s11
.LBB4_976:
	s_or_b32 exec_lo, exec_lo, s10
.LBB4_977:
	s_or_b32 exec_lo, exec_lo, s5
	v_mov_b32_e32 v5, 0
	v_readfirstlane_b32 s10, v6
	v_readfirstlane_b32 s11, v7
	s_mov_b32 s5, exec_lo
	s_clause 0x1
	global_load_dwordx2 v[8:9], v5, s[6:7] offset:40
	global_load_dwordx4 v[0:3], v5, s[6:7]
	s_waitcnt vmcnt(1)
	v_readfirstlane_b32 s16, v8
	v_readfirstlane_b32 s17, v9
	s_and_b64 s[16:17], s[10:11], s[16:17]
	s_mul_i32 s18, s17, 24
	s_mul_hi_u32 s19, s16, 24
	s_mul_i32 s20, s16, 24
	s_add_i32 s19, s19, s18
	s_waitcnt vmcnt(0)
	v_add_co_u32 v8, vcc_lo, v0, s20
	v_add_co_ci_u32_e32 v9, vcc_lo, s19, v1, vcc_lo
	s_and_saveexec_b32 s18, s4
	s_cbranch_execz .LBB4_979
; %bb.978:
	v_mov_b32_e32 v4, s5
	v_mov_b32_e32 v6, 2
	;; [unrolled: 1-line block ×3, first 2 shown]
	global_store_dwordx4 v[8:9], v[4:7], off offset:8
.LBB4_979:
	s_or_b32 exec_lo, exec_lo, s18
	s_lshl_b64 s[16:17], s[16:17], 12
	v_mov_b32_e32 v4, 33
	v_add_co_u32 v2, vcc_lo, v2, s16
	v_add_co_ci_u32_e32 v3, vcc_lo, s17, v3, vcc_lo
	s_mov_b32 s16, 0
	v_add_co_u32 v10, vcc_lo, v2, v31
	s_mov_b32 s17, s16
	s_mov_b32 s18, s16
	;; [unrolled: 1-line block ×3, first 2 shown]
	v_mov_b32_e32 v6, v5
	v_mov_b32_e32 v7, v5
	v_readfirstlane_b32 s20, v2
	v_readfirstlane_b32 s21, v3
	v_mov_b32_e32 v12, s16
	v_add_co_ci_u32_e32 v11, vcc_lo, 0, v3, vcc_lo
	v_mov_b32_e32 v13, s17
	v_mov_b32_e32 v14, s18
	;; [unrolled: 1-line block ×3, first 2 shown]
	global_store_dwordx4 v31, v[4:7], s[20:21]
	global_store_dwordx4 v31, v[12:15], s[20:21] offset:16
	global_store_dwordx4 v31, v[12:15], s[20:21] offset:32
	;; [unrolled: 1-line block ×3, first 2 shown]
	s_and_saveexec_b32 s5, s4
	s_cbranch_execz .LBB4_987
; %bb.980:
	v_mov_b32_e32 v6, 0
	v_mov_b32_e32 v12, s10
	;; [unrolled: 1-line block ×3, first 2 shown]
	s_clause 0x1
	global_load_dwordx2 v[14:15], v6, s[6:7] offset:32 glc dlc
	global_load_dwordx2 v[2:3], v6, s[6:7] offset:40
	s_waitcnt vmcnt(0)
	v_readfirstlane_b32 s16, v2
	v_readfirstlane_b32 s17, v3
	s_and_b64 s[16:17], s[16:17], s[10:11]
	s_mul_i32 s17, s17, 24
	s_mul_hi_u32 s18, s16, 24
	s_mul_i32 s16, s16, 24
	s_add_i32 s18, s18, s17
	v_add_co_u32 v4, vcc_lo, v0, s16
	v_add_co_ci_u32_e32 v5, vcc_lo, s18, v1, vcc_lo
	s_mov_b32 s16, exec_lo
	global_store_dwordx2 v[4:5], v[14:15], off
	s_waitcnt_vscnt null, 0x0
	global_atomic_cmpswap_x2 v[2:3], v6, v[12:15], s[6:7] offset:32 glc
	s_waitcnt vmcnt(0)
	v_cmpx_ne_u64_e64 v[2:3], v[14:15]
	s_cbranch_execz .LBB4_983
; %bb.981:
	s_mov_b32 s17, 0
.LBB4_982:                              ; =>This Inner Loop Header: Depth=1
	v_mov_b32_e32 v0, s10
	v_mov_b32_e32 v1, s11
	s_sleep 1
	global_store_dwordx2 v[4:5], v[2:3], off
	s_waitcnt_vscnt null, 0x0
	global_atomic_cmpswap_x2 v[0:1], v6, v[0:3], s[6:7] offset:32 glc
	s_waitcnt vmcnt(0)
	v_cmp_eq_u64_e32 vcc_lo, v[0:1], v[2:3]
	v_mov_b32_e32 v3, v1
	v_mov_b32_e32 v2, v0
	s_or_b32 s17, vcc_lo, s17
	s_andn2_b32 exec_lo, exec_lo, s17
	s_cbranch_execnz .LBB4_982
.LBB4_983:
	s_or_b32 exec_lo, exec_lo, s16
	v_mov_b32_e32 v3, 0
	s_mov_b32 s17, exec_lo
	s_mov_b32 s16, exec_lo
	v_mbcnt_lo_u32_b32 v2, s17, 0
	global_load_dwordx2 v[0:1], v3, s[6:7] offset:16
	v_cmpx_eq_u32_e32 0, v2
	s_cbranch_execz .LBB4_985
; %bb.984:
	s_bcnt1_i32_b32 s17, s17
	v_mov_b32_e32 v2, s17
	s_waitcnt vmcnt(0)
	global_atomic_add_x2 v[0:1], v[2:3], off offset:8
.LBB4_985:
	s_or_b32 exec_lo, exec_lo, s16
	s_waitcnt vmcnt(0)
	global_load_dwordx2 v[2:3], v[0:1], off offset:16
	s_waitcnt vmcnt(0)
	v_cmp_eq_u64_e32 vcc_lo, 0, v[2:3]
	s_cbranch_vccnz .LBB4_987
; %bb.986:
	global_load_dword v0, v[0:1], off offset:24
	v_mov_b32_e32 v1, 0
	s_waitcnt vmcnt(0)
	v_and_b32_e32 v4, 0x7fffff, v0
	s_waitcnt_vscnt null, 0x0
	global_store_dwordx2 v[2:3], v[0:1], off
	v_readfirstlane_b32 m0, v4
	s_sendmsg sendmsg(MSG_INTERRUPT)
.LBB4_987:
	s_or_b32 exec_lo, exec_lo, s5
	s_branch .LBB4_991
	.p2align	6
.LBB4_988:                              ;   in Loop: Header=BB4_991 Depth=1
	s_or_b32 exec_lo, exec_lo, s5
	v_readfirstlane_b32 s5, v0
	s_cmp_eq_u32 s5, 0
	s_cbranch_scc1 .LBB4_990
; %bb.989:                              ;   in Loop: Header=BB4_991 Depth=1
	s_sleep 1
	s_cbranch_execnz .LBB4_991
	s_branch .LBB4_993
	.p2align	6
.LBB4_990:
	s_branch .LBB4_993
.LBB4_991:                              ; =>This Inner Loop Header: Depth=1
	v_mov_b32_e32 v0, 1
	s_and_saveexec_b32 s5, s4
	s_cbranch_execz .LBB4_988
; %bb.992:                              ;   in Loop: Header=BB4_991 Depth=1
	global_load_dword v0, v[8:9], off offset:20 glc dlc
	s_waitcnt vmcnt(0)
	buffer_gl1_inv
	buffer_gl0_inv
	v_and_b32_e32 v0, 1, v0
	s_branch .LBB4_988
.LBB4_993:
	global_load_dwordx2 v[0:1], v[10:11], off
	s_and_saveexec_b32 s5, s4
	s_cbranch_execz .LBB4_997
; %bb.994:
	v_mov_b32_e32 v8, 0
	s_clause 0x2
	global_load_dwordx2 v[4:5], v8, s[6:7] offset:40
	global_load_dwordx2 v[9:10], v8, s[6:7] offset:24 glc dlc
	global_load_dwordx2 v[6:7], v8, s[6:7]
	s_waitcnt vmcnt(2)
	v_add_co_u32 v11, vcc_lo, v4, 1
	v_add_co_ci_u32_e32 v12, vcc_lo, 0, v5, vcc_lo
	v_add_co_u32 v2, vcc_lo, v11, s10
	v_add_co_ci_u32_e32 v3, vcc_lo, s11, v12, vcc_lo
	v_cmp_eq_u64_e32 vcc_lo, 0, v[2:3]
	v_cndmask_b32_e32 v3, v3, v12, vcc_lo
	v_cndmask_b32_e32 v2, v2, v11, vcc_lo
	v_and_b32_e32 v5, v3, v5
	v_and_b32_e32 v4, v2, v4
	v_mul_lo_u32 v5, v5, 24
	v_mul_hi_u32 v11, v4, 24
	v_mul_lo_u32 v4, v4, 24
	v_add_nc_u32_e32 v5, v11, v5
	s_waitcnt vmcnt(0)
	v_add_co_u32 v6, vcc_lo, v6, v4
	v_mov_b32_e32 v4, v9
	v_add_co_ci_u32_e32 v7, vcc_lo, v7, v5, vcc_lo
	v_mov_b32_e32 v5, v10
	global_store_dwordx2 v[6:7], v[9:10], off
	s_waitcnt_vscnt null, 0x0
	global_atomic_cmpswap_x2 v[4:5], v8, v[2:5], s[6:7] offset:24 glc
	s_waitcnt vmcnt(0)
	v_cmp_ne_u64_e32 vcc_lo, v[4:5], v[9:10]
	s_and_b32 exec_lo, exec_lo, vcc_lo
	s_cbranch_execz .LBB4_997
; %bb.995:
	s_mov_b32 s4, 0
.LBB4_996:                              ; =>This Inner Loop Header: Depth=1
	s_sleep 1
	global_store_dwordx2 v[6:7], v[4:5], off
	s_waitcnt_vscnt null, 0x0
	global_atomic_cmpswap_x2 v[9:10], v8, v[2:5], s[6:7] offset:24 glc
	s_waitcnt vmcnt(0)
	v_cmp_eq_u64_e32 vcc_lo, v[9:10], v[4:5]
	v_mov_b32_e32 v4, v9
	v_mov_b32_e32 v5, v10
	s_or_b32 s4, vcc_lo, s4
	s_andn2_b32 exec_lo, exec_lo, s4
	s_cbranch_execnz .LBB4_996
.LBB4_997:
	s_or_b32 exec_lo, exec_lo, s5
	s_and_b32 vcc_lo, exec_lo, s24
	s_cbranch_vccz .LBB4_1076
; %bb.998:
	s_waitcnt vmcnt(0)
	v_and_b32_e32 v33, 2, v0
	v_mov_b32_e32 v6, 0
	v_and_b32_e32 v2, -3, v0
	v_mov_b32_e32 v3, v1
	v_mov_b32_e32 v7, 2
	;; [unrolled: 1-line block ×3, first 2 shown]
	s_mov_b64 s[16:17], 3
	s_getpc_b64 s[10:11]
	s_add_u32 s10, s10, .str.6@rel32@lo+4
	s_addc_u32 s11, s11, .str.6@rel32@hi+12
	s_branch .LBB4_1000
.LBB4_999:                              ;   in Loop: Header=BB4_1000 Depth=1
	s_or_b32 exec_lo, exec_lo, s5
	s_sub_u32 s16, s16, s18
	s_subb_u32 s17, s17, s19
	s_add_u32 s10, s10, s18
	s_addc_u32 s11, s11, s19
	s_cmp_lg_u64 s[16:17], 0
	s_cbranch_scc0 .LBB4_1075
.LBB4_1000:                             ; =>This Loop Header: Depth=1
                                        ;     Child Loop BB4_1009 Depth 2
                                        ;     Child Loop BB4_1005 Depth 2
	;; [unrolled: 1-line block ×11, first 2 shown]
	v_cmp_lt_u64_e64 s4, s[16:17], 56
	v_cmp_gt_u64_e64 s5, s[16:17], 7
                                        ; implicit-def: $vgpr11_vgpr12
                                        ; implicit-def: $sgpr25
	s_and_b32 s4, s4, exec_lo
	s_cselect_b32 s19, s17, 0
	s_cselect_b32 s18, s16, 56
	s_and_b32 vcc_lo, exec_lo, s5
	s_mov_b32 s4, -1
	s_cbranch_vccz .LBB4_1007
; %bb.1001:                             ;   in Loop: Header=BB4_1000 Depth=1
	s_andn2_b32 vcc_lo, exec_lo, s4
	s_mov_b64 s[4:5], s[10:11]
	s_cbranch_vccz .LBB4_1011
.LBB4_1002:                             ;   in Loop: Header=BB4_1000 Depth=1
	s_cmp_gt_u32 s25, 7
	s_cbranch_scc1 .LBB4_1012
.LBB4_1003:                             ;   in Loop: Header=BB4_1000 Depth=1
	v_mov_b32_e32 v13, 0
	v_mov_b32_e32 v14, 0
	s_cmp_eq_u32 s25, 0
	s_cbranch_scc1 .LBB4_1006
; %bb.1004:                             ;   in Loop: Header=BB4_1000 Depth=1
	s_mov_b64 s[20:21], 0
	s_mov_b64 s[22:23], 0
.LBB4_1005:                             ;   Parent Loop BB4_1000 Depth=1
                                        ; =>  This Inner Loop Header: Depth=2
	s_add_u32 s26, s4, s22
	s_addc_u32 s27, s5, s23
	s_add_u32 s22, s22, 1
	global_load_ubyte v4, v6, s[26:27]
	s_addc_u32 s23, s23, 0
	s_waitcnt vmcnt(0)
	v_and_b32_e32 v5, 0xffff, v4
	v_lshlrev_b64 v[4:5], s20, v[5:6]
	s_add_u32 s20, s20, 8
	s_addc_u32 s21, s21, 0
	s_cmp_lg_u32 s25, s22
	v_or_b32_e32 v13, v4, v13
	v_or_b32_e32 v14, v5, v14
	s_cbranch_scc1 .LBB4_1005
.LBB4_1006:                             ;   in Loop: Header=BB4_1000 Depth=1
	s_mov_b32 s26, 0
	s_cbranch_execz .LBB4_1013
	s_branch .LBB4_1014
.LBB4_1007:                             ;   in Loop: Header=BB4_1000 Depth=1
	v_mov_b32_e32 v11, 0
	v_mov_b32_e32 v12, 0
	s_cmp_eq_u64 s[16:17], 0
	s_mov_b64 s[4:5], 0
	s_cbranch_scc1 .LBB4_1010
; %bb.1008:                             ;   in Loop: Header=BB4_1000 Depth=1
	v_mov_b32_e32 v11, 0
	v_mov_b32_e32 v12, 0
	s_lshl_b64 s[20:21], s[18:19], 3
	s_mov_b64 s[22:23], s[10:11]
.LBB4_1009:                             ;   Parent Loop BB4_1000 Depth=1
                                        ; =>  This Inner Loop Header: Depth=2
	global_load_ubyte v4, v6, s[22:23]
	s_waitcnt vmcnt(0)
	v_and_b32_e32 v5, 0xffff, v4
	v_lshlrev_b64 v[4:5], s4, v[5:6]
	s_add_u32 s4, s4, 8
	s_addc_u32 s5, s5, 0
	s_add_u32 s22, s22, 1
	s_addc_u32 s23, s23, 0
	s_cmp_lg_u32 s20, s4
	v_or_b32_e32 v11, v4, v11
	v_or_b32_e32 v12, v5, v12
	s_cbranch_scc1 .LBB4_1009
.LBB4_1010:                             ;   in Loop: Header=BB4_1000 Depth=1
	s_mov_b32 s25, 0
	s_mov_b64 s[4:5], s[10:11]
	s_cbranch_execnz .LBB4_1002
.LBB4_1011:                             ;   in Loop: Header=BB4_1000 Depth=1
	global_load_dwordx2 v[11:12], v6, s[10:11]
	s_add_i32 s25, s18, -8
	s_add_u32 s4, s10, 8
	s_addc_u32 s5, s11, 0
	s_cmp_gt_u32 s25, 7
	s_cbranch_scc0 .LBB4_1003
.LBB4_1012:                             ;   in Loop: Header=BB4_1000 Depth=1
                                        ; implicit-def: $vgpr13_vgpr14
                                        ; implicit-def: $sgpr26
.LBB4_1013:                             ;   in Loop: Header=BB4_1000 Depth=1
	global_load_dwordx2 v[13:14], v6, s[4:5]
	s_add_i32 s26, s25, -8
	s_add_u32 s4, s4, 8
	s_addc_u32 s5, s5, 0
.LBB4_1014:                             ;   in Loop: Header=BB4_1000 Depth=1
	s_cmp_gt_u32 s26, 7
	s_cbranch_scc1 .LBB4_1019
; %bb.1015:                             ;   in Loop: Header=BB4_1000 Depth=1
	v_mov_b32_e32 v15, 0
	v_mov_b32_e32 v16, 0
	s_cmp_eq_u32 s26, 0
	s_cbranch_scc1 .LBB4_1018
; %bb.1016:                             ;   in Loop: Header=BB4_1000 Depth=1
	s_mov_b64 s[20:21], 0
	s_mov_b64 s[22:23], 0
.LBB4_1017:                             ;   Parent Loop BB4_1000 Depth=1
                                        ; =>  This Inner Loop Header: Depth=2
	s_add_u32 s28, s4, s22
	s_addc_u32 s29, s5, s23
	s_add_u32 s22, s22, 1
	global_load_ubyte v4, v6, s[28:29]
	s_addc_u32 s23, s23, 0
	s_waitcnt vmcnt(0)
	v_and_b32_e32 v5, 0xffff, v4
	v_lshlrev_b64 v[4:5], s20, v[5:6]
	s_add_u32 s20, s20, 8
	s_addc_u32 s21, s21, 0
	s_cmp_lg_u32 s26, s22
	v_or_b32_e32 v15, v4, v15
	v_or_b32_e32 v16, v5, v16
	s_cbranch_scc1 .LBB4_1017
.LBB4_1018:                             ;   in Loop: Header=BB4_1000 Depth=1
	s_mov_b32 s25, 0
	s_cbranch_execz .LBB4_1020
	s_branch .LBB4_1021
.LBB4_1019:                             ;   in Loop: Header=BB4_1000 Depth=1
                                        ; implicit-def: $sgpr25
.LBB4_1020:                             ;   in Loop: Header=BB4_1000 Depth=1
	global_load_dwordx2 v[15:16], v6, s[4:5]
	s_add_i32 s25, s26, -8
	s_add_u32 s4, s4, 8
	s_addc_u32 s5, s5, 0
.LBB4_1021:                             ;   in Loop: Header=BB4_1000 Depth=1
	s_cmp_gt_u32 s25, 7
	s_cbranch_scc1 .LBB4_1026
; %bb.1022:                             ;   in Loop: Header=BB4_1000 Depth=1
	v_mov_b32_e32 v17, 0
	v_mov_b32_e32 v18, 0
	s_cmp_eq_u32 s25, 0
	s_cbranch_scc1 .LBB4_1025
; %bb.1023:                             ;   in Loop: Header=BB4_1000 Depth=1
	s_mov_b64 s[20:21], 0
	s_mov_b64 s[22:23], 0
.LBB4_1024:                             ;   Parent Loop BB4_1000 Depth=1
                                        ; =>  This Inner Loop Header: Depth=2
	s_add_u32 s26, s4, s22
	s_addc_u32 s27, s5, s23
	s_add_u32 s22, s22, 1
	global_load_ubyte v4, v6, s[26:27]
	s_addc_u32 s23, s23, 0
	s_waitcnt vmcnt(0)
	v_and_b32_e32 v5, 0xffff, v4
	v_lshlrev_b64 v[4:5], s20, v[5:6]
	s_add_u32 s20, s20, 8
	s_addc_u32 s21, s21, 0
	s_cmp_lg_u32 s25, s22
	v_or_b32_e32 v17, v4, v17
	v_or_b32_e32 v18, v5, v18
	s_cbranch_scc1 .LBB4_1024
.LBB4_1025:                             ;   in Loop: Header=BB4_1000 Depth=1
	s_mov_b32 s26, 0
	s_cbranch_execz .LBB4_1027
	s_branch .LBB4_1028
.LBB4_1026:                             ;   in Loop: Header=BB4_1000 Depth=1
                                        ; implicit-def: $vgpr17_vgpr18
                                        ; implicit-def: $sgpr26
.LBB4_1027:                             ;   in Loop: Header=BB4_1000 Depth=1
	global_load_dwordx2 v[17:18], v6, s[4:5]
	s_add_i32 s26, s25, -8
	s_add_u32 s4, s4, 8
	s_addc_u32 s5, s5, 0
.LBB4_1028:                             ;   in Loop: Header=BB4_1000 Depth=1
	s_cmp_gt_u32 s26, 7
	s_cbranch_scc1 .LBB4_1033
; %bb.1029:                             ;   in Loop: Header=BB4_1000 Depth=1
	v_mov_b32_e32 v19, 0
	v_mov_b32_e32 v20, 0
	s_cmp_eq_u32 s26, 0
	s_cbranch_scc1 .LBB4_1032
; %bb.1030:                             ;   in Loop: Header=BB4_1000 Depth=1
	s_mov_b64 s[20:21], 0
	s_mov_b64 s[22:23], 0
.LBB4_1031:                             ;   Parent Loop BB4_1000 Depth=1
                                        ; =>  This Inner Loop Header: Depth=2
	s_add_u32 s28, s4, s22
	s_addc_u32 s29, s5, s23
	s_add_u32 s22, s22, 1
	global_load_ubyte v4, v6, s[28:29]
	s_addc_u32 s23, s23, 0
	s_waitcnt vmcnt(0)
	v_and_b32_e32 v5, 0xffff, v4
	v_lshlrev_b64 v[4:5], s20, v[5:6]
	s_add_u32 s20, s20, 8
	s_addc_u32 s21, s21, 0
	s_cmp_lg_u32 s26, s22
	v_or_b32_e32 v19, v4, v19
	v_or_b32_e32 v20, v5, v20
	s_cbranch_scc1 .LBB4_1031
.LBB4_1032:                             ;   in Loop: Header=BB4_1000 Depth=1
	s_mov_b32 s25, 0
	s_cbranch_execz .LBB4_1034
	s_branch .LBB4_1035
.LBB4_1033:                             ;   in Loop: Header=BB4_1000 Depth=1
                                        ; implicit-def: $sgpr25
.LBB4_1034:                             ;   in Loop: Header=BB4_1000 Depth=1
	global_load_dwordx2 v[19:20], v6, s[4:5]
	s_add_i32 s25, s26, -8
	s_add_u32 s4, s4, 8
	s_addc_u32 s5, s5, 0
.LBB4_1035:                             ;   in Loop: Header=BB4_1000 Depth=1
	s_cmp_gt_u32 s25, 7
	s_cbranch_scc1 .LBB4_1040
; %bb.1036:                             ;   in Loop: Header=BB4_1000 Depth=1
	v_mov_b32_e32 v21, 0
	v_mov_b32_e32 v22, 0
	s_cmp_eq_u32 s25, 0
	s_cbranch_scc1 .LBB4_1039
; %bb.1037:                             ;   in Loop: Header=BB4_1000 Depth=1
	s_mov_b64 s[20:21], 0
	s_mov_b64 s[22:23], 0
.LBB4_1038:                             ;   Parent Loop BB4_1000 Depth=1
                                        ; =>  This Inner Loop Header: Depth=2
	s_add_u32 s26, s4, s22
	s_addc_u32 s27, s5, s23
	s_add_u32 s22, s22, 1
	global_load_ubyte v4, v6, s[26:27]
	s_addc_u32 s23, s23, 0
	s_waitcnt vmcnt(0)
	v_and_b32_e32 v5, 0xffff, v4
	v_lshlrev_b64 v[4:5], s20, v[5:6]
	s_add_u32 s20, s20, 8
	s_addc_u32 s21, s21, 0
	s_cmp_lg_u32 s25, s22
	v_or_b32_e32 v21, v4, v21
	v_or_b32_e32 v22, v5, v22
	s_cbranch_scc1 .LBB4_1038
.LBB4_1039:                             ;   in Loop: Header=BB4_1000 Depth=1
	s_mov_b32 s26, 0
	s_cbranch_execz .LBB4_1041
	s_branch .LBB4_1042
.LBB4_1040:                             ;   in Loop: Header=BB4_1000 Depth=1
                                        ; implicit-def: $vgpr21_vgpr22
                                        ; implicit-def: $sgpr26
.LBB4_1041:                             ;   in Loop: Header=BB4_1000 Depth=1
	global_load_dwordx2 v[21:22], v6, s[4:5]
	s_add_i32 s26, s25, -8
	s_add_u32 s4, s4, 8
	s_addc_u32 s5, s5, 0
.LBB4_1042:                             ;   in Loop: Header=BB4_1000 Depth=1
	s_cmp_gt_u32 s26, 7
	s_cbranch_scc1 .LBB4_1047
; %bb.1043:                             ;   in Loop: Header=BB4_1000 Depth=1
	v_mov_b32_e32 v23, 0
	v_mov_b32_e32 v24, 0
	s_cmp_eq_u32 s26, 0
	s_cbranch_scc1 .LBB4_1046
; %bb.1044:                             ;   in Loop: Header=BB4_1000 Depth=1
	s_mov_b64 s[20:21], 0
	s_mov_b64 s[22:23], s[4:5]
.LBB4_1045:                             ;   Parent Loop BB4_1000 Depth=1
                                        ; =>  This Inner Loop Header: Depth=2
	global_load_ubyte v4, v6, s[22:23]
	s_add_i32 s26, s26, -1
	s_waitcnt vmcnt(0)
	v_and_b32_e32 v5, 0xffff, v4
	v_lshlrev_b64 v[4:5], s20, v[5:6]
	s_add_u32 s20, s20, 8
	s_addc_u32 s21, s21, 0
	s_add_u32 s22, s22, 1
	s_addc_u32 s23, s23, 0
	s_cmp_lg_u32 s26, 0
	v_or_b32_e32 v23, v4, v23
	v_or_b32_e32 v24, v5, v24
	s_cbranch_scc1 .LBB4_1045
.LBB4_1046:                             ;   in Loop: Header=BB4_1000 Depth=1
	s_cbranch_execz .LBB4_1048
	s_branch .LBB4_1049
.LBB4_1047:                             ;   in Loop: Header=BB4_1000 Depth=1
.LBB4_1048:                             ;   in Loop: Header=BB4_1000 Depth=1
	global_load_dwordx2 v[23:24], v6, s[4:5]
.LBB4_1049:                             ;   in Loop: Header=BB4_1000 Depth=1
	v_readfirstlane_b32 s4, v32
	s_waitcnt vmcnt(0)
	v_mov_b32_e32 v4, 0
	v_mov_b32_e32 v5, 0
	v_cmp_eq_u32_e64 s4, s4, v32
	s_and_saveexec_b32 s5, s4
	s_cbranch_execz .LBB4_1055
; %bb.1050:                             ;   in Loop: Header=BB4_1000 Depth=1
	global_load_dwordx2 v[27:28], v6, s[6:7] offset:24 glc dlc
	s_waitcnt vmcnt(0)
	buffer_gl1_inv
	buffer_gl0_inv
	s_clause 0x1
	global_load_dwordx2 v[4:5], v6, s[6:7] offset:40
	global_load_dwordx2 v[9:10], v6, s[6:7]
	s_mov_b32 s20, exec_lo
	s_waitcnt vmcnt(1)
	v_and_b32_e32 v5, v5, v28
	v_and_b32_e32 v4, v4, v27
	v_mul_lo_u32 v5, v5, 24
	v_mul_hi_u32 v25, v4, 24
	v_mul_lo_u32 v4, v4, 24
	v_add_nc_u32_e32 v5, v25, v5
	s_waitcnt vmcnt(0)
	v_add_co_u32 v4, vcc_lo, v9, v4
	v_add_co_ci_u32_e32 v5, vcc_lo, v10, v5, vcc_lo
	global_load_dwordx2 v[25:26], v[4:5], off glc dlc
	s_waitcnt vmcnt(0)
	global_atomic_cmpswap_x2 v[4:5], v6, v[25:28], s[6:7] offset:24 glc
	s_waitcnt vmcnt(0)
	buffer_gl1_inv
	buffer_gl0_inv
	v_cmpx_ne_u64_e64 v[4:5], v[27:28]
	s_cbranch_execz .LBB4_1054
; %bb.1051:                             ;   in Loop: Header=BB4_1000 Depth=1
	s_mov_b32 s21, 0
	.p2align	6
.LBB4_1052:                             ;   Parent Loop BB4_1000 Depth=1
                                        ; =>  This Inner Loop Header: Depth=2
	s_sleep 1
	s_clause 0x1
	global_load_dwordx2 v[9:10], v6, s[6:7] offset:40
	global_load_dwordx2 v[25:26], v6, s[6:7]
	v_mov_b32_e32 v28, v5
	v_mov_b32_e32 v27, v4
	s_waitcnt vmcnt(1)
	v_and_b32_e32 v4, v9, v27
	v_and_b32_e32 v9, v10, v28
	s_waitcnt vmcnt(0)
	v_mad_u64_u32 v[4:5], null, v4, 24, v[25:26]
	v_mad_u64_u32 v[9:10], null, v9, 24, v[5:6]
	v_mov_b32_e32 v5, v9
	global_load_dwordx2 v[25:26], v[4:5], off glc dlc
	s_waitcnt vmcnt(0)
	global_atomic_cmpswap_x2 v[4:5], v6, v[25:28], s[6:7] offset:24 glc
	s_waitcnt vmcnt(0)
	buffer_gl1_inv
	buffer_gl0_inv
	v_cmp_eq_u64_e32 vcc_lo, v[4:5], v[27:28]
	s_or_b32 s21, vcc_lo, s21
	s_andn2_b32 exec_lo, exec_lo, s21
	s_cbranch_execnz .LBB4_1052
; %bb.1053:                             ;   in Loop: Header=BB4_1000 Depth=1
	s_or_b32 exec_lo, exec_lo, s21
.LBB4_1054:                             ;   in Loop: Header=BB4_1000 Depth=1
	s_or_b32 exec_lo, exec_lo, s20
.LBB4_1055:                             ;   in Loop: Header=BB4_1000 Depth=1
	s_or_b32 exec_lo, exec_lo, s5
	s_clause 0x1
	global_load_dwordx2 v[9:10], v6, s[6:7] offset:40
	global_load_dwordx4 v[25:28], v6, s[6:7]
	v_readfirstlane_b32 s20, v4
	v_readfirstlane_b32 s21, v5
	s_mov_b32 s5, exec_lo
	s_waitcnt vmcnt(1)
	v_readfirstlane_b32 s22, v9
	v_readfirstlane_b32 s23, v10
	s_and_b64 s[22:23], s[20:21], s[22:23]
	s_mul_i32 s25, s23, 24
	s_mul_hi_u32 s26, s22, 24
	s_mul_i32 s27, s22, 24
	s_add_i32 s26, s26, s25
	s_waitcnt vmcnt(0)
	v_add_co_u32 v29, vcc_lo, v25, s27
	v_add_co_ci_u32_e32 v30, vcc_lo, s26, v26, vcc_lo
	s_and_saveexec_b32 s25, s4
	s_cbranch_execz .LBB4_1057
; %bb.1056:                             ;   in Loop: Header=BB4_1000 Depth=1
	v_mov_b32_e32 v5, s5
	global_store_dwordx4 v[29:30], v[5:8], off offset:8
.LBB4_1057:                             ;   in Loop: Header=BB4_1000 Depth=1
	s_or_b32 exec_lo, exec_lo, s25
	s_lshl_b64 s[22:23], s[22:23], 12
	v_cmp_gt_u64_e64 vcc_lo, s[16:17], 56
	v_or_b32_e32 v5, v2, v33
	v_add_co_u32 v27, s5, v27, s22
	v_add_co_ci_u32_e64 v28, s5, s23, v28, s5
	s_lshl_b32 s5, s18, 2
	v_or_b32_e32 v4, 0, v3
	v_cndmask_b32_e32 v2, v5, v2, vcc_lo
	s_add_i32 s5, s5, 28
	v_readfirstlane_b32 s22, v27
	s_and_b32 s5, s5, 0x1e0
	v_cndmask_b32_e32 v10, v4, v3, vcc_lo
	v_readfirstlane_b32 s23, v28
	v_and_or_b32 v9, 0xffffff1f, v2, s5
	global_store_dwordx4 v31, v[9:12], s[22:23]
	global_store_dwordx4 v31, v[13:16], s[22:23] offset:16
	global_store_dwordx4 v31, v[17:20], s[22:23] offset:32
	;; [unrolled: 1-line block ×3, first 2 shown]
	s_and_saveexec_b32 s5, s4
	s_cbranch_execz .LBB4_1065
; %bb.1058:                             ;   in Loop: Header=BB4_1000 Depth=1
	s_clause 0x1
	global_load_dwordx2 v[13:14], v6, s[6:7] offset:32 glc dlc
	global_load_dwordx2 v[2:3], v6, s[6:7] offset:40
	v_mov_b32_e32 v11, s20
	v_mov_b32_e32 v12, s21
	s_waitcnt vmcnt(0)
	v_readfirstlane_b32 s22, v2
	v_readfirstlane_b32 s23, v3
	s_and_b64 s[22:23], s[22:23], s[20:21]
	s_mul_i32 s23, s23, 24
	s_mul_hi_u32 s25, s22, 24
	s_mul_i32 s22, s22, 24
	s_add_i32 s25, s25, s23
	v_add_co_u32 v9, vcc_lo, v25, s22
	v_add_co_ci_u32_e32 v10, vcc_lo, s25, v26, vcc_lo
	s_mov_b32 s22, exec_lo
	global_store_dwordx2 v[9:10], v[13:14], off
	s_waitcnt_vscnt null, 0x0
	global_atomic_cmpswap_x2 v[4:5], v6, v[11:14], s[6:7] offset:32 glc
	s_waitcnt vmcnt(0)
	v_cmpx_ne_u64_e64 v[4:5], v[13:14]
	s_cbranch_execz .LBB4_1061
; %bb.1059:                             ;   in Loop: Header=BB4_1000 Depth=1
	s_mov_b32 s23, 0
.LBB4_1060:                             ;   Parent Loop BB4_1000 Depth=1
                                        ; =>  This Inner Loop Header: Depth=2
	v_mov_b32_e32 v2, s20
	v_mov_b32_e32 v3, s21
	s_sleep 1
	global_store_dwordx2 v[9:10], v[4:5], off
	s_waitcnt_vscnt null, 0x0
	global_atomic_cmpswap_x2 v[2:3], v6, v[2:5], s[6:7] offset:32 glc
	s_waitcnt vmcnt(0)
	v_cmp_eq_u64_e32 vcc_lo, v[2:3], v[4:5]
	v_mov_b32_e32 v5, v3
	v_mov_b32_e32 v4, v2
	s_or_b32 s23, vcc_lo, s23
	s_andn2_b32 exec_lo, exec_lo, s23
	s_cbranch_execnz .LBB4_1060
.LBB4_1061:                             ;   in Loop: Header=BB4_1000 Depth=1
	s_or_b32 exec_lo, exec_lo, s22
	global_load_dwordx2 v[2:3], v6, s[6:7] offset:16
	s_mov_b32 s23, exec_lo
	s_mov_b32 s22, exec_lo
	v_mbcnt_lo_u32_b32 v4, s23, 0
	v_cmpx_eq_u32_e32 0, v4
	s_cbranch_execz .LBB4_1063
; %bb.1062:                             ;   in Loop: Header=BB4_1000 Depth=1
	s_bcnt1_i32_b32 s23, s23
	v_mov_b32_e32 v5, s23
	s_waitcnt vmcnt(0)
	global_atomic_add_x2 v[2:3], v[5:6], off offset:8
.LBB4_1063:                             ;   in Loop: Header=BB4_1000 Depth=1
	s_or_b32 exec_lo, exec_lo, s22
	s_waitcnt vmcnt(0)
	global_load_dwordx2 v[9:10], v[2:3], off offset:16
	s_waitcnt vmcnt(0)
	v_cmp_eq_u64_e32 vcc_lo, 0, v[9:10]
	s_cbranch_vccnz .LBB4_1065
; %bb.1064:                             ;   in Loop: Header=BB4_1000 Depth=1
	global_load_dword v5, v[2:3], off offset:24
	s_waitcnt vmcnt(0)
	v_and_b32_e32 v2, 0x7fffff, v5
	s_waitcnt_vscnt null, 0x0
	global_store_dwordx2 v[9:10], v[5:6], off
	v_readfirstlane_b32 m0, v2
	s_sendmsg sendmsg(MSG_INTERRUPT)
.LBB4_1065:                             ;   in Loop: Header=BB4_1000 Depth=1
	s_or_b32 exec_lo, exec_lo, s5
	v_add_co_u32 v2, vcc_lo, v27, v31
	v_add_co_ci_u32_e32 v3, vcc_lo, 0, v28, vcc_lo
	s_branch .LBB4_1069
	.p2align	6
.LBB4_1066:                             ;   in Loop: Header=BB4_1069 Depth=2
	s_or_b32 exec_lo, exec_lo, s5
	v_readfirstlane_b32 s5, v4
	s_cmp_eq_u32 s5, 0
	s_cbranch_scc1 .LBB4_1068
; %bb.1067:                             ;   in Loop: Header=BB4_1069 Depth=2
	s_sleep 1
	s_cbranch_execnz .LBB4_1069
	s_branch .LBB4_1071
	.p2align	6
.LBB4_1068:                             ;   in Loop: Header=BB4_1000 Depth=1
	s_branch .LBB4_1071
.LBB4_1069:                             ;   Parent Loop BB4_1000 Depth=1
                                        ; =>  This Inner Loop Header: Depth=2
	v_mov_b32_e32 v4, 1
	s_and_saveexec_b32 s5, s4
	s_cbranch_execz .LBB4_1066
; %bb.1070:                             ;   in Loop: Header=BB4_1069 Depth=2
	global_load_dword v4, v[29:30], off offset:20 glc dlc
	s_waitcnt vmcnt(0)
	buffer_gl1_inv
	buffer_gl0_inv
	v_and_b32_e32 v4, 1, v4
	s_branch .LBB4_1066
.LBB4_1071:                             ;   in Loop: Header=BB4_1000 Depth=1
	global_load_dwordx4 v[2:5], v[2:3], off
	s_and_saveexec_b32 s5, s4
	s_cbranch_execz .LBB4_999
; %bb.1072:                             ;   in Loop: Header=BB4_1000 Depth=1
	s_clause 0x2
	global_load_dwordx2 v[4:5], v6, s[6:7] offset:40
	global_load_dwordx2 v[13:14], v6, s[6:7] offset:24 glc dlc
	global_load_dwordx2 v[11:12], v6, s[6:7]
	s_waitcnt vmcnt(2)
	v_add_co_u32 v15, vcc_lo, v4, 1
	v_add_co_ci_u32_e32 v16, vcc_lo, 0, v5, vcc_lo
	v_add_co_u32 v9, vcc_lo, v15, s20
	v_add_co_ci_u32_e32 v10, vcc_lo, s21, v16, vcc_lo
	v_cmp_eq_u64_e32 vcc_lo, 0, v[9:10]
	v_cndmask_b32_e32 v10, v10, v16, vcc_lo
	v_cndmask_b32_e32 v9, v9, v15, vcc_lo
	v_and_b32_e32 v5, v10, v5
	v_and_b32_e32 v4, v9, v4
	v_mul_lo_u32 v5, v5, 24
	v_mul_hi_u32 v15, v4, 24
	v_mul_lo_u32 v4, v4, 24
	v_add_nc_u32_e32 v5, v15, v5
	s_waitcnt vmcnt(0)
	v_add_co_u32 v4, vcc_lo, v11, v4
	v_mov_b32_e32 v11, v13
	v_add_co_ci_u32_e32 v5, vcc_lo, v12, v5, vcc_lo
	v_mov_b32_e32 v12, v14
	global_store_dwordx2 v[4:5], v[13:14], off
	s_waitcnt_vscnt null, 0x0
	global_atomic_cmpswap_x2 v[11:12], v6, v[9:12], s[6:7] offset:24 glc
	s_waitcnt vmcnt(0)
	v_cmp_ne_u64_e32 vcc_lo, v[11:12], v[13:14]
	s_and_b32 exec_lo, exec_lo, vcc_lo
	s_cbranch_execz .LBB4_999
; %bb.1073:                             ;   in Loop: Header=BB4_1000 Depth=1
	s_mov_b32 s4, 0
.LBB4_1074:                             ;   Parent Loop BB4_1000 Depth=1
                                        ; =>  This Inner Loop Header: Depth=2
	s_sleep 1
	global_store_dwordx2 v[4:5], v[11:12], off
	s_waitcnt_vscnt null, 0x0
	global_atomic_cmpswap_x2 v[13:14], v6, v[9:12], s[6:7] offset:24 glc
	s_waitcnt vmcnt(0)
	v_cmp_eq_u64_e32 vcc_lo, v[13:14], v[11:12]
	v_mov_b32_e32 v11, v13
	v_mov_b32_e32 v12, v14
	s_or_b32 s4, vcc_lo, s4
	s_andn2_b32 exec_lo, exec_lo, s4
	s_cbranch_execnz .LBB4_1074
	s_branch .LBB4_999
.LBB4_1075:
	s_branch .LBB4_1104
.LBB4_1076:
                                        ; implicit-def: $vgpr2_vgpr3
	s_cbranch_execz .LBB4_1104
; %bb.1077:
	v_readfirstlane_b32 s4, v32
	v_mov_b32_e32 v8, 0
	v_mov_b32_e32 v9, 0
	v_cmp_eq_u32_e64 s4, s4, v32
	s_and_saveexec_b32 s5, s4
	s_cbranch_execz .LBB4_1083
; %bb.1078:
	s_waitcnt vmcnt(0)
	v_mov_b32_e32 v2, 0
	s_mov_b32 s10, exec_lo
	global_load_dwordx2 v[5:6], v2, s[6:7] offset:24 glc dlc
	s_waitcnt vmcnt(0)
	buffer_gl1_inv
	buffer_gl0_inv
	s_clause 0x1
	global_load_dwordx2 v[3:4], v2, s[6:7] offset:40
	global_load_dwordx2 v[7:8], v2, s[6:7]
	s_waitcnt vmcnt(1)
	v_and_b32_e32 v4, v4, v6
	v_and_b32_e32 v3, v3, v5
	v_mul_lo_u32 v4, v4, 24
	v_mul_hi_u32 v9, v3, 24
	v_mul_lo_u32 v3, v3, 24
	v_add_nc_u32_e32 v4, v9, v4
	s_waitcnt vmcnt(0)
	v_add_co_u32 v3, vcc_lo, v7, v3
	v_add_co_ci_u32_e32 v4, vcc_lo, v8, v4, vcc_lo
	global_load_dwordx2 v[3:4], v[3:4], off glc dlc
	s_waitcnt vmcnt(0)
	global_atomic_cmpswap_x2 v[8:9], v2, v[3:6], s[6:7] offset:24 glc
	s_waitcnt vmcnt(0)
	buffer_gl1_inv
	buffer_gl0_inv
	v_cmpx_ne_u64_e64 v[8:9], v[5:6]
	s_cbranch_execz .LBB4_1082
; %bb.1079:
	s_mov_b32 s11, 0
	.p2align	6
.LBB4_1080:                             ; =>This Inner Loop Header: Depth=1
	s_sleep 1
	s_clause 0x1
	global_load_dwordx2 v[3:4], v2, s[6:7] offset:40
	global_load_dwordx2 v[10:11], v2, s[6:7]
	v_mov_b32_e32 v5, v8
	v_mov_b32_e32 v6, v9
	s_waitcnt vmcnt(1)
	v_and_b32_e32 v3, v3, v5
	v_and_b32_e32 v4, v4, v6
	s_waitcnt vmcnt(0)
	v_mad_u64_u32 v[7:8], null, v3, 24, v[10:11]
	v_mov_b32_e32 v3, v8
	v_mad_u64_u32 v[3:4], null, v4, 24, v[3:4]
	v_mov_b32_e32 v8, v3
	global_load_dwordx2 v[3:4], v[7:8], off glc dlc
	s_waitcnt vmcnt(0)
	global_atomic_cmpswap_x2 v[8:9], v2, v[3:6], s[6:7] offset:24 glc
	s_waitcnt vmcnt(0)
	buffer_gl1_inv
	buffer_gl0_inv
	v_cmp_eq_u64_e32 vcc_lo, v[8:9], v[5:6]
	s_or_b32 s11, vcc_lo, s11
	s_andn2_b32 exec_lo, exec_lo, s11
	s_cbranch_execnz .LBB4_1080
; %bb.1081:
	s_or_b32 exec_lo, exec_lo, s11
.LBB4_1082:
	s_or_b32 exec_lo, exec_lo, s10
.LBB4_1083:
	s_or_b32 exec_lo, exec_lo, s5
	s_waitcnt vmcnt(0)
	v_mov_b32_e32 v2, 0
	v_readfirstlane_b32 s10, v8
	v_readfirstlane_b32 s11, v9
	s_mov_b32 s5, exec_lo
	s_clause 0x1
	global_load_dwordx2 v[10:11], v2, s[6:7] offset:40
	global_load_dwordx4 v[4:7], v2, s[6:7]
	s_waitcnt vmcnt(1)
	v_readfirstlane_b32 s16, v10
	v_readfirstlane_b32 s17, v11
	s_and_b64 s[16:17], s[10:11], s[16:17]
	s_mul_i32 s18, s17, 24
	s_mul_hi_u32 s19, s16, 24
	s_mul_i32 s20, s16, 24
	s_add_i32 s19, s19, s18
	s_waitcnt vmcnt(0)
	v_add_co_u32 v8, vcc_lo, v4, s20
	v_add_co_ci_u32_e32 v9, vcc_lo, s19, v5, vcc_lo
	s_and_saveexec_b32 s18, s4
	s_cbranch_execz .LBB4_1085
; %bb.1084:
	v_mov_b32_e32 v10, s5
	v_mov_b32_e32 v11, v2
	v_mov_b32_e32 v12, 2
	v_mov_b32_e32 v13, 1
	global_store_dwordx4 v[8:9], v[10:13], off offset:8
.LBB4_1085:
	s_or_b32 exec_lo, exec_lo, s18
	s_lshl_b64 s[16:17], s[16:17], 12
	v_and_or_b32 v0, 0xffffff1f, v0, 32
	v_add_co_u32 v6, vcc_lo, v6, s16
	v_add_co_ci_u32_e32 v7, vcc_lo, s17, v7, vcc_lo
	s_mov_b32 s16, 0
	v_readfirstlane_b32 s20, v6
	v_add_co_u32 v6, vcc_lo, v6, v31
	s_mov_b32 s17, s16
	s_mov_b32 s18, s16
	;; [unrolled: 1-line block ×3, first 2 shown]
	v_mov_b32_e32 v3, v2
	v_readfirstlane_b32 s21, v7
	v_mov_b32_e32 v10, s16
	v_add_co_ci_u32_e32 v7, vcc_lo, 0, v7, vcc_lo
	v_mov_b32_e32 v11, s17
	v_mov_b32_e32 v12, s18
	;; [unrolled: 1-line block ×3, first 2 shown]
	global_store_dwordx4 v31, v[0:3], s[20:21]
	global_store_dwordx4 v31, v[10:13], s[20:21] offset:16
	global_store_dwordx4 v31, v[10:13], s[20:21] offset:32
	;; [unrolled: 1-line block ×3, first 2 shown]
	s_and_saveexec_b32 s5, s4
	s_cbranch_execz .LBB4_1093
; %bb.1086:
	v_mov_b32_e32 v10, 0
	v_mov_b32_e32 v11, s10
	;; [unrolled: 1-line block ×3, first 2 shown]
	s_clause 0x1
	global_load_dwordx2 v[13:14], v10, s[6:7] offset:32 glc dlc
	global_load_dwordx2 v[0:1], v10, s[6:7] offset:40
	s_waitcnt vmcnt(0)
	v_readfirstlane_b32 s16, v0
	v_readfirstlane_b32 s17, v1
	s_and_b64 s[16:17], s[16:17], s[10:11]
	s_mul_i32 s17, s17, 24
	s_mul_hi_u32 s18, s16, 24
	s_mul_i32 s16, s16, 24
	s_add_i32 s18, s18, s17
	v_add_co_u32 v4, vcc_lo, v4, s16
	v_add_co_ci_u32_e32 v5, vcc_lo, s18, v5, vcc_lo
	s_mov_b32 s16, exec_lo
	global_store_dwordx2 v[4:5], v[13:14], off
	s_waitcnt_vscnt null, 0x0
	global_atomic_cmpswap_x2 v[2:3], v10, v[11:14], s[6:7] offset:32 glc
	s_waitcnt vmcnt(0)
	v_cmpx_ne_u64_e64 v[2:3], v[13:14]
	s_cbranch_execz .LBB4_1089
; %bb.1087:
	s_mov_b32 s17, 0
.LBB4_1088:                             ; =>This Inner Loop Header: Depth=1
	v_mov_b32_e32 v0, s10
	v_mov_b32_e32 v1, s11
	s_sleep 1
	global_store_dwordx2 v[4:5], v[2:3], off
	s_waitcnt_vscnt null, 0x0
	global_atomic_cmpswap_x2 v[0:1], v10, v[0:3], s[6:7] offset:32 glc
	s_waitcnt vmcnt(0)
	v_cmp_eq_u64_e32 vcc_lo, v[0:1], v[2:3]
	v_mov_b32_e32 v3, v1
	v_mov_b32_e32 v2, v0
	s_or_b32 s17, vcc_lo, s17
	s_andn2_b32 exec_lo, exec_lo, s17
	s_cbranch_execnz .LBB4_1088
.LBB4_1089:
	s_or_b32 exec_lo, exec_lo, s16
	v_mov_b32_e32 v3, 0
	s_mov_b32 s17, exec_lo
	s_mov_b32 s16, exec_lo
	v_mbcnt_lo_u32_b32 v2, s17, 0
	global_load_dwordx2 v[0:1], v3, s[6:7] offset:16
	v_cmpx_eq_u32_e32 0, v2
	s_cbranch_execz .LBB4_1091
; %bb.1090:
	s_bcnt1_i32_b32 s17, s17
	v_mov_b32_e32 v2, s17
	s_waitcnt vmcnt(0)
	global_atomic_add_x2 v[0:1], v[2:3], off offset:8
.LBB4_1091:
	s_or_b32 exec_lo, exec_lo, s16
	s_waitcnt vmcnt(0)
	global_load_dwordx2 v[2:3], v[0:1], off offset:16
	s_waitcnt vmcnt(0)
	v_cmp_eq_u64_e32 vcc_lo, 0, v[2:3]
	s_cbranch_vccnz .LBB4_1093
; %bb.1092:
	global_load_dword v0, v[0:1], off offset:24
	v_mov_b32_e32 v1, 0
	s_waitcnt vmcnt(0)
	v_and_b32_e32 v4, 0x7fffff, v0
	s_waitcnt_vscnt null, 0x0
	global_store_dwordx2 v[2:3], v[0:1], off
	v_readfirstlane_b32 m0, v4
	s_sendmsg sendmsg(MSG_INTERRUPT)
.LBB4_1093:
	s_or_b32 exec_lo, exec_lo, s5
	s_branch .LBB4_1097
	.p2align	6
.LBB4_1094:                             ;   in Loop: Header=BB4_1097 Depth=1
	s_or_b32 exec_lo, exec_lo, s5
	v_readfirstlane_b32 s5, v0
	s_cmp_eq_u32 s5, 0
	s_cbranch_scc1 .LBB4_1096
; %bb.1095:                             ;   in Loop: Header=BB4_1097 Depth=1
	s_sleep 1
	s_cbranch_execnz .LBB4_1097
	s_branch .LBB4_1099
	.p2align	6
.LBB4_1096:
	s_branch .LBB4_1099
.LBB4_1097:                             ; =>This Inner Loop Header: Depth=1
	v_mov_b32_e32 v0, 1
	s_and_saveexec_b32 s5, s4
	s_cbranch_execz .LBB4_1094
; %bb.1098:                             ;   in Loop: Header=BB4_1097 Depth=1
	global_load_dword v0, v[8:9], off offset:20 glc dlc
	s_waitcnt vmcnt(0)
	buffer_gl1_inv
	buffer_gl0_inv
	v_and_b32_e32 v0, 1, v0
	s_branch .LBB4_1094
.LBB4_1099:
	global_load_dwordx2 v[2:3], v[6:7], off
	s_and_saveexec_b32 s5, s4
	s_cbranch_execz .LBB4_1103
; %bb.1100:
	v_mov_b32_e32 v8, 0
	s_clause 0x2
	global_load_dwordx2 v[0:1], v8, s[6:7] offset:40
	global_load_dwordx2 v[9:10], v8, s[6:7] offset:24 glc dlc
	global_load_dwordx2 v[6:7], v8, s[6:7]
	s_waitcnt vmcnt(2)
	v_add_co_u32 v11, vcc_lo, v0, 1
	v_add_co_ci_u32_e32 v12, vcc_lo, 0, v1, vcc_lo
	v_add_co_u32 v4, vcc_lo, v11, s10
	v_add_co_ci_u32_e32 v5, vcc_lo, s11, v12, vcc_lo
	v_cmp_eq_u64_e32 vcc_lo, 0, v[4:5]
	v_cndmask_b32_e32 v5, v5, v12, vcc_lo
	v_cndmask_b32_e32 v4, v4, v11, vcc_lo
	v_and_b32_e32 v1, v5, v1
	v_and_b32_e32 v0, v4, v0
	v_mul_lo_u32 v1, v1, 24
	v_mul_hi_u32 v11, v0, 24
	v_mul_lo_u32 v0, v0, 24
	v_add_nc_u32_e32 v1, v11, v1
	s_waitcnt vmcnt(0)
	v_add_co_u32 v0, vcc_lo, v6, v0
	v_mov_b32_e32 v6, v9
	v_add_co_ci_u32_e32 v1, vcc_lo, v7, v1, vcc_lo
	v_mov_b32_e32 v7, v10
	global_store_dwordx2 v[0:1], v[9:10], off
	s_waitcnt_vscnt null, 0x0
	global_atomic_cmpswap_x2 v[6:7], v8, v[4:7], s[6:7] offset:24 glc
	s_waitcnt vmcnt(0)
	v_cmp_ne_u64_e32 vcc_lo, v[6:7], v[9:10]
	s_and_b32 exec_lo, exec_lo, vcc_lo
	s_cbranch_execz .LBB4_1103
; %bb.1101:
	s_mov_b32 s4, 0
.LBB4_1102:                             ; =>This Inner Loop Header: Depth=1
	s_sleep 1
	global_store_dwordx2 v[0:1], v[6:7], off
	s_waitcnt_vscnt null, 0x0
	global_atomic_cmpswap_x2 v[9:10], v8, v[4:7], s[6:7] offset:24 glc
	s_waitcnt vmcnt(0)
	v_cmp_eq_u64_e32 vcc_lo, v[9:10], v[6:7]
	v_mov_b32_e32 v6, v9
	v_mov_b32_e32 v7, v10
	s_or_b32 s4, vcc_lo, s4
	s_andn2_b32 exec_lo, exec_lo, s4
	s_cbranch_execnz .LBB4_1102
.LBB4_1103:
	s_or_b32 exec_lo, exec_lo, s5
.LBB4_1104:
	v_readfirstlane_b32 s4, v32
	s_waitcnt vmcnt(0)
	v_mov_b32_e32 v0, 0
	v_mov_b32_e32 v1, 0
	v_cmp_eq_u32_e64 s4, s4, v32
	s_and_saveexec_b32 s5, s4
	s_cbranch_execz .LBB4_1110
; %bb.1105:
	v_mov_b32_e32 v4, 0
	s_mov_b32 s10, exec_lo
	global_load_dwordx2 v[7:8], v4, s[6:7] offset:24 glc dlc
	s_waitcnt vmcnt(0)
	buffer_gl1_inv
	buffer_gl0_inv
	s_clause 0x1
	global_load_dwordx2 v[0:1], v4, s[6:7] offset:40
	global_load_dwordx2 v[5:6], v4, s[6:7]
	s_waitcnt vmcnt(1)
	v_and_b32_e32 v1, v1, v8
	v_and_b32_e32 v0, v0, v7
	v_mul_lo_u32 v1, v1, 24
	v_mul_hi_u32 v9, v0, 24
	v_mul_lo_u32 v0, v0, 24
	v_add_nc_u32_e32 v1, v9, v1
	s_waitcnt vmcnt(0)
	v_add_co_u32 v0, vcc_lo, v5, v0
	v_add_co_ci_u32_e32 v1, vcc_lo, v6, v1, vcc_lo
	global_load_dwordx2 v[5:6], v[0:1], off glc dlc
	s_waitcnt vmcnt(0)
	global_atomic_cmpswap_x2 v[0:1], v4, v[5:8], s[6:7] offset:24 glc
	s_waitcnt vmcnt(0)
	buffer_gl1_inv
	buffer_gl0_inv
	v_cmpx_ne_u64_e64 v[0:1], v[7:8]
	s_cbranch_execz .LBB4_1109
; %bb.1106:
	s_mov_b32 s11, 0
	.p2align	6
.LBB4_1107:                             ; =>This Inner Loop Header: Depth=1
	s_sleep 1
	s_clause 0x1
	global_load_dwordx2 v[5:6], v4, s[6:7] offset:40
	global_load_dwordx2 v[9:10], v4, s[6:7]
	v_mov_b32_e32 v8, v1
	v_mov_b32_e32 v7, v0
	s_waitcnt vmcnt(1)
	v_and_b32_e32 v0, v5, v7
	v_and_b32_e32 v5, v6, v8
	s_waitcnt vmcnt(0)
	v_mad_u64_u32 v[0:1], null, v0, 24, v[9:10]
	v_mad_u64_u32 v[5:6], null, v5, 24, v[1:2]
	v_mov_b32_e32 v1, v5
	global_load_dwordx2 v[5:6], v[0:1], off glc dlc
	s_waitcnt vmcnt(0)
	global_atomic_cmpswap_x2 v[0:1], v4, v[5:8], s[6:7] offset:24 glc
	s_waitcnt vmcnt(0)
	buffer_gl1_inv
	buffer_gl0_inv
	v_cmp_eq_u64_e32 vcc_lo, v[0:1], v[7:8]
	s_or_b32 s11, vcc_lo, s11
	s_andn2_b32 exec_lo, exec_lo, s11
	s_cbranch_execnz .LBB4_1107
; %bb.1108:
	s_or_b32 exec_lo, exec_lo, s11
.LBB4_1109:
	s_or_b32 exec_lo, exec_lo, s10
.LBB4_1110:
	s_or_b32 exec_lo, exec_lo, s5
	v_mov_b32_e32 v5, 0
	v_readfirstlane_b32 s10, v0
	v_readfirstlane_b32 s11, v1
	s_mov_b32 s5, exec_lo
	s_clause 0x1
	global_load_dwordx2 v[10:11], v5, s[6:7] offset:40
	global_load_dwordx4 v[6:9], v5, s[6:7]
	s_waitcnt vmcnt(1)
	v_readfirstlane_b32 s16, v10
	v_readfirstlane_b32 s17, v11
	s_and_b64 s[16:17], s[10:11], s[16:17]
	s_mul_i32 s18, s17, 24
	s_mul_hi_u32 s19, s16, 24
	s_mul_i32 s20, s16, 24
	s_add_i32 s19, s19, s18
	s_waitcnt vmcnt(0)
	v_add_co_u32 v10, vcc_lo, v6, s20
	v_add_co_ci_u32_e32 v11, vcc_lo, s19, v7, vcc_lo
	s_and_saveexec_b32 s18, s4
	s_cbranch_execz .LBB4_1112
; %bb.1111:
	v_mov_b32_e32 v4, s5
	v_mov_b32_e32 v13, v5
	;; [unrolled: 1-line block ×5, first 2 shown]
	global_store_dwordx4 v[10:11], v[12:15], off offset:8
.LBB4_1112:
	s_or_b32 exec_lo, exec_lo, s18
	s_lshl_b64 s[16:17], s[16:17], 12
	v_and_or_b32 v2, 0xffffff1d, v2, 34
	v_add_co_u32 v0, vcc_lo, v8, s16
	v_add_co_ci_u32_e32 v1, vcc_lo, s17, v9, vcc_lo
	s_mov_b32 s16, 0
	v_mov_b32_e32 v4, 58
	s_mov_b32 s17, s16
	s_mov_b32 s18, s16
	;; [unrolled: 1-line block ×3, first 2 shown]
	v_readfirstlane_b32 s20, v0
	v_readfirstlane_b32 s21, v1
	v_mov_b32_e32 v12, s16
	v_mov_b32_e32 v13, s17
	;; [unrolled: 1-line block ×4, first 2 shown]
	global_store_dwordx4 v31, v[2:5], s[20:21]
	global_store_dwordx4 v31, v[12:15], s[20:21] offset:16
	global_store_dwordx4 v31, v[12:15], s[20:21] offset:32
	global_store_dwordx4 v31, v[12:15], s[20:21] offset:48
	s_and_saveexec_b32 s5, s4
	s_cbranch_execz .LBB4_1120
; %bb.1113:
	v_mov_b32_e32 v8, 0
	v_mov_b32_e32 v12, s10
	;; [unrolled: 1-line block ×3, first 2 shown]
	s_clause 0x1
	global_load_dwordx2 v[14:15], v8, s[6:7] offset:32 glc dlc
	global_load_dwordx2 v[0:1], v8, s[6:7] offset:40
	s_waitcnt vmcnt(0)
	v_readfirstlane_b32 s16, v0
	v_readfirstlane_b32 s17, v1
	s_and_b64 s[16:17], s[16:17], s[10:11]
	s_mul_i32 s17, s17, 24
	s_mul_hi_u32 s18, s16, 24
	s_mul_i32 s16, s16, 24
	s_add_i32 s18, s18, s17
	v_add_co_u32 v4, vcc_lo, v6, s16
	v_add_co_ci_u32_e32 v5, vcc_lo, s18, v7, vcc_lo
	s_mov_b32 s16, exec_lo
	global_store_dwordx2 v[4:5], v[14:15], off
	s_waitcnt_vscnt null, 0x0
	global_atomic_cmpswap_x2 v[2:3], v8, v[12:15], s[6:7] offset:32 glc
	s_waitcnt vmcnt(0)
	v_cmpx_ne_u64_e64 v[2:3], v[14:15]
	s_cbranch_execz .LBB4_1116
; %bb.1114:
	s_mov_b32 s17, 0
.LBB4_1115:                             ; =>This Inner Loop Header: Depth=1
	v_mov_b32_e32 v0, s10
	v_mov_b32_e32 v1, s11
	s_sleep 1
	global_store_dwordx2 v[4:5], v[2:3], off
	s_waitcnt_vscnt null, 0x0
	global_atomic_cmpswap_x2 v[0:1], v8, v[0:3], s[6:7] offset:32 glc
	s_waitcnt vmcnt(0)
	v_cmp_eq_u64_e32 vcc_lo, v[0:1], v[2:3]
	v_mov_b32_e32 v3, v1
	v_mov_b32_e32 v2, v0
	s_or_b32 s17, vcc_lo, s17
	s_andn2_b32 exec_lo, exec_lo, s17
	s_cbranch_execnz .LBB4_1115
.LBB4_1116:
	s_or_b32 exec_lo, exec_lo, s16
	v_mov_b32_e32 v3, 0
	s_mov_b32 s17, exec_lo
	s_mov_b32 s16, exec_lo
	v_mbcnt_lo_u32_b32 v2, s17, 0
	global_load_dwordx2 v[0:1], v3, s[6:7] offset:16
	v_cmpx_eq_u32_e32 0, v2
	s_cbranch_execz .LBB4_1118
; %bb.1117:
	s_bcnt1_i32_b32 s17, s17
	v_mov_b32_e32 v2, s17
	s_waitcnt vmcnt(0)
	global_atomic_add_x2 v[0:1], v[2:3], off offset:8
.LBB4_1118:
	s_or_b32 exec_lo, exec_lo, s16
	s_waitcnt vmcnt(0)
	global_load_dwordx2 v[2:3], v[0:1], off offset:16
	s_waitcnt vmcnt(0)
	v_cmp_eq_u64_e32 vcc_lo, 0, v[2:3]
	s_cbranch_vccnz .LBB4_1120
; %bb.1119:
	global_load_dword v0, v[0:1], off offset:24
	v_mov_b32_e32 v1, 0
	s_waitcnt vmcnt(0)
	v_and_b32_e32 v4, 0x7fffff, v0
	s_waitcnt_vscnt null, 0x0
	global_store_dwordx2 v[2:3], v[0:1], off
	v_readfirstlane_b32 m0, v4
	s_sendmsg sendmsg(MSG_INTERRUPT)
.LBB4_1120:
	s_or_b32 exec_lo, exec_lo, s5
	s_branch .LBB4_1124
	.p2align	6
.LBB4_1121:                             ;   in Loop: Header=BB4_1124 Depth=1
	s_or_b32 exec_lo, exec_lo, s5
	v_readfirstlane_b32 s5, v0
	s_cmp_eq_u32 s5, 0
	s_cbranch_scc1 .LBB4_1123
; %bb.1122:                             ;   in Loop: Header=BB4_1124 Depth=1
	s_sleep 1
	s_cbranch_execnz .LBB4_1124
	s_branch .LBB4_1126
	.p2align	6
.LBB4_1123:
	s_branch .LBB4_1126
.LBB4_1124:                             ; =>This Inner Loop Header: Depth=1
	v_mov_b32_e32 v0, 1
	s_and_saveexec_b32 s5, s4
	s_cbranch_execz .LBB4_1121
; %bb.1125:                             ;   in Loop: Header=BB4_1124 Depth=1
	global_load_dword v0, v[10:11], off offset:20 glc dlc
	s_waitcnt vmcnt(0)
	buffer_gl1_inv
	buffer_gl0_inv
	v_and_b32_e32 v0, 1, v0
	s_branch .LBB4_1121
.LBB4_1126:
	s_and_saveexec_b32 s5, s4
	s_cbranch_execz .LBB4_1130
; %bb.1127:
	v_mov_b32_e32 v6, 0
	s_clause 0x2
	global_load_dwordx2 v[2:3], v6, s[6:7] offset:40
	global_load_dwordx2 v[7:8], v6, s[6:7] offset:24 glc dlc
	global_load_dwordx2 v[4:5], v6, s[6:7]
	s_waitcnt vmcnt(2)
	v_add_co_u32 v9, vcc_lo, v2, 1
	v_add_co_ci_u32_e32 v10, vcc_lo, 0, v3, vcc_lo
	v_add_co_u32 v0, vcc_lo, v9, s10
	v_add_co_ci_u32_e32 v1, vcc_lo, s11, v10, vcc_lo
	v_cmp_eq_u64_e32 vcc_lo, 0, v[0:1]
	v_cndmask_b32_e32 v1, v1, v10, vcc_lo
	v_cndmask_b32_e32 v0, v0, v9, vcc_lo
	v_and_b32_e32 v3, v1, v3
	v_and_b32_e32 v2, v0, v2
	v_mul_lo_u32 v3, v3, 24
	v_mul_hi_u32 v9, v2, 24
	v_mul_lo_u32 v2, v2, 24
	v_add_nc_u32_e32 v3, v9, v3
	s_waitcnt vmcnt(0)
	v_add_co_u32 v4, vcc_lo, v4, v2
	v_mov_b32_e32 v2, v7
	v_add_co_ci_u32_e32 v5, vcc_lo, v5, v3, vcc_lo
	v_mov_b32_e32 v3, v8
	global_store_dwordx2 v[4:5], v[7:8], off
	s_waitcnt_vscnt null, 0x0
	global_atomic_cmpswap_x2 v[2:3], v6, v[0:3], s[6:7] offset:24 glc
	s_waitcnt vmcnt(0)
	v_cmp_ne_u64_e32 vcc_lo, v[2:3], v[7:8]
	s_and_b32 exec_lo, exec_lo, vcc_lo
	s_cbranch_execz .LBB4_1130
; %bb.1128:
	s_mov_b32 s4, 0
.LBB4_1129:                             ; =>This Inner Loop Header: Depth=1
	s_sleep 1
	global_store_dwordx2 v[4:5], v[2:3], off
	s_waitcnt_vscnt null, 0x0
	global_atomic_cmpswap_x2 v[7:8], v6, v[0:3], s[6:7] offset:24 glc
	s_waitcnt vmcnt(0)
	v_cmp_eq_u64_e32 vcc_lo, v[7:8], v[2:3]
	v_mov_b32_e32 v2, v7
	v_mov_b32_e32 v3, v8
	s_or_b32 s4, vcc_lo, s4
	s_andn2_b32 exec_lo, exec_lo, s4
	s_cbranch_execnz .LBB4_1129
.LBB4_1130:
	s_or_b32 exec_lo, exec_lo, s5
	v_readfirstlane_b32 s4, v32
	v_mov_b32_e32 v6, 0
	v_mov_b32_e32 v7, 0
	v_cmp_eq_u32_e64 s4, s4, v32
	s_and_saveexec_b32 s5, s4
	s_cbranch_execz .LBB4_1136
; %bb.1131:
	v_mov_b32_e32 v0, 0
	s_mov_b32 s10, exec_lo
	global_load_dwordx2 v[3:4], v0, s[6:7] offset:24 glc dlc
	s_waitcnt vmcnt(0)
	buffer_gl1_inv
	buffer_gl0_inv
	s_clause 0x1
	global_load_dwordx2 v[1:2], v0, s[6:7] offset:40
	global_load_dwordx2 v[5:6], v0, s[6:7]
	s_waitcnt vmcnt(1)
	v_and_b32_e32 v2, v2, v4
	v_and_b32_e32 v1, v1, v3
	v_mul_lo_u32 v2, v2, 24
	v_mul_hi_u32 v7, v1, 24
	v_mul_lo_u32 v1, v1, 24
	v_add_nc_u32_e32 v2, v7, v2
	s_waitcnt vmcnt(0)
	v_add_co_u32 v1, vcc_lo, v5, v1
	v_add_co_ci_u32_e32 v2, vcc_lo, v6, v2, vcc_lo
	global_load_dwordx2 v[1:2], v[1:2], off glc dlc
	s_waitcnt vmcnt(0)
	global_atomic_cmpswap_x2 v[6:7], v0, v[1:4], s[6:7] offset:24 glc
	s_waitcnt vmcnt(0)
	buffer_gl1_inv
	buffer_gl0_inv
	v_cmpx_ne_u64_e64 v[6:7], v[3:4]
	s_cbranch_execz .LBB4_1135
; %bb.1132:
	s_mov_b32 s11, 0
	.p2align	6
.LBB4_1133:                             ; =>This Inner Loop Header: Depth=1
	s_sleep 1
	s_clause 0x1
	global_load_dwordx2 v[1:2], v0, s[6:7] offset:40
	global_load_dwordx2 v[8:9], v0, s[6:7]
	v_mov_b32_e32 v3, v6
	v_mov_b32_e32 v4, v7
	s_waitcnt vmcnt(1)
	v_and_b32_e32 v1, v1, v3
	v_and_b32_e32 v2, v2, v4
	s_waitcnt vmcnt(0)
	v_mad_u64_u32 v[5:6], null, v1, 24, v[8:9]
	v_mov_b32_e32 v1, v6
	v_mad_u64_u32 v[1:2], null, v2, 24, v[1:2]
	v_mov_b32_e32 v6, v1
	global_load_dwordx2 v[1:2], v[5:6], off glc dlc
	s_waitcnt vmcnt(0)
	global_atomic_cmpswap_x2 v[6:7], v0, v[1:4], s[6:7] offset:24 glc
	s_waitcnt vmcnt(0)
	buffer_gl1_inv
	buffer_gl0_inv
	v_cmp_eq_u64_e32 vcc_lo, v[6:7], v[3:4]
	s_or_b32 s11, vcc_lo, s11
	s_andn2_b32 exec_lo, exec_lo, s11
	s_cbranch_execnz .LBB4_1133
; %bb.1134:
	s_or_b32 exec_lo, exec_lo, s11
.LBB4_1135:
	s_or_b32 exec_lo, exec_lo, s10
.LBB4_1136:
	s_or_b32 exec_lo, exec_lo, s5
	v_mov_b32_e32 v5, 0
	v_readfirstlane_b32 s10, v6
	v_readfirstlane_b32 s11, v7
	s_mov_b32 s5, exec_lo
	s_clause 0x1
	global_load_dwordx2 v[8:9], v5, s[6:7] offset:40
	global_load_dwordx4 v[0:3], v5, s[6:7]
	s_waitcnt vmcnt(1)
	v_readfirstlane_b32 s16, v8
	v_readfirstlane_b32 s17, v9
	s_and_b64 s[16:17], s[10:11], s[16:17]
	s_mul_i32 s18, s17, 24
	s_mul_hi_u32 s19, s16, 24
	s_mul_i32 s20, s16, 24
	s_add_i32 s19, s19, s18
	s_waitcnt vmcnt(0)
	v_add_co_u32 v8, vcc_lo, v0, s20
	v_add_co_ci_u32_e32 v9, vcc_lo, s19, v1, vcc_lo
	s_and_saveexec_b32 s18, s4
	s_cbranch_execz .LBB4_1138
; %bb.1137:
	v_mov_b32_e32 v4, s5
	v_mov_b32_e32 v6, 2
	;; [unrolled: 1-line block ×3, first 2 shown]
	global_store_dwordx4 v[8:9], v[4:7], off offset:8
.LBB4_1138:
	s_or_b32 exec_lo, exec_lo, s18
	s_lshl_b64 s[16:17], s[16:17], 12
	v_mov_b32_e32 v4, 33
	v_add_co_u32 v2, vcc_lo, v2, s16
	v_add_co_ci_u32_e32 v3, vcc_lo, s17, v3, vcc_lo
	s_mov_b32 s16, 0
	v_add_co_u32 v10, vcc_lo, v2, v31
	s_mov_b32 s17, s16
	s_mov_b32 s18, s16
	;; [unrolled: 1-line block ×3, first 2 shown]
	v_mov_b32_e32 v6, v5
	v_mov_b32_e32 v7, v5
	v_readfirstlane_b32 s20, v2
	v_readfirstlane_b32 s21, v3
	v_mov_b32_e32 v12, s16
	v_add_co_ci_u32_e32 v11, vcc_lo, 0, v3, vcc_lo
	v_mov_b32_e32 v13, s17
	v_mov_b32_e32 v14, s18
	;; [unrolled: 1-line block ×3, first 2 shown]
	global_store_dwordx4 v31, v[4:7], s[20:21]
	global_store_dwordx4 v31, v[12:15], s[20:21] offset:16
	global_store_dwordx4 v31, v[12:15], s[20:21] offset:32
	;; [unrolled: 1-line block ×3, first 2 shown]
	s_and_saveexec_b32 s5, s4
	s_cbranch_execz .LBB4_1146
; %bb.1139:
	v_mov_b32_e32 v6, 0
	v_mov_b32_e32 v12, s10
	;; [unrolled: 1-line block ×3, first 2 shown]
	s_clause 0x1
	global_load_dwordx2 v[14:15], v6, s[6:7] offset:32 glc dlc
	global_load_dwordx2 v[2:3], v6, s[6:7] offset:40
	s_waitcnt vmcnt(0)
	v_readfirstlane_b32 s16, v2
	v_readfirstlane_b32 s17, v3
	s_and_b64 s[16:17], s[16:17], s[10:11]
	s_mul_i32 s17, s17, 24
	s_mul_hi_u32 s18, s16, 24
	s_mul_i32 s16, s16, 24
	s_add_i32 s18, s18, s17
	v_add_co_u32 v4, vcc_lo, v0, s16
	v_add_co_ci_u32_e32 v5, vcc_lo, s18, v1, vcc_lo
	s_mov_b32 s16, exec_lo
	global_store_dwordx2 v[4:5], v[14:15], off
	s_waitcnt_vscnt null, 0x0
	global_atomic_cmpswap_x2 v[2:3], v6, v[12:15], s[6:7] offset:32 glc
	s_waitcnt vmcnt(0)
	v_cmpx_ne_u64_e64 v[2:3], v[14:15]
	s_cbranch_execz .LBB4_1142
; %bb.1140:
	s_mov_b32 s17, 0
.LBB4_1141:                             ; =>This Inner Loop Header: Depth=1
	v_mov_b32_e32 v0, s10
	v_mov_b32_e32 v1, s11
	s_sleep 1
	global_store_dwordx2 v[4:5], v[2:3], off
	s_waitcnt_vscnt null, 0x0
	global_atomic_cmpswap_x2 v[0:1], v6, v[0:3], s[6:7] offset:32 glc
	s_waitcnt vmcnt(0)
	v_cmp_eq_u64_e32 vcc_lo, v[0:1], v[2:3]
	v_mov_b32_e32 v3, v1
	v_mov_b32_e32 v2, v0
	s_or_b32 s17, vcc_lo, s17
	s_andn2_b32 exec_lo, exec_lo, s17
	s_cbranch_execnz .LBB4_1141
.LBB4_1142:
	s_or_b32 exec_lo, exec_lo, s16
	v_mov_b32_e32 v3, 0
	s_mov_b32 s17, exec_lo
	s_mov_b32 s16, exec_lo
	v_mbcnt_lo_u32_b32 v2, s17, 0
	global_load_dwordx2 v[0:1], v3, s[6:7] offset:16
	v_cmpx_eq_u32_e32 0, v2
	s_cbranch_execz .LBB4_1144
; %bb.1143:
	s_bcnt1_i32_b32 s17, s17
	v_mov_b32_e32 v2, s17
	s_waitcnt vmcnt(0)
	global_atomic_add_x2 v[0:1], v[2:3], off offset:8
.LBB4_1144:
	s_or_b32 exec_lo, exec_lo, s16
	s_waitcnt vmcnt(0)
	global_load_dwordx2 v[2:3], v[0:1], off offset:16
	s_waitcnt vmcnt(0)
	v_cmp_eq_u64_e32 vcc_lo, 0, v[2:3]
	s_cbranch_vccnz .LBB4_1146
; %bb.1145:
	global_load_dword v0, v[0:1], off offset:24
	v_mov_b32_e32 v1, 0
	s_waitcnt vmcnt(0)
	v_and_b32_e32 v4, 0x7fffff, v0
	s_waitcnt_vscnt null, 0x0
	global_store_dwordx2 v[2:3], v[0:1], off
	v_readfirstlane_b32 m0, v4
	s_sendmsg sendmsg(MSG_INTERRUPT)
.LBB4_1146:
	s_or_b32 exec_lo, exec_lo, s5
	s_branch .LBB4_1150
	.p2align	6
.LBB4_1147:                             ;   in Loop: Header=BB4_1150 Depth=1
	s_or_b32 exec_lo, exec_lo, s5
	v_readfirstlane_b32 s5, v0
	s_cmp_eq_u32 s5, 0
	s_cbranch_scc1 .LBB4_1149
; %bb.1148:                             ;   in Loop: Header=BB4_1150 Depth=1
	s_sleep 1
	s_cbranch_execnz .LBB4_1150
	s_branch .LBB4_1152
	.p2align	6
.LBB4_1149:
	s_branch .LBB4_1152
.LBB4_1150:                             ; =>This Inner Loop Header: Depth=1
	v_mov_b32_e32 v0, 1
	s_and_saveexec_b32 s5, s4
	s_cbranch_execz .LBB4_1147
; %bb.1151:                             ;   in Loop: Header=BB4_1150 Depth=1
	global_load_dword v0, v[8:9], off offset:20 glc dlc
	s_waitcnt vmcnt(0)
	buffer_gl1_inv
	buffer_gl0_inv
	v_and_b32_e32 v0, 1, v0
	s_branch .LBB4_1147
.LBB4_1152:
	global_load_dwordx2 v[0:1], v[10:11], off
	s_and_saveexec_b32 s5, s4
	s_cbranch_execz .LBB4_1156
; %bb.1153:
	v_mov_b32_e32 v8, 0
	s_clause 0x2
	global_load_dwordx2 v[4:5], v8, s[6:7] offset:40
	global_load_dwordx2 v[9:10], v8, s[6:7] offset:24 glc dlc
	global_load_dwordx2 v[6:7], v8, s[6:7]
	s_waitcnt vmcnt(2)
	v_add_co_u32 v11, vcc_lo, v4, 1
	v_add_co_ci_u32_e32 v12, vcc_lo, 0, v5, vcc_lo
	v_add_co_u32 v2, vcc_lo, v11, s10
	v_add_co_ci_u32_e32 v3, vcc_lo, s11, v12, vcc_lo
	v_cmp_eq_u64_e32 vcc_lo, 0, v[2:3]
	v_cndmask_b32_e32 v3, v3, v12, vcc_lo
	v_cndmask_b32_e32 v2, v2, v11, vcc_lo
	v_and_b32_e32 v5, v3, v5
	v_and_b32_e32 v4, v2, v4
	v_mul_lo_u32 v5, v5, 24
	v_mul_hi_u32 v11, v4, 24
	v_mul_lo_u32 v4, v4, 24
	v_add_nc_u32_e32 v5, v11, v5
	s_waitcnt vmcnt(0)
	v_add_co_u32 v6, vcc_lo, v6, v4
	v_mov_b32_e32 v4, v9
	v_add_co_ci_u32_e32 v7, vcc_lo, v7, v5, vcc_lo
	v_mov_b32_e32 v5, v10
	global_store_dwordx2 v[6:7], v[9:10], off
	s_waitcnt_vscnt null, 0x0
	global_atomic_cmpswap_x2 v[4:5], v8, v[2:5], s[6:7] offset:24 glc
	s_waitcnt vmcnt(0)
	v_cmp_ne_u64_e32 vcc_lo, v[4:5], v[9:10]
	s_and_b32 exec_lo, exec_lo, vcc_lo
	s_cbranch_execz .LBB4_1156
; %bb.1154:
	s_mov_b32 s4, 0
.LBB4_1155:                             ; =>This Inner Loop Header: Depth=1
	s_sleep 1
	global_store_dwordx2 v[6:7], v[4:5], off
	s_waitcnt_vscnt null, 0x0
	global_atomic_cmpswap_x2 v[9:10], v8, v[2:5], s[6:7] offset:24 glc
	s_waitcnt vmcnt(0)
	v_cmp_eq_u64_e32 vcc_lo, v[9:10], v[4:5]
	v_mov_b32_e32 v4, v9
	v_mov_b32_e32 v5, v10
	s_or_b32 s4, vcc_lo, s4
	s_andn2_b32 exec_lo, exec_lo, s4
	s_cbranch_execnz .LBB4_1155
.LBB4_1156:
	s_or_b32 exec_lo, exec_lo, s5
	s_and_b32 vcc_lo, exec_lo, s24
	s_cbranch_vccz .LBB4_1235
; %bb.1157:
	s_waitcnt vmcnt(0)
	v_and_b32_e32 v33, 2, v0
	v_mov_b32_e32 v6, 0
	v_and_b32_e32 v2, -3, v0
	v_mov_b32_e32 v3, v1
	v_mov_b32_e32 v7, 2
	;; [unrolled: 1-line block ×3, first 2 shown]
	s_mov_b64 s[16:17], 3
	s_getpc_b64 s[10:11]
	s_add_u32 s10, s10, .str.6@rel32@lo+4
	s_addc_u32 s11, s11, .str.6@rel32@hi+12
	s_branch .LBB4_1159
.LBB4_1158:                             ;   in Loop: Header=BB4_1159 Depth=1
	s_or_b32 exec_lo, exec_lo, s5
	s_sub_u32 s16, s16, s18
	s_subb_u32 s17, s17, s19
	s_add_u32 s10, s10, s18
	s_addc_u32 s11, s11, s19
	s_cmp_lg_u64 s[16:17], 0
	s_cbranch_scc0 .LBB4_1234
.LBB4_1159:                             ; =>This Loop Header: Depth=1
                                        ;     Child Loop BB4_1168 Depth 2
                                        ;     Child Loop BB4_1164 Depth 2
	;; [unrolled: 1-line block ×11, first 2 shown]
	v_cmp_lt_u64_e64 s4, s[16:17], 56
	v_cmp_gt_u64_e64 s5, s[16:17], 7
                                        ; implicit-def: $vgpr11_vgpr12
                                        ; implicit-def: $sgpr24
	s_and_b32 s4, s4, exec_lo
	s_cselect_b32 s19, s17, 0
	s_cselect_b32 s18, s16, 56
	s_and_b32 vcc_lo, exec_lo, s5
	s_mov_b32 s4, -1
	s_cbranch_vccz .LBB4_1166
; %bb.1160:                             ;   in Loop: Header=BB4_1159 Depth=1
	s_andn2_b32 vcc_lo, exec_lo, s4
	s_mov_b64 s[4:5], s[10:11]
	s_cbranch_vccz .LBB4_1170
.LBB4_1161:                             ;   in Loop: Header=BB4_1159 Depth=1
	s_cmp_gt_u32 s24, 7
	s_cbranch_scc1 .LBB4_1171
.LBB4_1162:                             ;   in Loop: Header=BB4_1159 Depth=1
	v_mov_b32_e32 v13, 0
	v_mov_b32_e32 v14, 0
	s_cmp_eq_u32 s24, 0
	s_cbranch_scc1 .LBB4_1165
; %bb.1163:                             ;   in Loop: Header=BB4_1159 Depth=1
	s_mov_b64 s[20:21], 0
	s_mov_b64 s[22:23], 0
.LBB4_1164:                             ;   Parent Loop BB4_1159 Depth=1
                                        ; =>  This Inner Loop Header: Depth=2
	s_add_u32 s26, s4, s22
	s_addc_u32 s27, s5, s23
	s_add_u32 s22, s22, 1
	global_load_ubyte v4, v6, s[26:27]
	s_addc_u32 s23, s23, 0
	s_waitcnt vmcnt(0)
	v_and_b32_e32 v5, 0xffff, v4
	v_lshlrev_b64 v[4:5], s20, v[5:6]
	s_add_u32 s20, s20, 8
	s_addc_u32 s21, s21, 0
	s_cmp_lg_u32 s24, s22
	v_or_b32_e32 v13, v4, v13
	v_or_b32_e32 v14, v5, v14
	s_cbranch_scc1 .LBB4_1164
.LBB4_1165:                             ;   in Loop: Header=BB4_1159 Depth=1
	s_mov_b32 s25, 0
	s_cbranch_execz .LBB4_1172
	s_branch .LBB4_1173
.LBB4_1166:                             ;   in Loop: Header=BB4_1159 Depth=1
	v_mov_b32_e32 v11, 0
	v_mov_b32_e32 v12, 0
	s_cmp_eq_u64 s[16:17], 0
	s_mov_b64 s[4:5], 0
	s_cbranch_scc1 .LBB4_1169
; %bb.1167:                             ;   in Loop: Header=BB4_1159 Depth=1
	v_mov_b32_e32 v11, 0
	v_mov_b32_e32 v12, 0
	s_lshl_b64 s[20:21], s[18:19], 3
	s_mov_b64 s[22:23], s[10:11]
.LBB4_1168:                             ;   Parent Loop BB4_1159 Depth=1
                                        ; =>  This Inner Loop Header: Depth=2
	global_load_ubyte v4, v6, s[22:23]
	s_waitcnt vmcnt(0)
	v_and_b32_e32 v5, 0xffff, v4
	v_lshlrev_b64 v[4:5], s4, v[5:6]
	s_add_u32 s4, s4, 8
	s_addc_u32 s5, s5, 0
	s_add_u32 s22, s22, 1
	s_addc_u32 s23, s23, 0
	s_cmp_lg_u32 s20, s4
	v_or_b32_e32 v11, v4, v11
	v_or_b32_e32 v12, v5, v12
	s_cbranch_scc1 .LBB4_1168
.LBB4_1169:                             ;   in Loop: Header=BB4_1159 Depth=1
	s_mov_b32 s24, 0
	s_mov_b64 s[4:5], s[10:11]
	s_cbranch_execnz .LBB4_1161
.LBB4_1170:                             ;   in Loop: Header=BB4_1159 Depth=1
	global_load_dwordx2 v[11:12], v6, s[10:11]
	s_add_i32 s24, s18, -8
	s_add_u32 s4, s10, 8
	s_addc_u32 s5, s11, 0
	s_cmp_gt_u32 s24, 7
	s_cbranch_scc0 .LBB4_1162
.LBB4_1171:                             ;   in Loop: Header=BB4_1159 Depth=1
                                        ; implicit-def: $vgpr13_vgpr14
                                        ; implicit-def: $sgpr25
.LBB4_1172:                             ;   in Loop: Header=BB4_1159 Depth=1
	global_load_dwordx2 v[13:14], v6, s[4:5]
	s_add_i32 s25, s24, -8
	s_add_u32 s4, s4, 8
	s_addc_u32 s5, s5, 0
.LBB4_1173:                             ;   in Loop: Header=BB4_1159 Depth=1
	s_cmp_gt_u32 s25, 7
	s_cbranch_scc1 .LBB4_1178
; %bb.1174:                             ;   in Loop: Header=BB4_1159 Depth=1
	v_mov_b32_e32 v15, 0
	v_mov_b32_e32 v16, 0
	s_cmp_eq_u32 s25, 0
	s_cbranch_scc1 .LBB4_1177
; %bb.1175:                             ;   in Loop: Header=BB4_1159 Depth=1
	s_mov_b64 s[20:21], 0
	s_mov_b64 s[22:23], 0
.LBB4_1176:                             ;   Parent Loop BB4_1159 Depth=1
                                        ; =>  This Inner Loop Header: Depth=2
	s_add_u32 s26, s4, s22
	s_addc_u32 s27, s5, s23
	s_add_u32 s22, s22, 1
	global_load_ubyte v4, v6, s[26:27]
	s_addc_u32 s23, s23, 0
	s_waitcnt vmcnt(0)
	v_and_b32_e32 v5, 0xffff, v4
	v_lshlrev_b64 v[4:5], s20, v[5:6]
	s_add_u32 s20, s20, 8
	s_addc_u32 s21, s21, 0
	s_cmp_lg_u32 s25, s22
	v_or_b32_e32 v15, v4, v15
	v_or_b32_e32 v16, v5, v16
	s_cbranch_scc1 .LBB4_1176
.LBB4_1177:                             ;   in Loop: Header=BB4_1159 Depth=1
	s_mov_b32 s24, 0
	s_cbranch_execz .LBB4_1179
	s_branch .LBB4_1180
.LBB4_1178:                             ;   in Loop: Header=BB4_1159 Depth=1
                                        ; implicit-def: $sgpr24
.LBB4_1179:                             ;   in Loop: Header=BB4_1159 Depth=1
	global_load_dwordx2 v[15:16], v6, s[4:5]
	s_add_i32 s24, s25, -8
	s_add_u32 s4, s4, 8
	s_addc_u32 s5, s5, 0
.LBB4_1180:                             ;   in Loop: Header=BB4_1159 Depth=1
	s_cmp_gt_u32 s24, 7
	s_cbranch_scc1 .LBB4_1185
; %bb.1181:                             ;   in Loop: Header=BB4_1159 Depth=1
	v_mov_b32_e32 v17, 0
	v_mov_b32_e32 v18, 0
	s_cmp_eq_u32 s24, 0
	s_cbranch_scc1 .LBB4_1184
; %bb.1182:                             ;   in Loop: Header=BB4_1159 Depth=1
	s_mov_b64 s[20:21], 0
	s_mov_b64 s[22:23], 0
.LBB4_1183:                             ;   Parent Loop BB4_1159 Depth=1
                                        ; =>  This Inner Loop Header: Depth=2
	s_add_u32 s26, s4, s22
	s_addc_u32 s27, s5, s23
	s_add_u32 s22, s22, 1
	global_load_ubyte v4, v6, s[26:27]
	s_addc_u32 s23, s23, 0
	s_waitcnt vmcnt(0)
	v_and_b32_e32 v5, 0xffff, v4
	v_lshlrev_b64 v[4:5], s20, v[5:6]
	s_add_u32 s20, s20, 8
	s_addc_u32 s21, s21, 0
	s_cmp_lg_u32 s24, s22
	v_or_b32_e32 v17, v4, v17
	v_or_b32_e32 v18, v5, v18
	s_cbranch_scc1 .LBB4_1183
.LBB4_1184:                             ;   in Loop: Header=BB4_1159 Depth=1
	s_mov_b32 s25, 0
	s_cbranch_execz .LBB4_1186
	s_branch .LBB4_1187
.LBB4_1185:                             ;   in Loop: Header=BB4_1159 Depth=1
                                        ; implicit-def: $vgpr17_vgpr18
                                        ; implicit-def: $sgpr25
.LBB4_1186:                             ;   in Loop: Header=BB4_1159 Depth=1
	global_load_dwordx2 v[17:18], v6, s[4:5]
	s_add_i32 s25, s24, -8
	s_add_u32 s4, s4, 8
	s_addc_u32 s5, s5, 0
.LBB4_1187:                             ;   in Loop: Header=BB4_1159 Depth=1
	s_cmp_gt_u32 s25, 7
	s_cbranch_scc1 .LBB4_1192
; %bb.1188:                             ;   in Loop: Header=BB4_1159 Depth=1
	v_mov_b32_e32 v19, 0
	v_mov_b32_e32 v20, 0
	s_cmp_eq_u32 s25, 0
	s_cbranch_scc1 .LBB4_1191
; %bb.1189:                             ;   in Loop: Header=BB4_1159 Depth=1
	s_mov_b64 s[20:21], 0
	s_mov_b64 s[22:23], 0
.LBB4_1190:                             ;   Parent Loop BB4_1159 Depth=1
                                        ; =>  This Inner Loop Header: Depth=2
	s_add_u32 s26, s4, s22
	s_addc_u32 s27, s5, s23
	s_add_u32 s22, s22, 1
	global_load_ubyte v4, v6, s[26:27]
	s_addc_u32 s23, s23, 0
	s_waitcnt vmcnt(0)
	v_and_b32_e32 v5, 0xffff, v4
	v_lshlrev_b64 v[4:5], s20, v[5:6]
	s_add_u32 s20, s20, 8
	s_addc_u32 s21, s21, 0
	s_cmp_lg_u32 s25, s22
	v_or_b32_e32 v19, v4, v19
	v_or_b32_e32 v20, v5, v20
	s_cbranch_scc1 .LBB4_1190
.LBB4_1191:                             ;   in Loop: Header=BB4_1159 Depth=1
	s_mov_b32 s24, 0
	s_cbranch_execz .LBB4_1193
	s_branch .LBB4_1194
.LBB4_1192:                             ;   in Loop: Header=BB4_1159 Depth=1
                                        ; implicit-def: $sgpr24
.LBB4_1193:                             ;   in Loop: Header=BB4_1159 Depth=1
	global_load_dwordx2 v[19:20], v6, s[4:5]
	s_add_i32 s24, s25, -8
	s_add_u32 s4, s4, 8
	s_addc_u32 s5, s5, 0
.LBB4_1194:                             ;   in Loop: Header=BB4_1159 Depth=1
	s_cmp_gt_u32 s24, 7
	s_cbranch_scc1 .LBB4_1199
; %bb.1195:                             ;   in Loop: Header=BB4_1159 Depth=1
	v_mov_b32_e32 v21, 0
	v_mov_b32_e32 v22, 0
	s_cmp_eq_u32 s24, 0
	s_cbranch_scc1 .LBB4_1198
; %bb.1196:                             ;   in Loop: Header=BB4_1159 Depth=1
	s_mov_b64 s[20:21], 0
	s_mov_b64 s[22:23], 0
.LBB4_1197:                             ;   Parent Loop BB4_1159 Depth=1
                                        ; =>  This Inner Loop Header: Depth=2
	s_add_u32 s26, s4, s22
	s_addc_u32 s27, s5, s23
	s_add_u32 s22, s22, 1
	global_load_ubyte v4, v6, s[26:27]
	s_addc_u32 s23, s23, 0
	s_waitcnt vmcnt(0)
	v_and_b32_e32 v5, 0xffff, v4
	v_lshlrev_b64 v[4:5], s20, v[5:6]
	s_add_u32 s20, s20, 8
	s_addc_u32 s21, s21, 0
	s_cmp_lg_u32 s24, s22
	v_or_b32_e32 v21, v4, v21
	v_or_b32_e32 v22, v5, v22
	s_cbranch_scc1 .LBB4_1197
.LBB4_1198:                             ;   in Loop: Header=BB4_1159 Depth=1
	s_mov_b32 s25, 0
	s_cbranch_execz .LBB4_1200
	s_branch .LBB4_1201
.LBB4_1199:                             ;   in Loop: Header=BB4_1159 Depth=1
                                        ; implicit-def: $vgpr21_vgpr22
                                        ; implicit-def: $sgpr25
.LBB4_1200:                             ;   in Loop: Header=BB4_1159 Depth=1
	global_load_dwordx2 v[21:22], v6, s[4:5]
	s_add_i32 s25, s24, -8
	s_add_u32 s4, s4, 8
	s_addc_u32 s5, s5, 0
.LBB4_1201:                             ;   in Loop: Header=BB4_1159 Depth=1
	s_cmp_gt_u32 s25, 7
	s_cbranch_scc1 .LBB4_1206
; %bb.1202:                             ;   in Loop: Header=BB4_1159 Depth=1
	v_mov_b32_e32 v23, 0
	v_mov_b32_e32 v24, 0
	s_cmp_eq_u32 s25, 0
	s_cbranch_scc1 .LBB4_1205
; %bb.1203:                             ;   in Loop: Header=BB4_1159 Depth=1
	s_mov_b64 s[20:21], 0
	s_mov_b64 s[22:23], s[4:5]
.LBB4_1204:                             ;   Parent Loop BB4_1159 Depth=1
                                        ; =>  This Inner Loop Header: Depth=2
	global_load_ubyte v4, v6, s[22:23]
	s_add_i32 s25, s25, -1
	s_waitcnt vmcnt(0)
	v_and_b32_e32 v5, 0xffff, v4
	v_lshlrev_b64 v[4:5], s20, v[5:6]
	s_add_u32 s20, s20, 8
	s_addc_u32 s21, s21, 0
	s_add_u32 s22, s22, 1
	s_addc_u32 s23, s23, 0
	s_cmp_lg_u32 s25, 0
	v_or_b32_e32 v23, v4, v23
	v_or_b32_e32 v24, v5, v24
	s_cbranch_scc1 .LBB4_1204
.LBB4_1205:                             ;   in Loop: Header=BB4_1159 Depth=1
	s_cbranch_execz .LBB4_1207
	s_branch .LBB4_1208
.LBB4_1206:                             ;   in Loop: Header=BB4_1159 Depth=1
.LBB4_1207:                             ;   in Loop: Header=BB4_1159 Depth=1
	global_load_dwordx2 v[23:24], v6, s[4:5]
.LBB4_1208:                             ;   in Loop: Header=BB4_1159 Depth=1
	v_readfirstlane_b32 s4, v32
	s_waitcnt vmcnt(0)
	v_mov_b32_e32 v4, 0
	v_mov_b32_e32 v5, 0
	v_cmp_eq_u32_e64 s4, s4, v32
	s_and_saveexec_b32 s5, s4
	s_cbranch_execz .LBB4_1214
; %bb.1209:                             ;   in Loop: Header=BB4_1159 Depth=1
	global_load_dwordx2 v[27:28], v6, s[6:7] offset:24 glc dlc
	s_waitcnt vmcnt(0)
	buffer_gl1_inv
	buffer_gl0_inv
	s_clause 0x1
	global_load_dwordx2 v[4:5], v6, s[6:7] offset:40
	global_load_dwordx2 v[9:10], v6, s[6:7]
	s_mov_b32 s20, exec_lo
	s_waitcnt vmcnt(1)
	v_and_b32_e32 v5, v5, v28
	v_and_b32_e32 v4, v4, v27
	v_mul_lo_u32 v5, v5, 24
	v_mul_hi_u32 v25, v4, 24
	v_mul_lo_u32 v4, v4, 24
	v_add_nc_u32_e32 v5, v25, v5
	s_waitcnt vmcnt(0)
	v_add_co_u32 v4, vcc_lo, v9, v4
	v_add_co_ci_u32_e32 v5, vcc_lo, v10, v5, vcc_lo
	global_load_dwordx2 v[25:26], v[4:5], off glc dlc
	s_waitcnt vmcnt(0)
	global_atomic_cmpswap_x2 v[4:5], v6, v[25:28], s[6:7] offset:24 glc
	s_waitcnt vmcnt(0)
	buffer_gl1_inv
	buffer_gl0_inv
	v_cmpx_ne_u64_e64 v[4:5], v[27:28]
	s_cbranch_execz .LBB4_1213
; %bb.1210:                             ;   in Loop: Header=BB4_1159 Depth=1
	s_mov_b32 s21, 0
	.p2align	6
.LBB4_1211:                             ;   Parent Loop BB4_1159 Depth=1
                                        ; =>  This Inner Loop Header: Depth=2
	s_sleep 1
	s_clause 0x1
	global_load_dwordx2 v[9:10], v6, s[6:7] offset:40
	global_load_dwordx2 v[25:26], v6, s[6:7]
	v_mov_b32_e32 v28, v5
	v_mov_b32_e32 v27, v4
	s_waitcnt vmcnt(1)
	v_and_b32_e32 v4, v9, v27
	v_and_b32_e32 v9, v10, v28
	s_waitcnt vmcnt(0)
	v_mad_u64_u32 v[4:5], null, v4, 24, v[25:26]
	v_mad_u64_u32 v[9:10], null, v9, 24, v[5:6]
	v_mov_b32_e32 v5, v9
	global_load_dwordx2 v[25:26], v[4:5], off glc dlc
	s_waitcnt vmcnt(0)
	global_atomic_cmpswap_x2 v[4:5], v6, v[25:28], s[6:7] offset:24 glc
	s_waitcnt vmcnt(0)
	buffer_gl1_inv
	buffer_gl0_inv
	v_cmp_eq_u64_e32 vcc_lo, v[4:5], v[27:28]
	s_or_b32 s21, vcc_lo, s21
	s_andn2_b32 exec_lo, exec_lo, s21
	s_cbranch_execnz .LBB4_1211
; %bb.1212:                             ;   in Loop: Header=BB4_1159 Depth=1
	s_or_b32 exec_lo, exec_lo, s21
.LBB4_1213:                             ;   in Loop: Header=BB4_1159 Depth=1
	s_or_b32 exec_lo, exec_lo, s20
.LBB4_1214:                             ;   in Loop: Header=BB4_1159 Depth=1
	s_or_b32 exec_lo, exec_lo, s5
	s_clause 0x1
	global_load_dwordx2 v[9:10], v6, s[6:7] offset:40
	global_load_dwordx4 v[25:28], v6, s[6:7]
	v_readfirstlane_b32 s20, v4
	v_readfirstlane_b32 s21, v5
	s_mov_b32 s5, exec_lo
	s_waitcnt vmcnt(1)
	v_readfirstlane_b32 s22, v9
	v_readfirstlane_b32 s23, v10
	s_and_b64 s[22:23], s[20:21], s[22:23]
	s_mul_i32 s24, s23, 24
	s_mul_hi_u32 s25, s22, 24
	s_mul_i32 s26, s22, 24
	s_add_i32 s25, s25, s24
	s_waitcnt vmcnt(0)
	v_add_co_u32 v29, vcc_lo, v25, s26
	v_add_co_ci_u32_e32 v30, vcc_lo, s25, v26, vcc_lo
	s_and_saveexec_b32 s24, s4
	s_cbranch_execz .LBB4_1216
; %bb.1215:                             ;   in Loop: Header=BB4_1159 Depth=1
	v_mov_b32_e32 v5, s5
	global_store_dwordx4 v[29:30], v[5:8], off offset:8
.LBB4_1216:                             ;   in Loop: Header=BB4_1159 Depth=1
	s_or_b32 exec_lo, exec_lo, s24
	s_lshl_b64 s[22:23], s[22:23], 12
	v_cmp_gt_u64_e64 vcc_lo, s[16:17], 56
	v_or_b32_e32 v5, v2, v33
	v_add_co_u32 v27, s5, v27, s22
	v_add_co_ci_u32_e64 v28, s5, s23, v28, s5
	s_lshl_b32 s5, s18, 2
	v_or_b32_e32 v4, 0, v3
	v_cndmask_b32_e32 v2, v5, v2, vcc_lo
	s_add_i32 s5, s5, 28
	v_readfirstlane_b32 s22, v27
	s_and_b32 s5, s5, 0x1e0
	v_cndmask_b32_e32 v10, v4, v3, vcc_lo
	v_readfirstlane_b32 s23, v28
	v_and_or_b32 v9, 0xffffff1f, v2, s5
	global_store_dwordx4 v31, v[9:12], s[22:23]
	global_store_dwordx4 v31, v[13:16], s[22:23] offset:16
	global_store_dwordx4 v31, v[17:20], s[22:23] offset:32
	;; [unrolled: 1-line block ×3, first 2 shown]
	s_and_saveexec_b32 s5, s4
	s_cbranch_execz .LBB4_1224
; %bb.1217:                             ;   in Loop: Header=BB4_1159 Depth=1
	s_clause 0x1
	global_load_dwordx2 v[13:14], v6, s[6:7] offset:32 glc dlc
	global_load_dwordx2 v[2:3], v6, s[6:7] offset:40
	v_mov_b32_e32 v11, s20
	v_mov_b32_e32 v12, s21
	s_waitcnt vmcnt(0)
	v_readfirstlane_b32 s22, v2
	v_readfirstlane_b32 s23, v3
	s_and_b64 s[22:23], s[22:23], s[20:21]
	s_mul_i32 s23, s23, 24
	s_mul_hi_u32 s24, s22, 24
	s_mul_i32 s22, s22, 24
	s_add_i32 s24, s24, s23
	v_add_co_u32 v9, vcc_lo, v25, s22
	v_add_co_ci_u32_e32 v10, vcc_lo, s24, v26, vcc_lo
	s_mov_b32 s22, exec_lo
	global_store_dwordx2 v[9:10], v[13:14], off
	s_waitcnt_vscnt null, 0x0
	global_atomic_cmpswap_x2 v[4:5], v6, v[11:14], s[6:7] offset:32 glc
	s_waitcnt vmcnt(0)
	v_cmpx_ne_u64_e64 v[4:5], v[13:14]
	s_cbranch_execz .LBB4_1220
; %bb.1218:                             ;   in Loop: Header=BB4_1159 Depth=1
	s_mov_b32 s23, 0
.LBB4_1219:                             ;   Parent Loop BB4_1159 Depth=1
                                        ; =>  This Inner Loop Header: Depth=2
	v_mov_b32_e32 v2, s20
	v_mov_b32_e32 v3, s21
	s_sleep 1
	global_store_dwordx2 v[9:10], v[4:5], off
	s_waitcnt_vscnt null, 0x0
	global_atomic_cmpswap_x2 v[2:3], v6, v[2:5], s[6:7] offset:32 glc
	s_waitcnt vmcnt(0)
	v_cmp_eq_u64_e32 vcc_lo, v[2:3], v[4:5]
	v_mov_b32_e32 v5, v3
	v_mov_b32_e32 v4, v2
	s_or_b32 s23, vcc_lo, s23
	s_andn2_b32 exec_lo, exec_lo, s23
	s_cbranch_execnz .LBB4_1219
.LBB4_1220:                             ;   in Loop: Header=BB4_1159 Depth=1
	s_or_b32 exec_lo, exec_lo, s22
	global_load_dwordx2 v[2:3], v6, s[6:7] offset:16
	s_mov_b32 s23, exec_lo
	s_mov_b32 s22, exec_lo
	v_mbcnt_lo_u32_b32 v4, s23, 0
	v_cmpx_eq_u32_e32 0, v4
	s_cbranch_execz .LBB4_1222
; %bb.1221:                             ;   in Loop: Header=BB4_1159 Depth=1
	s_bcnt1_i32_b32 s23, s23
	v_mov_b32_e32 v5, s23
	s_waitcnt vmcnt(0)
	global_atomic_add_x2 v[2:3], v[5:6], off offset:8
.LBB4_1222:                             ;   in Loop: Header=BB4_1159 Depth=1
	s_or_b32 exec_lo, exec_lo, s22
	s_waitcnt vmcnt(0)
	global_load_dwordx2 v[9:10], v[2:3], off offset:16
	s_waitcnt vmcnt(0)
	v_cmp_eq_u64_e32 vcc_lo, 0, v[9:10]
	s_cbranch_vccnz .LBB4_1224
; %bb.1223:                             ;   in Loop: Header=BB4_1159 Depth=1
	global_load_dword v5, v[2:3], off offset:24
	s_waitcnt vmcnt(0)
	v_and_b32_e32 v2, 0x7fffff, v5
	s_waitcnt_vscnt null, 0x0
	global_store_dwordx2 v[9:10], v[5:6], off
	v_readfirstlane_b32 m0, v2
	s_sendmsg sendmsg(MSG_INTERRUPT)
.LBB4_1224:                             ;   in Loop: Header=BB4_1159 Depth=1
	s_or_b32 exec_lo, exec_lo, s5
	v_add_co_u32 v2, vcc_lo, v27, v31
	v_add_co_ci_u32_e32 v3, vcc_lo, 0, v28, vcc_lo
	s_branch .LBB4_1228
	.p2align	6
.LBB4_1225:                             ;   in Loop: Header=BB4_1228 Depth=2
	s_or_b32 exec_lo, exec_lo, s5
	v_readfirstlane_b32 s5, v4
	s_cmp_eq_u32 s5, 0
	s_cbranch_scc1 .LBB4_1227
; %bb.1226:                             ;   in Loop: Header=BB4_1228 Depth=2
	s_sleep 1
	s_cbranch_execnz .LBB4_1228
	s_branch .LBB4_1230
	.p2align	6
.LBB4_1227:                             ;   in Loop: Header=BB4_1159 Depth=1
	s_branch .LBB4_1230
.LBB4_1228:                             ;   Parent Loop BB4_1159 Depth=1
                                        ; =>  This Inner Loop Header: Depth=2
	v_mov_b32_e32 v4, 1
	s_and_saveexec_b32 s5, s4
	s_cbranch_execz .LBB4_1225
; %bb.1229:                             ;   in Loop: Header=BB4_1228 Depth=2
	global_load_dword v4, v[29:30], off offset:20 glc dlc
	s_waitcnt vmcnt(0)
	buffer_gl1_inv
	buffer_gl0_inv
	v_and_b32_e32 v4, 1, v4
	s_branch .LBB4_1225
.LBB4_1230:                             ;   in Loop: Header=BB4_1159 Depth=1
	global_load_dwordx4 v[2:5], v[2:3], off
	s_and_saveexec_b32 s5, s4
	s_cbranch_execz .LBB4_1158
; %bb.1231:                             ;   in Loop: Header=BB4_1159 Depth=1
	s_clause 0x2
	global_load_dwordx2 v[4:5], v6, s[6:7] offset:40
	global_load_dwordx2 v[13:14], v6, s[6:7] offset:24 glc dlc
	global_load_dwordx2 v[11:12], v6, s[6:7]
	s_waitcnt vmcnt(2)
	v_add_co_u32 v15, vcc_lo, v4, 1
	v_add_co_ci_u32_e32 v16, vcc_lo, 0, v5, vcc_lo
	v_add_co_u32 v9, vcc_lo, v15, s20
	v_add_co_ci_u32_e32 v10, vcc_lo, s21, v16, vcc_lo
	v_cmp_eq_u64_e32 vcc_lo, 0, v[9:10]
	v_cndmask_b32_e32 v10, v10, v16, vcc_lo
	v_cndmask_b32_e32 v9, v9, v15, vcc_lo
	v_and_b32_e32 v5, v10, v5
	v_and_b32_e32 v4, v9, v4
	v_mul_lo_u32 v5, v5, 24
	v_mul_hi_u32 v15, v4, 24
	v_mul_lo_u32 v4, v4, 24
	v_add_nc_u32_e32 v5, v15, v5
	s_waitcnt vmcnt(0)
	v_add_co_u32 v4, vcc_lo, v11, v4
	v_mov_b32_e32 v11, v13
	v_add_co_ci_u32_e32 v5, vcc_lo, v12, v5, vcc_lo
	v_mov_b32_e32 v12, v14
	global_store_dwordx2 v[4:5], v[13:14], off
	s_waitcnt_vscnt null, 0x0
	global_atomic_cmpswap_x2 v[11:12], v6, v[9:12], s[6:7] offset:24 glc
	s_waitcnt vmcnt(0)
	v_cmp_ne_u64_e32 vcc_lo, v[11:12], v[13:14]
	s_and_b32 exec_lo, exec_lo, vcc_lo
	s_cbranch_execz .LBB4_1158
; %bb.1232:                             ;   in Loop: Header=BB4_1159 Depth=1
	s_mov_b32 s4, 0
.LBB4_1233:                             ;   Parent Loop BB4_1159 Depth=1
                                        ; =>  This Inner Loop Header: Depth=2
	s_sleep 1
	global_store_dwordx2 v[4:5], v[11:12], off
	s_waitcnt_vscnt null, 0x0
	global_atomic_cmpswap_x2 v[13:14], v6, v[9:12], s[6:7] offset:24 glc
	s_waitcnt vmcnt(0)
	v_cmp_eq_u64_e32 vcc_lo, v[13:14], v[11:12]
	v_mov_b32_e32 v11, v13
	v_mov_b32_e32 v12, v14
	s_or_b32 s4, vcc_lo, s4
	s_andn2_b32 exec_lo, exec_lo, s4
	s_cbranch_execnz .LBB4_1233
	s_branch .LBB4_1158
.LBB4_1234:
	s_branch .LBB4_1263
.LBB4_1235:
                                        ; implicit-def: $vgpr2_vgpr3
	s_cbranch_execz .LBB4_1263
; %bb.1236:
	v_readfirstlane_b32 s4, v32
	v_mov_b32_e32 v8, 0
	v_mov_b32_e32 v9, 0
	v_cmp_eq_u32_e64 s4, s4, v32
	s_and_saveexec_b32 s5, s4
	s_cbranch_execz .LBB4_1242
; %bb.1237:
	s_waitcnt vmcnt(0)
	v_mov_b32_e32 v2, 0
	s_mov_b32 s10, exec_lo
	global_load_dwordx2 v[5:6], v2, s[6:7] offset:24 glc dlc
	s_waitcnt vmcnt(0)
	buffer_gl1_inv
	buffer_gl0_inv
	s_clause 0x1
	global_load_dwordx2 v[3:4], v2, s[6:7] offset:40
	global_load_dwordx2 v[7:8], v2, s[6:7]
	s_waitcnt vmcnt(1)
	v_and_b32_e32 v4, v4, v6
	v_and_b32_e32 v3, v3, v5
	v_mul_lo_u32 v4, v4, 24
	v_mul_hi_u32 v9, v3, 24
	v_mul_lo_u32 v3, v3, 24
	v_add_nc_u32_e32 v4, v9, v4
	s_waitcnt vmcnt(0)
	v_add_co_u32 v3, vcc_lo, v7, v3
	v_add_co_ci_u32_e32 v4, vcc_lo, v8, v4, vcc_lo
	global_load_dwordx2 v[3:4], v[3:4], off glc dlc
	s_waitcnt vmcnt(0)
	global_atomic_cmpswap_x2 v[8:9], v2, v[3:6], s[6:7] offset:24 glc
	s_waitcnt vmcnt(0)
	buffer_gl1_inv
	buffer_gl0_inv
	v_cmpx_ne_u64_e64 v[8:9], v[5:6]
	s_cbranch_execz .LBB4_1241
; %bb.1238:
	s_mov_b32 s11, 0
	.p2align	6
.LBB4_1239:                             ; =>This Inner Loop Header: Depth=1
	s_sleep 1
	s_clause 0x1
	global_load_dwordx2 v[3:4], v2, s[6:7] offset:40
	global_load_dwordx2 v[10:11], v2, s[6:7]
	v_mov_b32_e32 v5, v8
	v_mov_b32_e32 v6, v9
	s_waitcnt vmcnt(1)
	v_and_b32_e32 v3, v3, v5
	v_and_b32_e32 v4, v4, v6
	s_waitcnt vmcnt(0)
	v_mad_u64_u32 v[7:8], null, v3, 24, v[10:11]
	v_mov_b32_e32 v3, v8
	v_mad_u64_u32 v[3:4], null, v4, 24, v[3:4]
	v_mov_b32_e32 v8, v3
	global_load_dwordx2 v[3:4], v[7:8], off glc dlc
	s_waitcnt vmcnt(0)
	global_atomic_cmpswap_x2 v[8:9], v2, v[3:6], s[6:7] offset:24 glc
	s_waitcnt vmcnt(0)
	buffer_gl1_inv
	buffer_gl0_inv
	v_cmp_eq_u64_e32 vcc_lo, v[8:9], v[5:6]
	s_or_b32 s11, vcc_lo, s11
	s_andn2_b32 exec_lo, exec_lo, s11
	s_cbranch_execnz .LBB4_1239
; %bb.1240:
	s_or_b32 exec_lo, exec_lo, s11
.LBB4_1241:
	s_or_b32 exec_lo, exec_lo, s10
.LBB4_1242:
	s_or_b32 exec_lo, exec_lo, s5
	s_waitcnt vmcnt(0)
	v_mov_b32_e32 v2, 0
	v_readfirstlane_b32 s10, v8
	v_readfirstlane_b32 s11, v9
	s_mov_b32 s5, exec_lo
	s_clause 0x1
	global_load_dwordx2 v[10:11], v2, s[6:7] offset:40
	global_load_dwordx4 v[4:7], v2, s[6:7]
	s_waitcnt vmcnt(1)
	v_readfirstlane_b32 s16, v10
	v_readfirstlane_b32 s17, v11
	s_and_b64 s[16:17], s[10:11], s[16:17]
	s_mul_i32 s18, s17, 24
	s_mul_hi_u32 s19, s16, 24
	s_mul_i32 s20, s16, 24
	s_add_i32 s19, s19, s18
	s_waitcnt vmcnt(0)
	v_add_co_u32 v8, vcc_lo, v4, s20
	v_add_co_ci_u32_e32 v9, vcc_lo, s19, v5, vcc_lo
	s_and_saveexec_b32 s18, s4
	s_cbranch_execz .LBB4_1244
; %bb.1243:
	v_mov_b32_e32 v10, s5
	v_mov_b32_e32 v11, v2
	;; [unrolled: 1-line block ×4, first 2 shown]
	global_store_dwordx4 v[8:9], v[10:13], off offset:8
.LBB4_1244:
	s_or_b32 exec_lo, exec_lo, s18
	s_lshl_b64 s[16:17], s[16:17], 12
	v_and_or_b32 v0, 0xffffff1f, v0, 32
	v_add_co_u32 v6, vcc_lo, v6, s16
	v_add_co_ci_u32_e32 v7, vcc_lo, s17, v7, vcc_lo
	s_mov_b32 s16, 0
	v_readfirstlane_b32 s20, v6
	v_add_co_u32 v6, vcc_lo, v6, v31
	s_mov_b32 s17, s16
	s_mov_b32 s18, s16
	;; [unrolled: 1-line block ×3, first 2 shown]
	v_mov_b32_e32 v3, v2
	v_readfirstlane_b32 s21, v7
	v_mov_b32_e32 v10, s16
	v_add_co_ci_u32_e32 v7, vcc_lo, 0, v7, vcc_lo
	v_mov_b32_e32 v11, s17
	v_mov_b32_e32 v12, s18
	;; [unrolled: 1-line block ×3, first 2 shown]
	global_store_dwordx4 v31, v[0:3], s[20:21]
	global_store_dwordx4 v31, v[10:13], s[20:21] offset:16
	global_store_dwordx4 v31, v[10:13], s[20:21] offset:32
	;; [unrolled: 1-line block ×3, first 2 shown]
	s_and_saveexec_b32 s5, s4
	s_cbranch_execz .LBB4_1252
; %bb.1245:
	v_mov_b32_e32 v10, 0
	v_mov_b32_e32 v11, s10
	;; [unrolled: 1-line block ×3, first 2 shown]
	s_clause 0x1
	global_load_dwordx2 v[13:14], v10, s[6:7] offset:32 glc dlc
	global_load_dwordx2 v[0:1], v10, s[6:7] offset:40
	s_waitcnt vmcnt(0)
	v_readfirstlane_b32 s16, v0
	v_readfirstlane_b32 s17, v1
	s_and_b64 s[16:17], s[16:17], s[10:11]
	s_mul_i32 s17, s17, 24
	s_mul_hi_u32 s18, s16, 24
	s_mul_i32 s16, s16, 24
	s_add_i32 s18, s18, s17
	v_add_co_u32 v4, vcc_lo, v4, s16
	v_add_co_ci_u32_e32 v5, vcc_lo, s18, v5, vcc_lo
	s_mov_b32 s16, exec_lo
	global_store_dwordx2 v[4:5], v[13:14], off
	s_waitcnt_vscnt null, 0x0
	global_atomic_cmpswap_x2 v[2:3], v10, v[11:14], s[6:7] offset:32 glc
	s_waitcnt vmcnt(0)
	v_cmpx_ne_u64_e64 v[2:3], v[13:14]
	s_cbranch_execz .LBB4_1248
; %bb.1246:
	s_mov_b32 s17, 0
.LBB4_1247:                             ; =>This Inner Loop Header: Depth=1
	v_mov_b32_e32 v0, s10
	v_mov_b32_e32 v1, s11
	s_sleep 1
	global_store_dwordx2 v[4:5], v[2:3], off
	s_waitcnt_vscnt null, 0x0
	global_atomic_cmpswap_x2 v[0:1], v10, v[0:3], s[6:7] offset:32 glc
	s_waitcnt vmcnt(0)
	v_cmp_eq_u64_e32 vcc_lo, v[0:1], v[2:3]
	v_mov_b32_e32 v3, v1
	v_mov_b32_e32 v2, v0
	s_or_b32 s17, vcc_lo, s17
	s_andn2_b32 exec_lo, exec_lo, s17
	s_cbranch_execnz .LBB4_1247
.LBB4_1248:
	s_or_b32 exec_lo, exec_lo, s16
	v_mov_b32_e32 v3, 0
	s_mov_b32 s17, exec_lo
	s_mov_b32 s16, exec_lo
	v_mbcnt_lo_u32_b32 v2, s17, 0
	global_load_dwordx2 v[0:1], v3, s[6:7] offset:16
	v_cmpx_eq_u32_e32 0, v2
	s_cbranch_execz .LBB4_1250
; %bb.1249:
	s_bcnt1_i32_b32 s17, s17
	v_mov_b32_e32 v2, s17
	s_waitcnt vmcnt(0)
	global_atomic_add_x2 v[0:1], v[2:3], off offset:8
.LBB4_1250:
	s_or_b32 exec_lo, exec_lo, s16
	s_waitcnt vmcnt(0)
	global_load_dwordx2 v[2:3], v[0:1], off offset:16
	s_waitcnt vmcnt(0)
	v_cmp_eq_u64_e32 vcc_lo, 0, v[2:3]
	s_cbranch_vccnz .LBB4_1252
; %bb.1251:
	global_load_dword v0, v[0:1], off offset:24
	v_mov_b32_e32 v1, 0
	s_waitcnt vmcnt(0)
	v_and_b32_e32 v4, 0x7fffff, v0
	s_waitcnt_vscnt null, 0x0
	global_store_dwordx2 v[2:3], v[0:1], off
	v_readfirstlane_b32 m0, v4
	s_sendmsg sendmsg(MSG_INTERRUPT)
.LBB4_1252:
	s_or_b32 exec_lo, exec_lo, s5
	s_branch .LBB4_1256
	.p2align	6
.LBB4_1253:                             ;   in Loop: Header=BB4_1256 Depth=1
	s_or_b32 exec_lo, exec_lo, s5
	v_readfirstlane_b32 s5, v0
	s_cmp_eq_u32 s5, 0
	s_cbranch_scc1 .LBB4_1255
; %bb.1254:                             ;   in Loop: Header=BB4_1256 Depth=1
	s_sleep 1
	s_cbranch_execnz .LBB4_1256
	s_branch .LBB4_1258
	.p2align	6
.LBB4_1255:
	s_branch .LBB4_1258
.LBB4_1256:                             ; =>This Inner Loop Header: Depth=1
	v_mov_b32_e32 v0, 1
	s_and_saveexec_b32 s5, s4
	s_cbranch_execz .LBB4_1253
; %bb.1257:                             ;   in Loop: Header=BB4_1256 Depth=1
	global_load_dword v0, v[8:9], off offset:20 glc dlc
	s_waitcnt vmcnt(0)
	buffer_gl1_inv
	buffer_gl0_inv
	v_and_b32_e32 v0, 1, v0
	s_branch .LBB4_1253
.LBB4_1258:
	global_load_dwordx2 v[2:3], v[6:7], off
	s_and_saveexec_b32 s5, s4
	s_cbranch_execz .LBB4_1262
; %bb.1259:
	v_mov_b32_e32 v8, 0
	s_clause 0x2
	global_load_dwordx2 v[0:1], v8, s[6:7] offset:40
	global_load_dwordx2 v[9:10], v8, s[6:7] offset:24 glc dlc
	global_load_dwordx2 v[6:7], v8, s[6:7]
	s_waitcnt vmcnt(2)
	v_add_co_u32 v11, vcc_lo, v0, 1
	v_add_co_ci_u32_e32 v12, vcc_lo, 0, v1, vcc_lo
	v_add_co_u32 v4, vcc_lo, v11, s10
	v_add_co_ci_u32_e32 v5, vcc_lo, s11, v12, vcc_lo
	v_cmp_eq_u64_e32 vcc_lo, 0, v[4:5]
	v_cndmask_b32_e32 v5, v5, v12, vcc_lo
	v_cndmask_b32_e32 v4, v4, v11, vcc_lo
	v_and_b32_e32 v1, v5, v1
	v_and_b32_e32 v0, v4, v0
	v_mul_lo_u32 v1, v1, 24
	v_mul_hi_u32 v11, v0, 24
	v_mul_lo_u32 v0, v0, 24
	v_add_nc_u32_e32 v1, v11, v1
	s_waitcnt vmcnt(0)
	v_add_co_u32 v0, vcc_lo, v6, v0
	v_mov_b32_e32 v6, v9
	v_add_co_ci_u32_e32 v1, vcc_lo, v7, v1, vcc_lo
	v_mov_b32_e32 v7, v10
	global_store_dwordx2 v[0:1], v[9:10], off
	s_waitcnt_vscnt null, 0x0
	global_atomic_cmpswap_x2 v[6:7], v8, v[4:7], s[6:7] offset:24 glc
	s_waitcnt vmcnt(0)
	v_cmp_ne_u64_e32 vcc_lo, v[6:7], v[9:10]
	s_and_b32 exec_lo, exec_lo, vcc_lo
	s_cbranch_execz .LBB4_1262
; %bb.1260:
	s_mov_b32 s4, 0
.LBB4_1261:                             ; =>This Inner Loop Header: Depth=1
	s_sleep 1
	global_store_dwordx2 v[0:1], v[6:7], off
	s_waitcnt_vscnt null, 0x0
	global_atomic_cmpswap_x2 v[9:10], v8, v[4:7], s[6:7] offset:24 glc
	s_waitcnt vmcnt(0)
	v_cmp_eq_u64_e32 vcc_lo, v[9:10], v[6:7]
	v_mov_b32_e32 v6, v9
	v_mov_b32_e32 v7, v10
	s_or_b32 s4, vcc_lo, s4
	s_andn2_b32 exec_lo, exec_lo, s4
	s_cbranch_execnz .LBB4_1261
.LBB4_1262:
	s_or_b32 exec_lo, exec_lo, s5
.LBB4_1263:
	v_readfirstlane_b32 s4, v32
	s_waitcnt vmcnt(0)
	v_mov_b32_e32 v0, 0
	v_mov_b32_e32 v1, 0
	v_cmp_eq_u32_e64 s4, s4, v32
	s_and_saveexec_b32 s5, s4
	s_cbranch_execz .LBB4_1269
; %bb.1264:
	v_mov_b32_e32 v4, 0
	s_mov_b32 s10, exec_lo
	global_load_dwordx2 v[7:8], v4, s[6:7] offset:24 glc dlc
	s_waitcnt vmcnt(0)
	buffer_gl1_inv
	buffer_gl0_inv
	s_clause 0x1
	global_load_dwordx2 v[0:1], v4, s[6:7] offset:40
	global_load_dwordx2 v[5:6], v4, s[6:7]
	s_waitcnt vmcnt(1)
	v_and_b32_e32 v1, v1, v8
	v_and_b32_e32 v0, v0, v7
	v_mul_lo_u32 v1, v1, 24
	v_mul_hi_u32 v9, v0, 24
	v_mul_lo_u32 v0, v0, 24
	v_add_nc_u32_e32 v1, v9, v1
	s_waitcnt vmcnt(0)
	v_add_co_u32 v0, vcc_lo, v5, v0
	v_add_co_ci_u32_e32 v1, vcc_lo, v6, v1, vcc_lo
	global_load_dwordx2 v[5:6], v[0:1], off glc dlc
	s_waitcnt vmcnt(0)
	global_atomic_cmpswap_x2 v[0:1], v4, v[5:8], s[6:7] offset:24 glc
	s_waitcnt vmcnt(0)
	buffer_gl1_inv
	buffer_gl0_inv
	v_cmpx_ne_u64_e64 v[0:1], v[7:8]
	s_cbranch_execz .LBB4_1268
; %bb.1265:
	s_mov_b32 s11, 0
	.p2align	6
.LBB4_1266:                             ; =>This Inner Loop Header: Depth=1
	s_sleep 1
	s_clause 0x1
	global_load_dwordx2 v[5:6], v4, s[6:7] offset:40
	global_load_dwordx2 v[9:10], v4, s[6:7]
	v_mov_b32_e32 v8, v1
	v_mov_b32_e32 v7, v0
	s_waitcnt vmcnt(1)
	v_and_b32_e32 v0, v5, v7
	v_and_b32_e32 v5, v6, v8
	s_waitcnt vmcnt(0)
	v_mad_u64_u32 v[0:1], null, v0, 24, v[9:10]
	v_mad_u64_u32 v[5:6], null, v5, 24, v[1:2]
	v_mov_b32_e32 v1, v5
	global_load_dwordx2 v[5:6], v[0:1], off glc dlc
	s_waitcnt vmcnt(0)
	global_atomic_cmpswap_x2 v[0:1], v4, v[5:8], s[6:7] offset:24 glc
	s_waitcnt vmcnt(0)
	buffer_gl1_inv
	buffer_gl0_inv
	v_cmp_eq_u64_e32 vcc_lo, v[0:1], v[7:8]
	s_or_b32 s11, vcc_lo, s11
	s_andn2_b32 exec_lo, exec_lo, s11
	s_cbranch_execnz .LBB4_1266
; %bb.1267:
	s_or_b32 exec_lo, exec_lo, s11
.LBB4_1268:
	s_or_b32 exec_lo, exec_lo, s10
.LBB4_1269:
	s_or_b32 exec_lo, exec_lo, s5
	v_mov_b32_e32 v5, 0
	v_readfirstlane_b32 s10, v0
	v_readfirstlane_b32 s11, v1
	s_mov_b32 s5, exec_lo
	s_clause 0x1
	global_load_dwordx2 v[10:11], v5, s[6:7] offset:40
	global_load_dwordx4 v[6:9], v5, s[6:7]
	s_waitcnt vmcnt(1)
	v_readfirstlane_b32 s16, v10
	v_readfirstlane_b32 s17, v11
	s_and_b64 s[16:17], s[10:11], s[16:17]
	s_mul_i32 s18, s17, 24
	s_mul_hi_u32 s19, s16, 24
	s_mul_i32 s20, s16, 24
	s_add_i32 s19, s19, s18
	s_waitcnt vmcnt(0)
	v_add_co_u32 v10, vcc_lo, v6, s20
	v_add_co_ci_u32_e32 v11, vcc_lo, s19, v7, vcc_lo
	s_and_saveexec_b32 s18, s4
	s_cbranch_execz .LBB4_1271
; %bb.1270:
	v_mov_b32_e32 v4, s5
	v_mov_b32_e32 v13, v5
	;; [unrolled: 1-line block ×5, first 2 shown]
	global_store_dwordx4 v[10:11], v[12:15], off offset:8
.LBB4_1271:
	s_or_b32 exec_lo, exec_lo, s18
	s_lshl_b64 s[16:17], s[16:17], 12
	v_and_or_b32 v2, 0xffffff1d, v2, 34
	v_add_co_u32 v0, vcc_lo, v8, s16
	v_add_co_ci_u32_e32 v1, vcc_lo, s17, v9, vcc_lo
	s_mov_b32 s16, 0
	v_mov_b32_e32 v4, 10
	s_mov_b32 s17, s16
	s_mov_b32 s18, s16
	;; [unrolled: 1-line block ×3, first 2 shown]
	v_readfirstlane_b32 s20, v0
	v_readfirstlane_b32 s21, v1
	v_mov_b32_e32 v12, s16
	v_mov_b32_e32 v13, s17
	;; [unrolled: 1-line block ×4, first 2 shown]
	global_store_dwordx4 v31, v[2:5], s[20:21]
	global_store_dwordx4 v31, v[12:15], s[20:21] offset:16
	global_store_dwordx4 v31, v[12:15], s[20:21] offset:32
	;; [unrolled: 1-line block ×3, first 2 shown]
	s_and_saveexec_b32 s5, s4
	s_cbranch_execz .LBB4_1279
; %bb.1272:
	v_mov_b32_e32 v8, 0
	v_mov_b32_e32 v12, s10
	;; [unrolled: 1-line block ×3, first 2 shown]
	s_clause 0x1
	global_load_dwordx2 v[14:15], v8, s[6:7] offset:32 glc dlc
	global_load_dwordx2 v[0:1], v8, s[6:7] offset:40
	s_waitcnt vmcnt(0)
	v_readfirstlane_b32 s16, v0
	v_readfirstlane_b32 s17, v1
	s_and_b64 s[16:17], s[16:17], s[10:11]
	s_mul_i32 s17, s17, 24
	s_mul_hi_u32 s18, s16, 24
	s_mul_i32 s16, s16, 24
	s_add_i32 s18, s18, s17
	v_add_co_u32 v4, vcc_lo, v6, s16
	v_add_co_ci_u32_e32 v5, vcc_lo, s18, v7, vcc_lo
	s_mov_b32 s16, exec_lo
	global_store_dwordx2 v[4:5], v[14:15], off
	s_waitcnt_vscnt null, 0x0
	global_atomic_cmpswap_x2 v[2:3], v8, v[12:15], s[6:7] offset:32 glc
	s_waitcnt vmcnt(0)
	v_cmpx_ne_u64_e64 v[2:3], v[14:15]
	s_cbranch_execz .LBB4_1275
; %bb.1273:
	s_mov_b32 s17, 0
.LBB4_1274:                             ; =>This Inner Loop Header: Depth=1
	v_mov_b32_e32 v0, s10
	v_mov_b32_e32 v1, s11
	s_sleep 1
	global_store_dwordx2 v[4:5], v[2:3], off
	s_waitcnt_vscnt null, 0x0
	global_atomic_cmpswap_x2 v[0:1], v8, v[0:3], s[6:7] offset:32 glc
	s_waitcnt vmcnt(0)
	v_cmp_eq_u64_e32 vcc_lo, v[0:1], v[2:3]
	v_mov_b32_e32 v3, v1
	v_mov_b32_e32 v2, v0
	s_or_b32 s17, vcc_lo, s17
	s_andn2_b32 exec_lo, exec_lo, s17
	s_cbranch_execnz .LBB4_1274
.LBB4_1275:
	s_or_b32 exec_lo, exec_lo, s16
	v_mov_b32_e32 v3, 0
	s_mov_b32 s17, exec_lo
	s_mov_b32 s16, exec_lo
	v_mbcnt_lo_u32_b32 v2, s17, 0
	global_load_dwordx2 v[0:1], v3, s[6:7] offset:16
	v_cmpx_eq_u32_e32 0, v2
	s_cbranch_execz .LBB4_1277
; %bb.1276:
	s_bcnt1_i32_b32 s17, s17
	v_mov_b32_e32 v2, s17
	s_waitcnt vmcnt(0)
	global_atomic_add_x2 v[0:1], v[2:3], off offset:8
.LBB4_1277:
	s_or_b32 exec_lo, exec_lo, s16
	s_waitcnt vmcnt(0)
	global_load_dwordx2 v[2:3], v[0:1], off offset:16
	s_waitcnt vmcnt(0)
	v_cmp_eq_u64_e32 vcc_lo, 0, v[2:3]
	s_cbranch_vccnz .LBB4_1279
; %bb.1278:
	global_load_dword v0, v[0:1], off offset:24
	v_mov_b32_e32 v1, 0
	s_waitcnt vmcnt(0)
	v_and_b32_e32 v4, 0x7fffff, v0
	s_waitcnt_vscnt null, 0x0
	global_store_dwordx2 v[2:3], v[0:1], off
	v_readfirstlane_b32 m0, v4
	s_sendmsg sendmsg(MSG_INTERRUPT)
.LBB4_1279:
	s_or_b32 exec_lo, exec_lo, s5
	s_branch .LBB4_1283
	.p2align	6
.LBB4_1280:                             ;   in Loop: Header=BB4_1283 Depth=1
	s_or_b32 exec_lo, exec_lo, s5
	v_readfirstlane_b32 s5, v0
	s_cmp_eq_u32 s5, 0
	s_cbranch_scc1 .LBB4_1282
; %bb.1281:                             ;   in Loop: Header=BB4_1283 Depth=1
	s_sleep 1
	s_cbranch_execnz .LBB4_1283
	s_branch .LBB4_1285
	.p2align	6
.LBB4_1282:
	s_branch .LBB4_1285
.LBB4_1283:                             ; =>This Inner Loop Header: Depth=1
	v_mov_b32_e32 v0, 1
	s_and_saveexec_b32 s5, s4
	s_cbranch_execz .LBB4_1280
; %bb.1284:                             ;   in Loop: Header=BB4_1283 Depth=1
	global_load_dword v0, v[10:11], off offset:20 glc dlc
	s_waitcnt vmcnt(0)
	buffer_gl1_inv
	buffer_gl0_inv
	v_and_b32_e32 v0, 1, v0
	s_branch .LBB4_1280
.LBB4_1285:
	s_and_saveexec_b32 s5, s4
	s_cbranch_execz .LBB4_1289
; %bb.1286:
	v_mov_b32_e32 v6, 0
	s_clause 0x2
	global_load_dwordx2 v[2:3], v6, s[6:7] offset:40
	global_load_dwordx2 v[7:8], v6, s[6:7] offset:24 glc dlc
	global_load_dwordx2 v[4:5], v6, s[6:7]
	s_waitcnt vmcnt(2)
	v_add_co_u32 v9, vcc_lo, v2, 1
	v_add_co_ci_u32_e32 v10, vcc_lo, 0, v3, vcc_lo
	v_add_co_u32 v0, vcc_lo, v9, s10
	v_add_co_ci_u32_e32 v1, vcc_lo, s11, v10, vcc_lo
	v_cmp_eq_u64_e32 vcc_lo, 0, v[0:1]
	v_cndmask_b32_e32 v1, v1, v10, vcc_lo
	v_cndmask_b32_e32 v0, v0, v9, vcc_lo
	v_and_b32_e32 v3, v1, v3
	v_and_b32_e32 v2, v0, v2
	v_mul_lo_u32 v3, v3, 24
	v_mul_hi_u32 v9, v2, 24
	v_mul_lo_u32 v2, v2, 24
	v_add_nc_u32_e32 v3, v9, v3
	s_waitcnt vmcnt(0)
	v_add_co_u32 v4, vcc_lo, v4, v2
	v_mov_b32_e32 v2, v7
	v_add_co_ci_u32_e32 v5, vcc_lo, v5, v3, vcc_lo
	v_mov_b32_e32 v3, v8
	global_store_dwordx2 v[4:5], v[7:8], off
	s_waitcnt_vscnt null, 0x0
	global_atomic_cmpswap_x2 v[2:3], v6, v[0:3], s[6:7] offset:24 glc
	s_waitcnt vmcnt(0)
	v_cmp_ne_u64_e32 vcc_lo, v[2:3], v[7:8]
	s_and_b32 exec_lo, exec_lo, vcc_lo
	s_cbranch_execz .LBB4_1289
; %bb.1287:
	s_mov_b32 s4, 0
.LBB4_1288:                             ; =>This Inner Loop Header: Depth=1
	s_sleep 1
	global_store_dwordx2 v[4:5], v[2:3], off
	s_waitcnt_vscnt null, 0x0
	global_atomic_cmpswap_x2 v[7:8], v6, v[0:3], s[6:7] offset:24 glc
	s_waitcnt vmcnt(0)
	v_cmp_eq_u64_e32 vcc_lo, v[7:8], v[2:3]
	v_mov_b32_e32 v2, v7
	v_mov_b32_e32 v3, v8
	s_or_b32 s4, vcc_lo, s4
	s_andn2_b32 exec_lo, exec_lo, s4
	s_cbranch_execnz .LBB4_1288
.LBB4_1289:
	s_or_b32 exec_lo, exec_lo, s5
	v_readfirstlane_b32 s4, v32
	v_mov_b32_e32 v6, 0
	v_mov_b32_e32 v7, 0
	v_cmp_eq_u32_e64 s4, s4, v32
	s_and_saveexec_b32 s5, s4
	s_cbranch_execz .LBB4_1295
; %bb.1290:
	v_mov_b32_e32 v0, 0
	s_mov_b32 s10, exec_lo
	global_load_dwordx2 v[3:4], v0, s[6:7] offset:24 glc dlc
	s_waitcnt vmcnt(0)
	buffer_gl1_inv
	buffer_gl0_inv
	s_clause 0x1
	global_load_dwordx2 v[1:2], v0, s[6:7] offset:40
	global_load_dwordx2 v[5:6], v0, s[6:7]
	s_waitcnt vmcnt(1)
	v_and_b32_e32 v2, v2, v4
	v_and_b32_e32 v1, v1, v3
	v_mul_lo_u32 v2, v2, 24
	v_mul_hi_u32 v7, v1, 24
	v_mul_lo_u32 v1, v1, 24
	v_add_nc_u32_e32 v2, v7, v2
	s_waitcnt vmcnt(0)
	v_add_co_u32 v1, vcc_lo, v5, v1
	v_add_co_ci_u32_e32 v2, vcc_lo, v6, v2, vcc_lo
	global_load_dwordx2 v[1:2], v[1:2], off glc dlc
	s_waitcnt vmcnt(0)
	global_atomic_cmpswap_x2 v[6:7], v0, v[1:4], s[6:7] offset:24 glc
	s_waitcnt vmcnt(0)
	buffer_gl1_inv
	buffer_gl0_inv
	v_cmpx_ne_u64_e64 v[6:7], v[3:4]
	s_cbranch_execz .LBB4_1294
; %bb.1291:
	s_mov_b32 s11, 0
	.p2align	6
.LBB4_1292:                             ; =>This Inner Loop Header: Depth=1
	s_sleep 1
	s_clause 0x1
	global_load_dwordx2 v[1:2], v0, s[6:7] offset:40
	global_load_dwordx2 v[8:9], v0, s[6:7]
	v_mov_b32_e32 v3, v6
	v_mov_b32_e32 v4, v7
	s_waitcnt vmcnt(1)
	v_and_b32_e32 v1, v1, v3
	v_and_b32_e32 v2, v2, v4
	s_waitcnt vmcnt(0)
	v_mad_u64_u32 v[5:6], null, v1, 24, v[8:9]
	v_mov_b32_e32 v1, v6
	v_mad_u64_u32 v[1:2], null, v2, 24, v[1:2]
	v_mov_b32_e32 v6, v1
	global_load_dwordx2 v[1:2], v[5:6], off glc dlc
	s_waitcnt vmcnt(0)
	global_atomic_cmpswap_x2 v[6:7], v0, v[1:4], s[6:7] offset:24 glc
	s_waitcnt vmcnt(0)
	buffer_gl1_inv
	buffer_gl0_inv
	v_cmp_eq_u64_e32 vcc_lo, v[6:7], v[3:4]
	s_or_b32 s11, vcc_lo, s11
	s_andn2_b32 exec_lo, exec_lo, s11
	s_cbranch_execnz .LBB4_1292
; %bb.1293:
	s_or_b32 exec_lo, exec_lo, s11
.LBB4_1294:
	s_or_b32 exec_lo, exec_lo, s10
.LBB4_1295:
	s_or_b32 exec_lo, exec_lo, s5
	v_mov_b32_e32 v5, 0
	v_readfirstlane_b32 s10, v6
	v_readfirstlane_b32 s11, v7
	s_mov_b32 s5, exec_lo
	s_clause 0x1
	global_load_dwordx2 v[8:9], v5, s[6:7] offset:40
	global_load_dwordx4 v[0:3], v5, s[6:7]
	s_waitcnt vmcnt(1)
	v_readfirstlane_b32 s16, v8
	v_readfirstlane_b32 s17, v9
	s_and_b64 s[16:17], s[10:11], s[16:17]
	s_mul_i32 s18, s17, 24
	s_mul_hi_u32 s19, s16, 24
	s_mul_i32 s20, s16, 24
	s_add_i32 s19, s19, s18
	s_waitcnt vmcnt(0)
	v_add_co_u32 v8, vcc_lo, v0, s20
	v_add_co_ci_u32_e32 v9, vcc_lo, s19, v1, vcc_lo
	s_and_saveexec_b32 s18, s4
	s_cbranch_execz .LBB4_1297
; %bb.1296:
	v_mov_b32_e32 v4, s5
	v_mov_b32_e32 v6, 2
	;; [unrolled: 1-line block ×3, first 2 shown]
	global_store_dwordx4 v[8:9], v[4:7], off offset:8
.LBB4_1297:
	s_or_b32 exec_lo, exec_lo, s18
	s_lshl_b64 s[16:17], s[16:17], 12
	v_mov_b32_e32 v4, 33
	v_add_co_u32 v2, vcc_lo, v2, s16
	v_add_co_ci_u32_e32 v3, vcc_lo, s17, v3, vcc_lo
	s_mov_b32 s16, 0
	v_add_co_u32 v10, vcc_lo, v2, v31
	s_mov_b32 s17, s16
	s_mov_b32 s18, s16
	;; [unrolled: 1-line block ×3, first 2 shown]
	v_mov_b32_e32 v6, v5
	v_mov_b32_e32 v7, v5
	v_readfirstlane_b32 s20, v2
	v_readfirstlane_b32 s21, v3
	v_mov_b32_e32 v12, s16
	v_add_co_ci_u32_e32 v11, vcc_lo, 0, v3, vcc_lo
	v_mov_b32_e32 v13, s17
	v_mov_b32_e32 v14, s18
	;; [unrolled: 1-line block ×3, first 2 shown]
	global_store_dwordx4 v31, v[4:7], s[20:21]
	global_store_dwordx4 v31, v[12:15], s[20:21] offset:16
	global_store_dwordx4 v31, v[12:15], s[20:21] offset:32
	;; [unrolled: 1-line block ×3, first 2 shown]
	s_and_saveexec_b32 s5, s4
	s_cbranch_execz .LBB4_1305
; %bb.1298:
	v_mov_b32_e32 v6, 0
	v_mov_b32_e32 v12, s10
	;; [unrolled: 1-line block ×3, first 2 shown]
	s_clause 0x1
	global_load_dwordx2 v[14:15], v6, s[6:7] offset:32 glc dlc
	global_load_dwordx2 v[2:3], v6, s[6:7] offset:40
	s_waitcnt vmcnt(0)
	v_readfirstlane_b32 s16, v2
	v_readfirstlane_b32 s17, v3
	s_and_b64 s[16:17], s[16:17], s[10:11]
	s_mul_i32 s17, s17, 24
	s_mul_hi_u32 s18, s16, 24
	s_mul_i32 s16, s16, 24
	s_add_i32 s18, s18, s17
	v_add_co_u32 v4, vcc_lo, v0, s16
	v_add_co_ci_u32_e32 v5, vcc_lo, s18, v1, vcc_lo
	s_mov_b32 s16, exec_lo
	global_store_dwordx2 v[4:5], v[14:15], off
	s_waitcnt_vscnt null, 0x0
	global_atomic_cmpswap_x2 v[2:3], v6, v[12:15], s[6:7] offset:32 glc
	s_waitcnt vmcnt(0)
	v_cmpx_ne_u64_e64 v[2:3], v[14:15]
	s_cbranch_execz .LBB4_1301
; %bb.1299:
	s_mov_b32 s17, 0
.LBB4_1300:                             ; =>This Inner Loop Header: Depth=1
	v_mov_b32_e32 v0, s10
	v_mov_b32_e32 v1, s11
	s_sleep 1
	global_store_dwordx2 v[4:5], v[2:3], off
	s_waitcnt_vscnt null, 0x0
	global_atomic_cmpswap_x2 v[0:1], v6, v[0:3], s[6:7] offset:32 glc
	s_waitcnt vmcnt(0)
	v_cmp_eq_u64_e32 vcc_lo, v[0:1], v[2:3]
	v_mov_b32_e32 v3, v1
	v_mov_b32_e32 v2, v0
	s_or_b32 s17, vcc_lo, s17
	s_andn2_b32 exec_lo, exec_lo, s17
	s_cbranch_execnz .LBB4_1300
.LBB4_1301:
	s_or_b32 exec_lo, exec_lo, s16
	v_mov_b32_e32 v3, 0
	s_mov_b32 s17, exec_lo
	s_mov_b32 s16, exec_lo
	v_mbcnt_lo_u32_b32 v2, s17, 0
	global_load_dwordx2 v[0:1], v3, s[6:7] offset:16
	v_cmpx_eq_u32_e32 0, v2
	s_cbranch_execz .LBB4_1303
; %bb.1302:
	s_bcnt1_i32_b32 s17, s17
	v_mov_b32_e32 v2, s17
	s_waitcnt vmcnt(0)
	global_atomic_add_x2 v[0:1], v[2:3], off offset:8
.LBB4_1303:
	s_or_b32 exec_lo, exec_lo, s16
	s_waitcnt vmcnt(0)
	global_load_dwordx2 v[2:3], v[0:1], off offset:16
	s_waitcnt vmcnt(0)
	v_cmp_eq_u64_e32 vcc_lo, 0, v[2:3]
	s_cbranch_vccnz .LBB4_1305
; %bb.1304:
	global_load_dword v0, v[0:1], off offset:24
	v_mov_b32_e32 v1, 0
	s_waitcnt vmcnt(0)
	v_and_b32_e32 v4, 0x7fffff, v0
	s_waitcnt_vscnt null, 0x0
	global_store_dwordx2 v[2:3], v[0:1], off
	v_readfirstlane_b32 m0, v4
	s_sendmsg sendmsg(MSG_INTERRUPT)
.LBB4_1305:
	s_or_b32 exec_lo, exec_lo, s5
	s_branch .LBB4_1309
	.p2align	6
.LBB4_1306:                             ;   in Loop: Header=BB4_1309 Depth=1
	s_or_b32 exec_lo, exec_lo, s5
	v_readfirstlane_b32 s5, v0
	s_cmp_eq_u32 s5, 0
	s_cbranch_scc1 .LBB4_1308
; %bb.1307:                             ;   in Loop: Header=BB4_1309 Depth=1
	s_sleep 1
	s_cbranch_execnz .LBB4_1309
	s_branch .LBB4_1311
	.p2align	6
.LBB4_1308:
	s_branch .LBB4_1311
.LBB4_1309:                             ; =>This Inner Loop Header: Depth=1
	v_mov_b32_e32 v0, 1
	s_and_saveexec_b32 s5, s4
	s_cbranch_execz .LBB4_1306
; %bb.1310:                             ;   in Loop: Header=BB4_1309 Depth=1
	global_load_dword v0, v[8:9], off offset:20 glc dlc
	s_waitcnt vmcnt(0)
	buffer_gl1_inv
	buffer_gl0_inv
	v_and_b32_e32 v0, 1, v0
	s_branch .LBB4_1306
.LBB4_1311:
	global_load_dwordx2 v[4:5], v[10:11], off
	s_and_saveexec_b32 s5, s4
	s_cbranch_execz .LBB4_1315
; %bb.1312:
	v_mov_b32_e32 v8, 0
	s_clause 0x2
	global_load_dwordx2 v[2:3], v8, s[6:7] offset:40
	global_load_dwordx2 v[9:10], v8, s[6:7] offset:24 glc dlc
	global_load_dwordx2 v[6:7], v8, s[6:7]
	s_waitcnt vmcnt(2)
	v_add_co_u32 v11, vcc_lo, v2, 1
	v_add_co_ci_u32_e32 v12, vcc_lo, 0, v3, vcc_lo
	v_add_co_u32 v0, vcc_lo, v11, s10
	v_add_co_ci_u32_e32 v1, vcc_lo, s11, v12, vcc_lo
	v_cmp_eq_u64_e32 vcc_lo, 0, v[0:1]
	v_cndmask_b32_e32 v1, v1, v12, vcc_lo
	v_cndmask_b32_e32 v0, v0, v11, vcc_lo
	v_and_b32_e32 v3, v1, v3
	v_and_b32_e32 v2, v0, v2
	v_mul_lo_u32 v3, v3, 24
	v_mul_hi_u32 v11, v2, 24
	v_mul_lo_u32 v2, v2, 24
	v_add_nc_u32_e32 v3, v11, v3
	s_waitcnt vmcnt(0)
	v_add_co_u32 v6, vcc_lo, v6, v2
	v_mov_b32_e32 v2, v9
	v_add_co_ci_u32_e32 v7, vcc_lo, v7, v3, vcc_lo
	v_mov_b32_e32 v3, v10
	global_store_dwordx2 v[6:7], v[9:10], off
	s_waitcnt_vscnt null, 0x0
	global_atomic_cmpswap_x2 v[2:3], v8, v[0:3], s[6:7] offset:24 glc
	s_waitcnt vmcnt(0)
	v_cmp_ne_u64_e32 vcc_lo, v[2:3], v[9:10]
	s_and_b32 exec_lo, exec_lo, vcc_lo
	s_cbranch_execz .LBB4_1315
; %bb.1313:
	s_mov_b32 s4, 0
.LBB4_1314:                             ; =>This Inner Loop Header: Depth=1
	s_sleep 1
	global_store_dwordx2 v[6:7], v[2:3], off
	s_waitcnt_vscnt null, 0x0
	global_atomic_cmpswap_x2 v[9:10], v8, v[0:3], s[6:7] offset:24 glc
	s_waitcnt vmcnt(0)
	v_cmp_eq_u64_e32 vcc_lo, v[9:10], v[2:3]
	v_mov_b32_e32 v2, v9
	v_mov_b32_e32 v3, v10
	s_or_b32 s4, vcc_lo, s4
	s_andn2_b32 exec_lo, exec_lo, s4
	s_cbranch_execnz .LBB4_1314
.LBB4_1315:
	s_or_b32 exec_lo, exec_lo, s5
	s_and_b32 vcc_lo, exec_lo, s15
	s_cbranch_vccz .LBB4_1394
; %bb.1316:
	s_waitcnt vmcnt(0)
	v_and_b32_e32 v28, 2, v4
	v_mov_b32_e32 v7, 0
	v_and_b32_e32 v0, -3, v4
	v_mov_b32_e32 v1, v5
	v_mov_b32_e32 v8, 2
	;; [unrolled: 1-line block ×3, first 2 shown]
	s_mov_b64 s[16:17], 3
	s_getpc_b64 s[10:11]
	s_add_u32 s10, s10, .str.5@rel32@lo+4
	s_addc_u32 s11, s11, .str.5@rel32@hi+12
	s_branch .LBB4_1318
.LBB4_1317:                             ;   in Loop: Header=BB4_1318 Depth=1
	s_or_b32 exec_lo, exec_lo, s5
	s_sub_u32 s16, s16, s18
	s_subb_u32 s17, s17, s19
	s_add_u32 s10, s10, s18
	s_addc_u32 s11, s11, s19
	s_cmp_lg_u64 s[16:17], 0
	s_cbranch_scc0 .LBB4_1393
.LBB4_1318:                             ; =>This Loop Header: Depth=1
                                        ;     Child Loop BB4_1327 Depth 2
                                        ;     Child Loop BB4_1323 Depth 2
	;; [unrolled: 1-line block ×11, first 2 shown]
	v_cmp_lt_u64_e64 s4, s[16:17], 56
	v_cmp_gt_u64_e64 s5, s[16:17], 7
                                        ; implicit-def: $vgpr2_vgpr3
                                        ; implicit-def: $sgpr15
	s_and_b32 s4, s4, exec_lo
	s_cselect_b32 s19, s17, 0
	s_cselect_b32 s18, s16, 56
	s_and_b32 vcc_lo, exec_lo, s5
	s_mov_b32 s4, -1
	s_cbranch_vccz .LBB4_1325
; %bb.1319:                             ;   in Loop: Header=BB4_1318 Depth=1
	s_andn2_b32 vcc_lo, exec_lo, s4
	s_mov_b64 s[4:5], s[10:11]
	s_cbranch_vccz .LBB4_1329
.LBB4_1320:                             ;   in Loop: Header=BB4_1318 Depth=1
	s_cmp_gt_u32 s15, 7
	s_cbranch_scc1 .LBB4_1330
.LBB4_1321:                             ;   in Loop: Header=BB4_1318 Depth=1
	v_mov_b32_e32 v10, 0
	v_mov_b32_e32 v11, 0
	s_cmp_eq_u32 s15, 0
	s_cbranch_scc1 .LBB4_1324
; %bb.1322:                             ;   in Loop: Header=BB4_1318 Depth=1
	s_mov_b64 s[20:21], 0
	s_mov_b64 s[22:23], 0
.LBB4_1323:                             ;   Parent Loop BB4_1318 Depth=1
                                        ; =>  This Inner Loop Header: Depth=2
	s_add_u32 s24, s4, s22
	s_addc_u32 s25, s5, s23
	s_add_u32 s22, s22, 1
	global_load_ubyte v6, v7, s[24:25]
	s_addc_u32 s23, s23, 0
	s_waitcnt vmcnt(0)
	v_and_b32_e32 v6, 0xffff, v6
	v_lshlrev_b64 v[12:13], s20, v[6:7]
	s_add_u32 s20, s20, 8
	s_addc_u32 s21, s21, 0
	s_cmp_lg_u32 s15, s22
	v_or_b32_e32 v10, v12, v10
	v_or_b32_e32 v11, v13, v11
	s_cbranch_scc1 .LBB4_1323
.LBB4_1324:                             ;   in Loop: Header=BB4_1318 Depth=1
	s_mov_b32 s24, 0
	s_cbranch_execz .LBB4_1331
	s_branch .LBB4_1332
.LBB4_1325:                             ;   in Loop: Header=BB4_1318 Depth=1
	s_waitcnt vmcnt(0)
	v_mov_b32_e32 v2, 0
	v_mov_b32_e32 v3, 0
	s_cmp_eq_u64 s[16:17], 0
	s_mov_b64 s[4:5], 0
	s_cbranch_scc1 .LBB4_1328
; %bb.1326:                             ;   in Loop: Header=BB4_1318 Depth=1
	v_mov_b32_e32 v2, 0
	v_mov_b32_e32 v3, 0
	s_lshl_b64 s[20:21], s[18:19], 3
	s_mov_b64 s[22:23], s[10:11]
.LBB4_1327:                             ;   Parent Loop BB4_1318 Depth=1
                                        ; =>  This Inner Loop Header: Depth=2
	global_load_ubyte v6, v7, s[22:23]
	s_waitcnt vmcnt(0)
	v_and_b32_e32 v6, 0xffff, v6
	v_lshlrev_b64 v[10:11], s4, v[6:7]
	s_add_u32 s4, s4, 8
	s_addc_u32 s5, s5, 0
	s_add_u32 s22, s22, 1
	s_addc_u32 s23, s23, 0
	s_cmp_lg_u32 s20, s4
	v_or_b32_e32 v2, v10, v2
	v_or_b32_e32 v3, v11, v3
	s_cbranch_scc1 .LBB4_1327
.LBB4_1328:                             ;   in Loop: Header=BB4_1318 Depth=1
	s_mov_b32 s15, 0
	s_mov_b64 s[4:5], s[10:11]
	s_cbranch_execnz .LBB4_1320
.LBB4_1329:                             ;   in Loop: Header=BB4_1318 Depth=1
	global_load_dwordx2 v[2:3], v7, s[10:11]
	s_add_i32 s15, s18, -8
	s_add_u32 s4, s10, 8
	s_addc_u32 s5, s11, 0
	s_cmp_gt_u32 s15, 7
	s_cbranch_scc0 .LBB4_1321
.LBB4_1330:                             ;   in Loop: Header=BB4_1318 Depth=1
                                        ; implicit-def: $vgpr10_vgpr11
                                        ; implicit-def: $sgpr24
.LBB4_1331:                             ;   in Loop: Header=BB4_1318 Depth=1
	global_load_dwordx2 v[10:11], v7, s[4:5]
	s_add_i32 s24, s15, -8
	s_add_u32 s4, s4, 8
	s_addc_u32 s5, s5, 0
.LBB4_1332:                             ;   in Loop: Header=BB4_1318 Depth=1
	s_cmp_gt_u32 s24, 7
	s_cbranch_scc1 .LBB4_1337
; %bb.1333:                             ;   in Loop: Header=BB4_1318 Depth=1
	v_mov_b32_e32 v12, 0
	v_mov_b32_e32 v13, 0
	s_cmp_eq_u32 s24, 0
	s_cbranch_scc1 .LBB4_1336
; %bb.1334:                             ;   in Loop: Header=BB4_1318 Depth=1
	s_mov_b64 s[20:21], 0
	s_mov_b64 s[22:23], 0
.LBB4_1335:                             ;   Parent Loop BB4_1318 Depth=1
                                        ; =>  This Inner Loop Header: Depth=2
	s_add_u32 s26, s4, s22
	s_addc_u32 s27, s5, s23
	s_add_u32 s22, s22, 1
	global_load_ubyte v6, v7, s[26:27]
	s_addc_u32 s23, s23, 0
	s_waitcnt vmcnt(0)
	v_and_b32_e32 v6, 0xffff, v6
	v_lshlrev_b64 v[14:15], s20, v[6:7]
	s_add_u32 s20, s20, 8
	s_addc_u32 s21, s21, 0
	s_cmp_lg_u32 s24, s22
	v_or_b32_e32 v12, v14, v12
	v_or_b32_e32 v13, v15, v13
	s_cbranch_scc1 .LBB4_1335
.LBB4_1336:                             ;   in Loop: Header=BB4_1318 Depth=1
	s_mov_b32 s15, 0
	s_cbranch_execz .LBB4_1338
	s_branch .LBB4_1339
.LBB4_1337:                             ;   in Loop: Header=BB4_1318 Depth=1
                                        ; implicit-def: $sgpr15
.LBB4_1338:                             ;   in Loop: Header=BB4_1318 Depth=1
	global_load_dwordx2 v[12:13], v7, s[4:5]
	s_add_i32 s15, s24, -8
	s_add_u32 s4, s4, 8
	s_addc_u32 s5, s5, 0
.LBB4_1339:                             ;   in Loop: Header=BB4_1318 Depth=1
	s_cmp_gt_u32 s15, 7
	s_cbranch_scc1 .LBB4_1344
; %bb.1340:                             ;   in Loop: Header=BB4_1318 Depth=1
	v_mov_b32_e32 v14, 0
	v_mov_b32_e32 v15, 0
	s_cmp_eq_u32 s15, 0
	s_cbranch_scc1 .LBB4_1343
; %bb.1341:                             ;   in Loop: Header=BB4_1318 Depth=1
	s_mov_b64 s[20:21], 0
	s_mov_b64 s[22:23], 0
.LBB4_1342:                             ;   Parent Loop BB4_1318 Depth=1
                                        ; =>  This Inner Loop Header: Depth=2
	s_add_u32 s24, s4, s22
	s_addc_u32 s25, s5, s23
	s_add_u32 s22, s22, 1
	global_load_ubyte v6, v7, s[24:25]
	s_addc_u32 s23, s23, 0
	s_waitcnt vmcnt(0)
	v_and_b32_e32 v6, 0xffff, v6
	v_lshlrev_b64 v[16:17], s20, v[6:7]
	s_add_u32 s20, s20, 8
	s_addc_u32 s21, s21, 0
	s_cmp_lg_u32 s15, s22
	v_or_b32_e32 v14, v16, v14
	v_or_b32_e32 v15, v17, v15
	s_cbranch_scc1 .LBB4_1342
.LBB4_1343:                             ;   in Loop: Header=BB4_1318 Depth=1
	s_mov_b32 s24, 0
	s_cbranch_execz .LBB4_1345
	s_branch .LBB4_1346
.LBB4_1344:                             ;   in Loop: Header=BB4_1318 Depth=1
                                        ; implicit-def: $vgpr14_vgpr15
                                        ; implicit-def: $sgpr24
.LBB4_1345:                             ;   in Loop: Header=BB4_1318 Depth=1
	global_load_dwordx2 v[14:15], v7, s[4:5]
	s_add_i32 s24, s15, -8
	s_add_u32 s4, s4, 8
	s_addc_u32 s5, s5, 0
.LBB4_1346:                             ;   in Loop: Header=BB4_1318 Depth=1
	s_cmp_gt_u32 s24, 7
	s_cbranch_scc1 .LBB4_1351
; %bb.1347:                             ;   in Loop: Header=BB4_1318 Depth=1
	v_mov_b32_e32 v16, 0
	v_mov_b32_e32 v17, 0
	s_cmp_eq_u32 s24, 0
	s_cbranch_scc1 .LBB4_1350
; %bb.1348:                             ;   in Loop: Header=BB4_1318 Depth=1
	s_mov_b64 s[20:21], 0
	s_mov_b64 s[22:23], 0
.LBB4_1349:                             ;   Parent Loop BB4_1318 Depth=1
                                        ; =>  This Inner Loop Header: Depth=2
	s_add_u32 s26, s4, s22
	s_addc_u32 s27, s5, s23
	s_add_u32 s22, s22, 1
	global_load_ubyte v6, v7, s[26:27]
	s_addc_u32 s23, s23, 0
	s_waitcnt vmcnt(0)
	v_and_b32_e32 v6, 0xffff, v6
	v_lshlrev_b64 v[18:19], s20, v[6:7]
	s_add_u32 s20, s20, 8
	s_addc_u32 s21, s21, 0
	s_cmp_lg_u32 s24, s22
	v_or_b32_e32 v16, v18, v16
	v_or_b32_e32 v17, v19, v17
	s_cbranch_scc1 .LBB4_1349
.LBB4_1350:                             ;   in Loop: Header=BB4_1318 Depth=1
	s_mov_b32 s15, 0
	s_cbranch_execz .LBB4_1352
	s_branch .LBB4_1353
.LBB4_1351:                             ;   in Loop: Header=BB4_1318 Depth=1
                                        ; implicit-def: $sgpr15
.LBB4_1352:                             ;   in Loop: Header=BB4_1318 Depth=1
	global_load_dwordx2 v[16:17], v7, s[4:5]
	s_add_i32 s15, s24, -8
	s_add_u32 s4, s4, 8
	s_addc_u32 s5, s5, 0
.LBB4_1353:                             ;   in Loop: Header=BB4_1318 Depth=1
	s_cmp_gt_u32 s15, 7
	s_cbranch_scc1 .LBB4_1358
; %bb.1354:                             ;   in Loop: Header=BB4_1318 Depth=1
	v_mov_b32_e32 v18, 0
	v_mov_b32_e32 v19, 0
	s_cmp_eq_u32 s15, 0
	s_cbranch_scc1 .LBB4_1357
; %bb.1355:                             ;   in Loop: Header=BB4_1318 Depth=1
	s_mov_b64 s[20:21], 0
	s_mov_b64 s[22:23], 0
.LBB4_1356:                             ;   Parent Loop BB4_1318 Depth=1
                                        ; =>  This Inner Loop Header: Depth=2
	s_add_u32 s24, s4, s22
	s_addc_u32 s25, s5, s23
	s_add_u32 s22, s22, 1
	global_load_ubyte v6, v7, s[24:25]
	s_addc_u32 s23, s23, 0
	s_waitcnt vmcnt(0)
	v_and_b32_e32 v6, 0xffff, v6
	v_lshlrev_b64 v[20:21], s20, v[6:7]
	s_add_u32 s20, s20, 8
	s_addc_u32 s21, s21, 0
	s_cmp_lg_u32 s15, s22
	v_or_b32_e32 v18, v20, v18
	v_or_b32_e32 v19, v21, v19
	s_cbranch_scc1 .LBB4_1356
.LBB4_1357:                             ;   in Loop: Header=BB4_1318 Depth=1
	s_mov_b32 s24, 0
	s_cbranch_execz .LBB4_1359
	s_branch .LBB4_1360
.LBB4_1358:                             ;   in Loop: Header=BB4_1318 Depth=1
                                        ; implicit-def: $vgpr18_vgpr19
                                        ; implicit-def: $sgpr24
.LBB4_1359:                             ;   in Loop: Header=BB4_1318 Depth=1
	global_load_dwordx2 v[18:19], v7, s[4:5]
	s_add_i32 s24, s15, -8
	s_add_u32 s4, s4, 8
	s_addc_u32 s5, s5, 0
.LBB4_1360:                             ;   in Loop: Header=BB4_1318 Depth=1
	s_cmp_gt_u32 s24, 7
	s_cbranch_scc1 .LBB4_1365
; %bb.1361:                             ;   in Loop: Header=BB4_1318 Depth=1
	v_mov_b32_e32 v20, 0
	v_mov_b32_e32 v21, 0
	s_cmp_eq_u32 s24, 0
	s_cbranch_scc1 .LBB4_1364
; %bb.1362:                             ;   in Loop: Header=BB4_1318 Depth=1
	s_mov_b64 s[20:21], 0
	s_mov_b64 s[22:23], s[4:5]
.LBB4_1363:                             ;   Parent Loop BB4_1318 Depth=1
                                        ; =>  This Inner Loop Header: Depth=2
	global_load_ubyte v6, v7, s[22:23]
	s_add_i32 s24, s24, -1
	s_waitcnt vmcnt(0)
	v_and_b32_e32 v6, 0xffff, v6
	v_lshlrev_b64 v[22:23], s20, v[6:7]
	s_add_u32 s20, s20, 8
	s_addc_u32 s21, s21, 0
	s_add_u32 s22, s22, 1
	s_addc_u32 s23, s23, 0
	s_cmp_lg_u32 s24, 0
	v_or_b32_e32 v20, v22, v20
	v_or_b32_e32 v21, v23, v21
	s_cbranch_scc1 .LBB4_1363
.LBB4_1364:                             ;   in Loop: Header=BB4_1318 Depth=1
	s_cbranch_execz .LBB4_1366
	s_branch .LBB4_1367
.LBB4_1365:                             ;   in Loop: Header=BB4_1318 Depth=1
.LBB4_1366:                             ;   in Loop: Header=BB4_1318 Depth=1
	global_load_dwordx2 v[20:21], v7, s[4:5]
.LBB4_1367:                             ;   in Loop: Header=BB4_1318 Depth=1
	v_readfirstlane_b32 s4, v32
	v_mov_b32_e32 v26, 0
	v_mov_b32_e32 v27, 0
	v_cmp_eq_u32_e64 s4, s4, v32
	s_and_saveexec_b32 s5, s4
	s_cbranch_execz .LBB4_1373
; %bb.1368:                             ;   in Loop: Header=BB4_1318 Depth=1
	global_load_dwordx2 v[24:25], v7, s[6:7] offset:24 glc dlc
	s_waitcnt vmcnt(0)
	buffer_gl1_inv
	buffer_gl0_inv
	s_clause 0x1
	global_load_dwordx2 v[22:23], v7, s[6:7] offset:40
	global_load_dwordx2 v[26:27], v7, s[6:7]
	s_mov_b32 s15, exec_lo
	s_waitcnt vmcnt(1)
	v_and_b32_e32 v6, v23, v25
	v_and_b32_e32 v22, v22, v24
	v_mul_lo_u32 v6, v6, 24
	v_mul_hi_u32 v23, v22, 24
	v_mul_lo_u32 v22, v22, 24
	v_add_nc_u32_e32 v6, v23, v6
	s_waitcnt vmcnt(0)
	v_add_co_u32 v22, vcc_lo, v26, v22
	v_add_co_ci_u32_e32 v23, vcc_lo, v27, v6, vcc_lo
	global_load_dwordx2 v[22:23], v[22:23], off glc dlc
	s_waitcnt vmcnt(0)
	global_atomic_cmpswap_x2 v[26:27], v7, v[22:25], s[6:7] offset:24 glc
	s_waitcnt vmcnt(0)
	buffer_gl1_inv
	buffer_gl0_inv
	v_cmpx_ne_u64_e64 v[26:27], v[24:25]
	s_cbranch_execz .LBB4_1372
; %bb.1369:                             ;   in Loop: Header=BB4_1318 Depth=1
	s_mov_b32 s20, 0
	.p2align	6
.LBB4_1370:                             ;   Parent Loop BB4_1318 Depth=1
                                        ; =>  This Inner Loop Header: Depth=2
	s_sleep 1
	s_clause 0x1
	global_load_dwordx2 v[22:23], v7, s[6:7] offset:40
	global_load_dwordx2 v[29:30], v7, s[6:7]
	v_mov_b32_e32 v24, v26
	v_mov_b32_e32 v25, v27
	s_waitcnt vmcnt(1)
	v_and_b32_e32 v6, v22, v24
	v_and_b32_e32 v22, v23, v25
	s_waitcnt vmcnt(0)
	v_mad_u64_u32 v[26:27], null, v6, 24, v[29:30]
	v_mov_b32_e32 v6, v27
	v_mad_u64_u32 v[22:23], null, v22, 24, v[6:7]
	v_mov_b32_e32 v27, v22
	global_load_dwordx2 v[22:23], v[26:27], off glc dlc
	s_waitcnt vmcnt(0)
	global_atomic_cmpswap_x2 v[26:27], v7, v[22:25], s[6:7] offset:24 glc
	s_waitcnt vmcnt(0)
	buffer_gl1_inv
	buffer_gl0_inv
	v_cmp_eq_u64_e32 vcc_lo, v[26:27], v[24:25]
	s_or_b32 s20, vcc_lo, s20
	s_andn2_b32 exec_lo, exec_lo, s20
	s_cbranch_execnz .LBB4_1370
; %bb.1371:                             ;   in Loop: Header=BB4_1318 Depth=1
	s_or_b32 exec_lo, exec_lo, s20
.LBB4_1372:                             ;   in Loop: Header=BB4_1318 Depth=1
	s_or_b32 exec_lo, exec_lo, s15
.LBB4_1373:                             ;   in Loop: Header=BB4_1318 Depth=1
	s_or_b32 exec_lo, exec_lo, s5
	s_clause 0x1
	global_load_dwordx2 v[29:30], v7, s[6:7] offset:40
	global_load_dwordx4 v[22:25], v7, s[6:7]
	v_readfirstlane_b32 s20, v26
	v_readfirstlane_b32 s21, v27
	s_mov_b32 s5, exec_lo
	s_waitcnt vmcnt(1)
	v_readfirstlane_b32 s22, v29
	v_readfirstlane_b32 s23, v30
	s_and_b64 s[22:23], s[20:21], s[22:23]
	s_mul_i32 s15, s23, 24
	s_mul_hi_u32 s24, s22, 24
	s_mul_i32 s25, s22, 24
	s_add_i32 s24, s24, s15
	s_waitcnt vmcnt(0)
	v_add_co_u32 v26, vcc_lo, v22, s25
	v_add_co_ci_u32_e32 v27, vcc_lo, s24, v23, vcc_lo
	s_and_saveexec_b32 s15, s4
	s_cbranch_execz .LBB4_1375
; %bb.1374:                             ;   in Loop: Header=BB4_1318 Depth=1
	v_mov_b32_e32 v6, s5
	global_store_dwordx4 v[26:27], v[6:9], off offset:8
.LBB4_1375:                             ;   in Loop: Header=BB4_1318 Depth=1
	s_or_b32 exec_lo, exec_lo, s15
	s_lshl_b64 s[22:23], s[22:23], 12
	v_cmp_gt_u64_e64 vcc_lo, s[16:17], 56
	v_or_b32_e32 v29, v0, v28
	v_add_co_u32 v24, s5, v24, s22
	v_add_co_ci_u32_e64 v25, s5, s23, v25, s5
	s_lshl_b32 s5, s18, 2
	v_or_b32_e32 v6, 0, v1
	v_cndmask_b32_e32 v0, v29, v0, vcc_lo
	s_add_i32 s5, s5, 28
	v_readfirstlane_b32 s22, v24
	s_and_b32 s5, s5, 0x1e0
	v_cndmask_b32_e32 v1, v6, v1, vcc_lo
	v_readfirstlane_b32 s23, v25
	v_and_or_b32 v0, 0xffffff1f, v0, s5
	global_store_dwordx4 v31, v[0:3], s[22:23]
	global_store_dwordx4 v31, v[10:13], s[22:23] offset:16
	global_store_dwordx4 v31, v[14:17], s[22:23] offset:32
	;; [unrolled: 1-line block ×3, first 2 shown]
	s_and_saveexec_b32 s5, s4
	s_cbranch_execz .LBB4_1383
; %bb.1376:                             ;   in Loop: Header=BB4_1318 Depth=1
	s_clause 0x1
	global_load_dwordx2 v[14:15], v7, s[6:7] offset:32 glc dlc
	global_load_dwordx2 v[0:1], v7, s[6:7] offset:40
	v_mov_b32_e32 v12, s20
	v_mov_b32_e32 v13, s21
	s_waitcnt vmcnt(0)
	v_readfirstlane_b32 s22, v0
	v_readfirstlane_b32 s23, v1
	s_and_b64 s[22:23], s[22:23], s[20:21]
	s_mul_i32 s15, s23, 24
	s_mul_hi_u32 s23, s22, 24
	s_mul_i32 s22, s22, 24
	s_add_i32 s23, s23, s15
	v_add_co_u32 v10, vcc_lo, v22, s22
	v_add_co_ci_u32_e32 v11, vcc_lo, s23, v23, vcc_lo
	s_mov_b32 s15, exec_lo
	global_store_dwordx2 v[10:11], v[14:15], off
	s_waitcnt_vscnt null, 0x0
	global_atomic_cmpswap_x2 v[2:3], v7, v[12:15], s[6:7] offset:32 glc
	s_waitcnt vmcnt(0)
	v_cmpx_ne_u64_e64 v[2:3], v[14:15]
	s_cbranch_execz .LBB4_1379
; %bb.1377:                             ;   in Loop: Header=BB4_1318 Depth=1
	s_mov_b32 s22, 0
.LBB4_1378:                             ;   Parent Loop BB4_1318 Depth=1
                                        ; =>  This Inner Loop Header: Depth=2
	v_mov_b32_e32 v0, s20
	v_mov_b32_e32 v1, s21
	s_sleep 1
	global_store_dwordx2 v[10:11], v[2:3], off
	s_waitcnt_vscnt null, 0x0
	global_atomic_cmpswap_x2 v[0:1], v7, v[0:3], s[6:7] offset:32 glc
	s_waitcnt vmcnt(0)
	v_cmp_eq_u64_e32 vcc_lo, v[0:1], v[2:3]
	v_mov_b32_e32 v3, v1
	v_mov_b32_e32 v2, v0
	s_or_b32 s22, vcc_lo, s22
	s_andn2_b32 exec_lo, exec_lo, s22
	s_cbranch_execnz .LBB4_1378
.LBB4_1379:                             ;   in Loop: Header=BB4_1318 Depth=1
	s_or_b32 exec_lo, exec_lo, s15
	global_load_dwordx2 v[0:1], v7, s[6:7] offset:16
	s_mov_b32 s22, exec_lo
	s_mov_b32 s15, exec_lo
	v_mbcnt_lo_u32_b32 v2, s22, 0
	v_cmpx_eq_u32_e32 0, v2
	s_cbranch_execz .LBB4_1381
; %bb.1380:                             ;   in Loop: Header=BB4_1318 Depth=1
	s_bcnt1_i32_b32 s22, s22
	v_mov_b32_e32 v6, s22
	s_waitcnt vmcnt(0)
	global_atomic_add_x2 v[0:1], v[6:7], off offset:8
.LBB4_1381:                             ;   in Loop: Header=BB4_1318 Depth=1
	s_or_b32 exec_lo, exec_lo, s15
	s_waitcnt vmcnt(0)
	global_load_dwordx2 v[2:3], v[0:1], off offset:16
	s_waitcnt vmcnt(0)
	v_cmp_eq_u64_e32 vcc_lo, 0, v[2:3]
	s_cbranch_vccnz .LBB4_1383
; %bb.1382:                             ;   in Loop: Header=BB4_1318 Depth=1
	global_load_dword v6, v[0:1], off offset:24
	s_waitcnt vmcnt(0)
	v_and_b32_e32 v0, 0x7fffff, v6
	s_waitcnt_vscnt null, 0x0
	global_store_dwordx2 v[2:3], v[6:7], off
	v_readfirstlane_b32 m0, v0
	s_sendmsg sendmsg(MSG_INTERRUPT)
.LBB4_1383:                             ;   in Loop: Header=BB4_1318 Depth=1
	s_or_b32 exec_lo, exec_lo, s5
	v_add_co_u32 v0, vcc_lo, v24, v31
	v_add_co_ci_u32_e32 v1, vcc_lo, 0, v25, vcc_lo
	s_branch .LBB4_1387
	.p2align	6
.LBB4_1384:                             ;   in Loop: Header=BB4_1387 Depth=2
	s_or_b32 exec_lo, exec_lo, s5
	v_readfirstlane_b32 s5, v2
	s_cmp_eq_u32 s5, 0
	s_cbranch_scc1 .LBB4_1386
; %bb.1385:                             ;   in Loop: Header=BB4_1387 Depth=2
	s_sleep 1
	s_cbranch_execnz .LBB4_1387
	s_branch .LBB4_1389
	.p2align	6
.LBB4_1386:                             ;   in Loop: Header=BB4_1318 Depth=1
	s_branch .LBB4_1389
.LBB4_1387:                             ;   Parent Loop BB4_1318 Depth=1
                                        ; =>  This Inner Loop Header: Depth=2
	v_mov_b32_e32 v2, 1
	s_and_saveexec_b32 s5, s4
	s_cbranch_execz .LBB4_1384
; %bb.1388:                             ;   in Loop: Header=BB4_1387 Depth=2
	global_load_dword v2, v[26:27], off offset:20 glc dlc
	s_waitcnt vmcnt(0)
	buffer_gl1_inv
	buffer_gl0_inv
	v_and_b32_e32 v2, 1, v2
	s_branch .LBB4_1384
.LBB4_1389:                             ;   in Loop: Header=BB4_1318 Depth=1
	global_load_dwordx4 v[0:3], v[0:1], off
	s_and_saveexec_b32 s5, s4
	s_cbranch_execz .LBB4_1317
; %bb.1390:                             ;   in Loop: Header=BB4_1318 Depth=1
	s_clause 0x2
	global_load_dwordx2 v[2:3], v7, s[6:7] offset:40
	global_load_dwordx2 v[14:15], v7, s[6:7] offset:24 glc dlc
	global_load_dwordx2 v[12:13], v7, s[6:7]
	s_waitcnt vmcnt(2)
	v_add_co_u32 v6, vcc_lo, v2, 1
	v_add_co_ci_u32_e32 v16, vcc_lo, 0, v3, vcc_lo
	v_add_co_u32 v10, vcc_lo, v6, s20
	v_add_co_ci_u32_e32 v11, vcc_lo, s21, v16, vcc_lo
	v_cmp_eq_u64_e32 vcc_lo, 0, v[10:11]
	v_cndmask_b32_e32 v11, v11, v16, vcc_lo
	v_cndmask_b32_e32 v10, v10, v6, vcc_lo
	v_and_b32_e32 v3, v11, v3
	v_and_b32_e32 v2, v10, v2
	v_mul_lo_u32 v3, v3, 24
	v_mul_hi_u32 v6, v2, 24
	v_mul_lo_u32 v2, v2, 24
	v_add_nc_u32_e32 v3, v6, v3
	s_waitcnt vmcnt(0)
	v_add_co_u32 v2, vcc_lo, v12, v2
	v_mov_b32_e32 v12, v14
	v_add_co_ci_u32_e32 v3, vcc_lo, v13, v3, vcc_lo
	v_mov_b32_e32 v13, v15
	global_store_dwordx2 v[2:3], v[14:15], off
	s_waitcnt_vscnt null, 0x0
	global_atomic_cmpswap_x2 v[12:13], v7, v[10:13], s[6:7] offset:24 glc
	s_waitcnt vmcnt(0)
	v_cmp_ne_u64_e32 vcc_lo, v[12:13], v[14:15]
	s_and_b32 exec_lo, exec_lo, vcc_lo
	s_cbranch_execz .LBB4_1317
; %bb.1391:                             ;   in Loop: Header=BB4_1318 Depth=1
	s_mov_b32 s4, 0
.LBB4_1392:                             ;   Parent Loop BB4_1318 Depth=1
                                        ; =>  This Inner Loop Header: Depth=2
	s_sleep 1
	global_store_dwordx2 v[2:3], v[12:13], off
	s_waitcnt_vscnt null, 0x0
	global_atomic_cmpswap_x2 v[14:15], v7, v[10:13], s[6:7] offset:24 glc
	s_waitcnt vmcnt(0)
	v_cmp_eq_u64_e32 vcc_lo, v[14:15], v[12:13]
	v_mov_b32_e32 v12, v14
	v_mov_b32_e32 v13, v15
	s_or_b32 s4, vcc_lo, s4
	s_andn2_b32 exec_lo, exec_lo, s4
	s_cbranch_execnz .LBB4_1392
	s_branch .LBB4_1317
.LBB4_1393:
	s_branch .LBB4_1422
.LBB4_1394:
                                        ; implicit-def: $vgpr0_vgpr1
	s_cbranch_execz .LBB4_1422
; %bb.1395:
	v_readfirstlane_b32 s4, v32
	v_mov_b32_e32 v7, 0
	v_mov_b32_e32 v8, 0
	v_cmp_eq_u32_e64 s4, s4, v32
	s_and_saveexec_b32 s5, s4
	s_cbranch_execz .LBB4_1401
; %bb.1396:
	s_waitcnt vmcnt(0)
	v_mov_b32_e32 v0, 0
	s_mov_b32 s10, exec_lo
	global_load_dwordx2 v[9:10], v0, s[6:7] offset:24 glc dlc
	s_waitcnt vmcnt(0)
	buffer_gl1_inv
	buffer_gl0_inv
	s_clause 0x1
	global_load_dwordx2 v[1:2], v0, s[6:7] offset:40
	global_load_dwordx2 v[6:7], v0, s[6:7]
	s_waitcnt vmcnt(1)
	v_and_b32_e32 v2, v2, v10
	v_and_b32_e32 v1, v1, v9
	v_mul_lo_u32 v2, v2, 24
	v_mul_hi_u32 v3, v1, 24
	v_mul_lo_u32 v1, v1, 24
	v_add_nc_u32_e32 v2, v3, v2
	s_waitcnt vmcnt(0)
	v_add_co_u32 v1, vcc_lo, v6, v1
	v_add_co_ci_u32_e32 v2, vcc_lo, v7, v2, vcc_lo
	global_load_dwordx2 v[7:8], v[1:2], off glc dlc
	s_waitcnt vmcnt(0)
	global_atomic_cmpswap_x2 v[7:8], v0, v[7:10], s[6:7] offset:24 glc
	s_waitcnt vmcnt(0)
	buffer_gl1_inv
	buffer_gl0_inv
	v_cmpx_ne_u64_e64 v[7:8], v[9:10]
	s_cbranch_execz .LBB4_1400
; %bb.1397:
	s_mov_b32 s11, 0
	.p2align	6
.LBB4_1398:                             ; =>This Inner Loop Header: Depth=1
	s_sleep 1
	s_clause 0x1
	global_load_dwordx2 v[1:2], v0, s[6:7] offset:40
	global_load_dwordx2 v[11:12], v0, s[6:7]
	v_mov_b32_e32 v10, v8
	v_mov_b32_e32 v9, v7
	s_waitcnt vmcnt(1)
	v_and_b32_e32 v1, v1, v9
	v_and_b32_e32 v2, v2, v10
	s_waitcnt vmcnt(0)
	v_mad_u64_u32 v[6:7], null, v1, 24, v[11:12]
	v_mov_b32_e32 v1, v7
	v_mad_u64_u32 v[1:2], null, v2, 24, v[1:2]
	v_mov_b32_e32 v7, v1
	global_load_dwordx2 v[7:8], v[6:7], off glc dlc
	s_waitcnt vmcnt(0)
	global_atomic_cmpswap_x2 v[7:8], v0, v[7:10], s[6:7] offset:24 glc
	s_waitcnt vmcnt(0)
	buffer_gl1_inv
	buffer_gl0_inv
	v_cmp_eq_u64_e32 vcc_lo, v[7:8], v[9:10]
	s_or_b32 s11, vcc_lo, s11
	s_andn2_b32 exec_lo, exec_lo, s11
	s_cbranch_execnz .LBB4_1398
; %bb.1399:
	s_or_b32 exec_lo, exec_lo, s11
.LBB4_1400:
	s_or_b32 exec_lo, exec_lo, s10
.LBB4_1401:
	s_or_b32 exec_lo, exec_lo, s5
	v_mov_b32_e32 v6, 0
	v_readfirstlane_b32 s10, v7
	v_readfirstlane_b32 s11, v8
	s_mov_b32 s5, exec_lo
	s_clause 0x1
	global_load_dwordx2 v[9:10], v6, s[6:7] offset:40
	global_load_dwordx4 v[0:3], v6, s[6:7]
	s_waitcnt vmcnt(1)
	v_readfirstlane_b32 s16, v9
	v_readfirstlane_b32 s17, v10
	s_and_b64 s[16:17], s[10:11], s[16:17]
	s_mul_i32 s15, s17, 24
	s_mul_hi_u32 s18, s16, 24
	s_mul_i32 s19, s16, 24
	s_add_i32 s18, s18, s15
	s_waitcnt vmcnt(0)
	v_add_co_u32 v8, vcc_lo, v0, s19
	v_add_co_ci_u32_e32 v9, vcc_lo, s18, v1, vcc_lo
	s_and_saveexec_b32 s15, s4
	s_cbranch_execz .LBB4_1403
; %bb.1402:
	v_mov_b32_e32 v10, s5
	v_mov_b32_e32 v11, v6
	;; [unrolled: 1-line block ×4, first 2 shown]
	global_store_dwordx4 v[8:9], v[10:13], off offset:8
.LBB4_1403:
	s_or_b32 exec_lo, exec_lo, s15
	s_lshl_b64 s[16:17], s[16:17], 12
	v_and_or_b32 v4, 0xffffff1f, v4, 32
	v_add_co_u32 v2, vcc_lo, v2, s16
	v_add_co_ci_u32_e32 v3, vcc_lo, s17, v3, vcc_lo
	s_mov_b32 s16, 0
	v_add_co_u32 v10, vcc_lo, v2, v31
	s_mov_b32 s17, s16
	s_mov_b32 s18, s16
	;; [unrolled: 1-line block ×3, first 2 shown]
	v_mov_b32_e32 v7, v6
	v_readfirstlane_b32 s20, v2
	v_readfirstlane_b32 s21, v3
	v_mov_b32_e32 v12, s16
	v_add_co_ci_u32_e32 v11, vcc_lo, 0, v3, vcc_lo
	v_mov_b32_e32 v13, s17
	v_mov_b32_e32 v14, s18
	;; [unrolled: 1-line block ×3, first 2 shown]
	global_store_dwordx4 v31, v[4:7], s[20:21]
	global_store_dwordx4 v31, v[12:15], s[20:21] offset:16
	global_store_dwordx4 v31, v[12:15], s[20:21] offset:32
	;; [unrolled: 1-line block ×3, first 2 shown]
	s_and_saveexec_b32 s5, s4
	s_cbranch_execz .LBB4_1411
; %bb.1404:
	v_mov_b32_e32 v6, 0
	v_mov_b32_e32 v12, s10
	;; [unrolled: 1-line block ×3, first 2 shown]
	s_clause 0x1
	global_load_dwordx2 v[14:15], v6, s[6:7] offset:32 glc dlc
	global_load_dwordx2 v[2:3], v6, s[6:7] offset:40
	s_waitcnt vmcnt(0)
	v_readfirstlane_b32 s16, v2
	v_readfirstlane_b32 s17, v3
	s_and_b64 s[16:17], s[16:17], s[10:11]
	s_mul_i32 s15, s17, 24
	s_mul_hi_u32 s17, s16, 24
	s_mul_i32 s16, s16, 24
	s_add_i32 s17, s17, s15
	v_add_co_u32 v4, vcc_lo, v0, s16
	v_add_co_ci_u32_e32 v5, vcc_lo, s17, v1, vcc_lo
	s_mov_b32 s15, exec_lo
	global_store_dwordx2 v[4:5], v[14:15], off
	s_waitcnt_vscnt null, 0x0
	global_atomic_cmpswap_x2 v[2:3], v6, v[12:15], s[6:7] offset:32 glc
	s_waitcnt vmcnt(0)
	v_cmpx_ne_u64_e64 v[2:3], v[14:15]
	s_cbranch_execz .LBB4_1407
; %bb.1405:
	s_mov_b32 s16, 0
.LBB4_1406:                             ; =>This Inner Loop Header: Depth=1
	v_mov_b32_e32 v0, s10
	v_mov_b32_e32 v1, s11
	s_sleep 1
	global_store_dwordx2 v[4:5], v[2:3], off
	s_waitcnt_vscnt null, 0x0
	global_atomic_cmpswap_x2 v[0:1], v6, v[0:3], s[6:7] offset:32 glc
	s_waitcnt vmcnt(0)
	v_cmp_eq_u64_e32 vcc_lo, v[0:1], v[2:3]
	v_mov_b32_e32 v3, v1
	v_mov_b32_e32 v2, v0
	s_or_b32 s16, vcc_lo, s16
	s_andn2_b32 exec_lo, exec_lo, s16
	s_cbranch_execnz .LBB4_1406
.LBB4_1407:
	s_or_b32 exec_lo, exec_lo, s15
	v_mov_b32_e32 v3, 0
	s_mov_b32 s16, exec_lo
	s_mov_b32 s15, exec_lo
	v_mbcnt_lo_u32_b32 v2, s16, 0
	global_load_dwordx2 v[0:1], v3, s[6:7] offset:16
	v_cmpx_eq_u32_e32 0, v2
	s_cbranch_execz .LBB4_1409
; %bb.1408:
	s_bcnt1_i32_b32 s16, s16
	v_mov_b32_e32 v2, s16
	s_waitcnt vmcnt(0)
	global_atomic_add_x2 v[0:1], v[2:3], off offset:8
.LBB4_1409:
	s_or_b32 exec_lo, exec_lo, s15
	s_waitcnt vmcnt(0)
	global_load_dwordx2 v[2:3], v[0:1], off offset:16
	s_waitcnt vmcnt(0)
	v_cmp_eq_u64_e32 vcc_lo, 0, v[2:3]
	s_cbranch_vccnz .LBB4_1411
; %bb.1410:
	global_load_dword v0, v[0:1], off offset:24
	v_mov_b32_e32 v1, 0
	s_waitcnt vmcnt(0)
	v_and_b32_e32 v4, 0x7fffff, v0
	s_waitcnt_vscnt null, 0x0
	global_store_dwordx2 v[2:3], v[0:1], off
	v_readfirstlane_b32 m0, v4
	s_sendmsg sendmsg(MSG_INTERRUPT)
.LBB4_1411:
	s_or_b32 exec_lo, exec_lo, s5
	s_branch .LBB4_1415
	.p2align	6
.LBB4_1412:                             ;   in Loop: Header=BB4_1415 Depth=1
	s_or_b32 exec_lo, exec_lo, s5
	v_readfirstlane_b32 s5, v0
	s_cmp_eq_u32 s5, 0
	s_cbranch_scc1 .LBB4_1414
; %bb.1413:                             ;   in Loop: Header=BB4_1415 Depth=1
	s_sleep 1
	s_cbranch_execnz .LBB4_1415
	s_branch .LBB4_1417
	.p2align	6
.LBB4_1414:
	s_branch .LBB4_1417
.LBB4_1415:                             ; =>This Inner Loop Header: Depth=1
	v_mov_b32_e32 v0, 1
	s_and_saveexec_b32 s5, s4
	s_cbranch_execz .LBB4_1412
; %bb.1416:                             ;   in Loop: Header=BB4_1415 Depth=1
	global_load_dword v0, v[8:9], off offset:20 glc dlc
	s_waitcnt vmcnt(0)
	buffer_gl1_inv
	buffer_gl0_inv
	v_and_b32_e32 v0, 1, v0
	s_branch .LBB4_1412
.LBB4_1417:
	global_load_dwordx2 v[0:1], v[10:11], off
	s_and_saveexec_b32 s5, s4
	s_cbranch_execz .LBB4_1421
; %bb.1418:
	v_mov_b32_e32 v8, 0
	s_clause 0x2
	global_load_dwordx2 v[4:5], v8, s[6:7] offset:40
	global_load_dwordx2 v[9:10], v8, s[6:7] offset:24 glc dlc
	global_load_dwordx2 v[6:7], v8, s[6:7]
	s_waitcnt vmcnt(2)
	v_add_co_u32 v11, vcc_lo, v4, 1
	v_add_co_ci_u32_e32 v12, vcc_lo, 0, v5, vcc_lo
	v_add_co_u32 v2, vcc_lo, v11, s10
	v_add_co_ci_u32_e32 v3, vcc_lo, s11, v12, vcc_lo
	v_cmp_eq_u64_e32 vcc_lo, 0, v[2:3]
	v_cndmask_b32_e32 v3, v3, v12, vcc_lo
	v_cndmask_b32_e32 v2, v2, v11, vcc_lo
	v_and_b32_e32 v5, v3, v5
	v_and_b32_e32 v4, v2, v4
	v_mul_lo_u32 v5, v5, 24
	v_mul_hi_u32 v11, v4, 24
	v_mul_lo_u32 v4, v4, 24
	v_add_nc_u32_e32 v5, v11, v5
	s_waitcnt vmcnt(0)
	v_add_co_u32 v6, vcc_lo, v6, v4
	v_mov_b32_e32 v4, v9
	v_add_co_ci_u32_e32 v7, vcc_lo, v7, v5, vcc_lo
	v_mov_b32_e32 v5, v10
	global_store_dwordx2 v[6:7], v[9:10], off
	s_waitcnt_vscnt null, 0x0
	global_atomic_cmpswap_x2 v[4:5], v8, v[2:5], s[6:7] offset:24 glc
	s_waitcnt vmcnt(0)
	v_cmp_ne_u64_e32 vcc_lo, v[4:5], v[9:10]
	s_and_b32 exec_lo, exec_lo, vcc_lo
	s_cbranch_execz .LBB4_1421
; %bb.1419:
	s_mov_b32 s4, 0
.LBB4_1420:                             ; =>This Inner Loop Header: Depth=1
	s_sleep 1
	global_store_dwordx2 v[6:7], v[4:5], off
	s_waitcnt_vscnt null, 0x0
	global_atomic_cmpswap_x2 v[9:10], v8, v[2:5], s[6:7] offset:24 glc
	s_waitcnt vmcnt(0)
	v_cmp_eq_u64_e32 vcc_lo, v[9:10], v[4:5]
	v_mov_b32_e32 v4, v9
	v_mov_b32_e32 v5, v10
	s_or_b32 s4, vcc_lo, s4
	s_andn2_b32 exec_lo, exec_lo, s4
	s_cbranch_execnz .LBB4_1420
.LBB4_1421:
	s_or_b32 exec_lo, exec_lo, s5
.LBB4_1422:
	s_getpc_b64 s[10:11]
	s_add_u32 s10, s10, .str.2@rel32@lo+4
	s_addc_u32 s11, s11, .str.2@rel32@hi+12
	s_cmp_lg_u64 s[10:11], 0
	s_cbranch_scc0 .LBB4_1501
; %bb.1423:
	s_waitcnt vmcnt(0)
	v_and_b32_e32 v6, -3, v0
	v_mov_b32_e32 v7, v1
	v_mov_b32_e32 v3, 0
	;; [unrolled: 1-line block ×4, first 2 shown]
	s_mov_b64 s[16:17], 13
	s_branch .LBB4_1425
.LBB4_1424:                             ;   in Loop: Header=BB4_1425 Depth=1
	s_or_b32 exec_lo, exec_lo, s5
	s_sub_u32 s16, s16, s18
	s_subb_u32 s17, s17, s19
	s_add_u32 s10, s10, s18
	s_addc_u32 s11, s11, s19
	s_cmp_lg_u64 s[16:17], 0
	s_cbranch_scc0 .LBB4_1500
.LBB4_1425:                             ; =>This Loop Header: Depth=1
                                        ;     Child Loop BB4_1434 Depth 2
                                        ;     Child Loop BB4_1430 Depth 2
	;; [unrolled: 1-line block ×11, first 2 shown]
	v_cmp_lt_u64_e64 s4, s[16:17], 56
	v_cmp_gt_u64_e64 s5, s[16:17], 7
                                        ; implicit-def: $sgpr15
	s_and_b32 s4, s4, exec_lo
	s_cselect_b32 s19, s17, 0
	s_cselect_b32 s18, s16, 56
	s_and_b32 vcc_lo, exec_lo, s5
	s_mov_b32 s4, -1
	s_cbranch_vccz .LBB4_1432
; %bb.1426:                             ;   in Loop: Header=BB4_1425 Depth=1
	s_andn2_b32 vcc_lo, exec_lo, s4
	s_mov_b64 s[4:5], s[10:11]
	s_cbranch_vccz .LBB4_1436
.LBB4_1427:                             ;   in Loop: Header=BB4_1425 Depth=1
	s_cmp_gt_u32 s15, 7
	s_cbranch_scc1 .LBB4_1437
.LBB4_1428:                             ;   in Loop: Header=BB4_1425 Depth=1
	v_mov_b32_e32 v10, 0
	v_mov_b32_e32 v11, 0
	s_cmp_eq_u32 s15, 0
	s_cbranch_scc1 .LBB4_1431
; %bb.1429:                             ;   in Loop: Header=BB4_1425 Depth=1
	s_mov_b64 s[20:21], 0
	s_mov_b64 s[22:23], 0
.LBB4_1430:                             ;   Parent Loop BB4_1425 Depth=1
                                        ; =>  This Inner Loop Header: Depth=2
	s_add_u32 s24, s4, s22
	s_addc_u32 s25, s5, s23
	s_add_u32 s22, s22, 1
	global_load_ubyte v2, v3, s[24:25]
	s_addc_u32 s23, s23, 0
	s_waitcnt vmcnt(0)
	v_and_b32_e32 v2, 0xffff, v2
	v_lshlrev_b64 v[12:13], s20, v[2:3]
	s_add_u32 s20, s20, 8
	s_addc_u32 s21, s21, 0
	s_cmp_lg_u32 s15, s22
	v_or_b32_e32 v10, v12, v10
	v_or_b32_e32 v11, v13, v11
	s_cbranch_scc1 .LBB4_1430
.LBB4_1431:                             ;   in Loop: Header=BB4_1425 Depth=1
	s_mov_b32 s24, 0
	s_cbranch_execz .LBB4_1438
	s_branch .LBB4_1439
.LBB4_1432:                             ;   in Loop: Header=BB4_1425 Depth=1
	s_waitcnt vmcnt(0)
	v_mov_b32_e32 v8, 0
	v_mov_b32_e32 v9, 0
	s_cmp_eq_u64 s[16:17], 0
	s_mov_b64 s[4:5], 0
	s_cbranch_scc1 .LBB4_1435
; %bb.1433:                             ;   in Loop: Header=BB4_1425 Depth=1
	v_mov_b32_e32 v8, 0
	v_mov_b32_e32 v9, 0
	s_lshl_b64 s[20:21], s[18:19], 3
	s_mov_b64 s[22:23], s[10:11]
.LBB4_1434:                             ;   Parent Loop BB4_1425 Depth=1
                                        ; =>  This Inner Loop Header: Depth=2
	global_load_ubyte v2, v3, s[22:23]
	s_waitcnt vmcnt(0)
	v_and_b32_e32 v2, 0xffff, v2
	v_lshlrev_b64 v[10:11], s4, v[2:3]
	s_add_u32 s4, s4, 8
	s_addc_u32 s5, s5, 0
	s_add_u32 s22, s22, 1
	s_addc_u32 s23, s23, 0
	s_cmp_lg_u32 s20, s4
	v_or_b32_e32 v8, v10, v8
	v_or_b32_e32 v9, v11, v9
	s_cbranch_scc1 .LBB4_1434
.LBB4_1435:                             ;   in Loop: Header=BB4_1425 Depth=1
	s_mov_b32 s15, 0
	s_mov_b64 s[4:5], s[10:11]
	s_cbranch_execnz .LBB4_1427
.LBB4_1436:                             ;   in Loop: Header=BB4_1425 Depth=1
	global_load_dwordx2 v[8:9], v3, s[10:11]
	s_add_i32 s15, s18, -8
	s_add_u32 s4, s10, 8
	s_addc_u32 s5, s11, 0
	s_cmp_gt_u32 s15, 7
	s_cbranch_scc0 .LBB4_1428
.LBB4_1437:                             ;   in Loop: Header=BB4_1425 Depth=1
                                        ; implicit-def: $vgpr10_vgpr11
                                        ; implicit-def: $sgpr24
.LBB4_1438:                             ;   in Loop: Header=BB4_1425 Depth=1
	global_load_dwordx2 v[10:11], v3, s[4:5]
	s_add_i32 s24, s15, -8
	s_add_u32 s4, s4, 8
	s_addc_u32 s5, s5, 0
.LBB4_1439:                             ;   in Loop: Header=BB4_1425 Depth=1
	s_cmp_gt_u32 s24, 7
	s_cbranch_scc1 .LBB4_1444
; %bb.1440:                             ;   in Loop: Header=BB4_1425 Depth=1
	v_mov_b32_e32 v12, 0
	v_mov_b32_e32 v13, 0
	s_cmp_eq_u32 s24, 0
	s_cbranch_scc1 .LBB4_1443
; %bb.1441:                             ;   in Loop: Header=BB4_1425 Depth=1
	s_mov_b64 s[20:21], 0
	s_mov_b64 s[22:23], 0
.LBB4_1442:                             ;   Parent Loop BB4_1425 Depth=1
                                        ; =>  This Inner Loop Header: Depth=2
	s_add_u32 s26, s4, s22
	s_addc_u32 s27, s5, s23
	s_add_u32 s22, s22, 1
	global_load_ubyte v2, v3, s[26:27]
	s_addc_u32 s23, s23, 0
	s_waitcnt vmcnt(0)
	v_and_b32_e32 v2, 0xffff, v2
	v_lshlrev_b64 v[14:15], s20, v[2:3]
	s_add_u32 s20, s20, 8
	s_addc_u32 s21, s21, 0
	s_cmp_lg_u32 s24, s22
	v_or_b32_e32 v12, v14, v12
	v_or_b32_e32 v13, v15, v13
	s_cbranch_scc1 .LBB4_1442
.LBB4_1443:                             ;   in Loop: Header=BB4_1425 Depth=1
	s_mov_b32 s15, 0
	s_cbranch_execz .LBB4_1445
	s_branch .LBB4_1446
.LBB4_1444:                             ;   in Loop: Header=BB4_1425 Depth=1
                                        ; implicit-def: $sgpr15
.LBB4_1445:                             ;   in Loop: Header=BB4_1425 Depth=1
	global_load_dwordx2 v[12:13], v3, s[4:5]
	s_add_i32 s15, s24, -8
	s_add_u32 s4, s4, 8
	s_addc_u32 s5, s5, 0
.LBB4_1446:                             ;   in Loop: Header=BB4_1425 Depth=1
	s_cmp_gt_u32 s15, 7
	s_cbranch_scc1 .LBB4_1451
; %bb.1447:                             ;   in Loop: Header=BB4_1425 Depth=1
	v_mov_b32_e32 v14, 0
	v_mov_b32_e32 v15, 0
	s_cmp_eq_u32 s15, 0
	s_cbranch_scc1 .LBB4_1450
; %bb.1448:                             ;   in Loop: Header=BB4_1425 Depth=1
	s_mov_b64 s[20:21], 0
	s_mov_b64 s[22:23], 0
.LBB4_1449:                             ;   Parent Loop BB4_1425 Depth=1
                                        ; =>  This Inner Loop Header: Depth=2
	s_add_u32 s24, s4, s22
	s_addc_u32 s25, s5, s23
	s_add_u32 s22, s22, 1
	global_load_ubyte v2, v3, s[24:25]
	s_addc_u32 s23, s23, 0
	s_waitcnt vmcnt(0)
	v_and_b32_e32 v2, 0xffff, v2
	v_lshlrev_b64 v[16:17], s20, v[2:3]
	s_add_u32 s20, s20, 8
	s_addc_u32 s21, s21, 0
	s_cmp_lg_u32 s15, s22
	v_or_b32_e32 v14, v16, v14
	v_or_b32_e32 v15, v17, v15
	s_cbranch_scc1 .LBB4_1449
.LBB4_1450:                             ;   in Loop: Header=BB4_1425 Depth=1
	s_mov_b32 s24, 0
	s_cbranch_execz .LBB4_1452
	s_branch .LBB4_1453
.LBB4_1451:                             ;   in Loop: Header=BB4_1425 Depth=1
                                        ; implicit-def: $vgpr14_vgpr15
                                        ; implicit-def: $sgpr24
.LBB4_1452:                             ;   in Loop: Header=BB4_1425 Depth=1
	global_load_dwordx2 v[14:15], v3, s[4:5]
	s_add_i32 s24, s15, -8
	s_add_u32 s4, s4, 8
	s_addc_u32 s5, s5, 0
.LBB4_1453:                             ;   in Loop: Header=BB4_1425 Depth=1
	s_cmp_gt_u32 s24, 7
	s_cbranch_scc1 .LBB4_1458
; %bb.1454:                             ;   in Loop: Header=BB4_1425 Depth=1
	v_mov_b32_e32 v16, 0
	v_mov_b32_e32 v17, 0
	s_cmp_eq_u32 s24, 0
	s_cbranch_scc1 .LBB4_1457
; %bb.1455:                             ;   in Loop: Header=BB4_1425 Depth=1
	s_mov_b64 s[20:21], 0
	s_mov_b64 s[22:23], 0
.LBB4_1456:                             ;   Parent Loop BB4_1425 Depth=1
                                        ; =>  This Inner Loop Header: Depth=2
	s_add_u32 s26, s4, s22
	s_addc_u32 s27, s5, s23
	s_add_u32 s22, s22, 1
	global_load_ubyte v2, v3, s[26:27]
	s_addc_u32 s23, s23, 0
	s_waitcnt vmcnt(0)
	v_and_b32_e32 v2, 0xffff, v2
	v_lshlrev_b64 v[18:19], s20, v[2:3]
	s_add_u32 s20, s20, 8
	s_addc_u32 s21, s21, 0
	s_cmp_lg_u32 s24, s22
	v_or_b32_e32 v16, v18, v16
	v_or_b32_e32 v17, v19, v17
	s_cbranch_scc1 .LBB4_1456
.LBB4_1457:                             ;   in Loop: Header=BB4_1425 Depth=1
	s_mov_b32 s15, 0
	s_cbranch_execz .LBB4_1459
	s_branch .LBB4_1460
.LBB4_1458:                             ;   in Loop: Header=BB4_1425 Depth=1
                                        ; implicit-def: $sgpr15
.LBB4_1459:                             ;   in Loop: Header=BB4_1425 Depth=1
	global_load_dwordx2 v[16:17], v3, s[4:5]
	s_add_i32 s15, s24, -8
	s_add_u32 s4, s4, 8
	s_addc_u32 s5, s5, 0
.LBB4_1460:                             ;   in Loop: Header=BB4_1425 Depth=1
	s_cmp_gt_u32 s15, 7
	s_cbranch_scc1 .LBB4_1465
; %bb.1461:                             ;   in Loop: Header=BB4_1425 Depth=1
	v_mov_b32_e32 v18, 0
	v_mov_b32_e32 v19, 0
	s_cmp_eq_u32 s15, 0
	s_cbranch_scc1 .LBB4_1464
; %bb.1462:                             ;   in Loop: Header=BB4_1425 Depth=1
	s_mov_b64 s[20:21], 0
	s_mov_b64 s[22:23], 0
.LBB4_1463:                             ;   Parent Loop BB4_1425 Depth=1
                                        ; =>  This Inner Loop Header: Depth=2
	s_add_u32 s24, s4, s22
	s_addc_u32 s25, s5, s23
	s_add_u32 s22, s22, 1
	global_load_ubyte v2, v3, s[24:25]
	s_addc_u32 s23, s23, 0
	s_waitcnt vmcnt(0)
	v_and_b32_e32 v2, 0xffff, v2
	v_lshlrev_b64 v[20:21], s20, v[2:3]
	s_add_u32 s20, s20, 8
	s_addc_u32 s21, s21, 0
	s_cmp_lg_u32 s15, s22
	v_or_b32_e32 v18, v20, v18
	v_or_b32_e32 v19, v21, v19
	s_cbranch_scc1 .LBB4_1463
.LBB4_1464:                             ;   in Loop: Header=BB4_1425 Depth=1
	s_mov_b32 s24, 0
	s_cbranch_execz .LBB4_1466
	s_branch .LBB4_1467
.LBB4_1465:                             ;   in Loop: Header=BB4_1425 Depth=1
                                        ; implicit-def: $vgpr18_vgpr19
                                        ; implicit-def: $sgpr24
.LBB4_1466:                             ;   in Loop: Header=BB4_1425 Depth=1
	global_load_dwordx2 v[18:19], v3, s[4:5]
	s_add_i32 s24, s15, -8
	s_add_u32 s4, s4, 8
	s_addc_u32 s5, s5, 0
.LBB4_1467:                             ;   in Loop: Header=BB4_1425 Depth=1
	s_cmp_gt_u32 s24, 7
	s_cbranch_scc1 .LBB4_1472
; %bb.1468:                             ;   in Loop: Header=BB4_1425 Depth=1
	v_mov_b32_e32 v20, 0
	v_mov_b32_e32 v21, 0
	s_cmp_eq_u32 s24, 0
	s_cbranch_scc1 .LBB4_1471
; %bb.1469:                             ;   in Loop: Header=BB4_1425 Depth=1
	s_mov_b64 s[20:21], 0
	s_mov_b64 s[22:23], s[4:5]
.LBB4_1470:                             ;   Parent Loop BB4_1425 Depth=1
                                        ; =>  This Inner Loop Header: Depth=2
	global_load_ubyte v2, v3, s[22:23]
	s_add_i32 s24, s24, -1
	s_waitcnt vmcnt(0)
	v_and_b32_e32 v2, 0xffff, v2
	v_lshlrev_b64 v[22:23], s20, v[2:3]
	s_add_u32 s20, s20, 8
	s_addc_u32 s21, s21, 0
	s_add_u32 s22, s22, 1
	s_addc_u32 s23, s23, 0
	s_cmp_lg_u32 s24, 0
	v_or_b32_e32 v20, v22, v20
	v_or_b32_e32 v21, v23, v21
	s_cbranch_scc1 .LBB4_1470
.LBB4_1471:                             ;   in Loop: Header=BB4_1425 Depth=1
	s_cbranch_execz .LBB4_1473
	s_branch .LBB4_1474
.LBB4_1472:                             ;   in Loop: Header=BB4_1425 Depth=1
.LBB4_1473:                             ;   in Loop: Header=BB4_1425 Depth=1
	global_load_dwordx2 v[20:21], v3, s[4:5]
.LBB4_1474:                             ;   in Loop: Header=BB4_1425 Depth=1
	v_readfirstlane_b32 s4, v32
	v_mov_b32_e32 v26, 0
	v_mov_b32_e32 v27, 0
	v_cmp_eq_u32_e64 s4, s4, v32
	s_and_saveexec_b32 s5, s4
	s_cbranch_execz .LBB4_1480
; %bb.1475:                             ;   in Loop: Header=BB4_1425 Depth=1
	global_load_dwordx2 v[24:25], v3, s[6:7] offset:24 glc dlc
	s_waitcnt vmcnt(0)
	buffer_gl1_inv
	buffer_gl0_inv
	s_clause 0x1
	global_load_dwordx2 v[22:23], v3, s[6:7] offset:40
	global_load_dwordx2 v[26:27], v3, s[6:7]
	s_mov_b32 s15, exec_lo
	s_waitcnt vmcnt(1)
	v_and_b32_e32 v2, v23, v25
	v_and_b32_e32 v22, v22, v24
	v_mul_lo_u32 v2, v2, 24
	v_mul_hi_u32 v23, v22, 24
	v_mul_lo_u32 v22, v22, 24
	v_add_nc_u32_e32 v2, v23, v2
	s_waitcnt vmcnt(0)
	v_add_co_u32 v22, vcc_lo, v26, v22
	v_add_co_ci_u32_e32 v23, vcc_lo, v27, v2, vcc_lo
	global_load_dwordx2 v[22:23], v[22:23], off glc dlc
	s_waitcnt vmcnt(0)
	global_atomic_cmpswap_x2 v[26:27], v3, v[22:25], s[6:7] offset:24 glc
	s_waitcnt vmcnt(0)
	buffer_gl1_inv
	buffer_gl0_inv
	v_cmpx_ne_u64_e64 v[26:27], v[24:25]
	s_cbranch_execz .LBB4_1479
; %bb.1476:                             ;   in Loop: Header=BB4_1425 Depth=1
	s_mov_b32 s20, 0
	.p2align	6
.LBB4_1477:                             ;   Parent Loop BB4_1425 Depth=1
                                        ; =>  This Inner Loop Header: Depth=2
	s_sleep 1
	s_clause 0x1
	global_load_dwordx2 v[22:23], v3, s[6:7] offset:40
	global_load_dwordx2 v[28:29], v3, s[6:7]
	v_mov_b32_e32 v24, v26
	v_mov_b32_e32 v25, v27
	s_waitcnt vmcnt(1)
	v_and_b32_e32 v2, v22, v24
	v_and_b32_e32 v22, v23, v25
	s_waitcnt vmcnt(0)
	v_mad_u64_u32 v[26:27], null, v2, 24, v[28:29]
	v_mov_b32_e32 v2, v27
	v_mad_u64_u32 v[22:23], null, v22, 24, v[2:3]
	v_mov_b32_e32 v27, v22
	global_load_dwordx2 v[22:23], v[26:27], off glc dlc
	s_waitcnt vmcnt(0)
	global_atomic_cmpswap_x2 v[26:27], v3, v[22:25], s[6:7] offset:24 glc
	s_waitcnt vmcnt(0)
	buffer_gl1_inv
	buffer_gl0_inv
	v_cmp_eq_u64_e32 vcc_lo, v[26:27], v[24:25]
	s_or_b32 s20, vcc_lo, s20
	s_andn2_b32 exec_lo, exec_lo, s20
	s_cbranch_execnz .LBB4_1477
; %bb.1478:                             ;   in Loop: Header=BB4_1425 Depth=1
	s_or_b32 exec_lo, exec_lo, s20
.LBB4_1479:                             ;   in Loop: Header=BB4_1425 Depth=1
	s_or_b32 exec_lo, exec_lo, s15
.LBB4_1480:                             ;   in Loop: Header=BB4_1425 Depth=1
	s_or_b32 exec_lo, exec_lo, s5
	s_clause 0x1
	global_load_dwordx2 v[28:29], v3, s[6:7] offset:40
	global_load_dwordx4 v[22:25], v3, s[6:7]
	v_readfirstlane_b32 s20, v26
	v_readfirstlane_b32 s21, v27
	s_mov_b32 s5, exec_lo
	s_waitcnt vmcnt(1)
	v_readfirstlane_b32 s22, v28
	v_readfirstlane_b32 s23, v29
	s_and_b64 s[22:23], s[20:21], s[22:23]
	s_mul_i32 s15, s23, 24
	s_mul_hi_u32 s24, s22, 24
	s_mul_i32 s25, s22, 24
	s_add_i32 s24, s24, s15
	s_waitcnt vmcnt(0)
	v_add_co_u32 v26, vcc_lo, v22, s25
	v_add_co_ci_u32_e32 v27, vcc_lo, s24, v23, vcc_lo
	s_and_saveexec_b32 s15, s4
	s_cbranch_execz .LBB4_1482
; %bb.1481:                             ;   in Loop: Header=BB4_1425 Depth=1
	v_mov_b32_e32 v2, s5
	global_store_dwordx4 v[26:27], v[2:5], off offset:8
.LBB4_1482:                             ;   in Loop: Header=BB4_1425 Depth=1
	s_or_b32 exec_lo, exec_lo, s15
	s_lshl_b64 s[22:23], s[22:23], 12
	v_or_b32_e32 v2, 2, v6
	v_add_co_u32 v24, vcc_lo, v24, s22
	v_add_co_ci_u32_e32 v25, vcc_lo, s23, v25, vcc_lo
	v_cmp_gt_u64_e64 vcc_lo, s[16:17], 56
	s_lshl_b32 s5, s18, 2
	v_readfirstlane_b32 s22, v24
	s_add_i32 s5, s5, 28
	v_readfirstlane_b32 s23, v25
	s_and_b32 s5, s5, 0x1e0
	v_cndmask_b32_e32 v2, v2, v6, vcc_lo
	v_and_or_b32 v6, 0xffffff1f, v2, s5
	global_store_dwordx4 v31, v[10:13], s[22:23] offset:16
	global_store_dwordx4 v31, v[6:9], s[22:23]
	global_store_dwordx4 v31, v[14:17], s[22:23] offset:32
	global_store_dwordx4 v31, v[18:21], s[22:23] offset:48
	s_and_saveexec_b32 s5, s4
	s_cbranch_execz .LBB4_1490
; %bb.1483:                             ;   in Loop: Header=BB4_1425 Depth=1
	s_clause 0x1
	global_load_dwordx2 v[14:15], v3, s[6:7] offset:32 glc dlc
	global_load_dwordx2 v[6:7], v3, s[6:7] offset:40
	v_mov_b32_e32 v12, s20
	v_mov_b32_e32 v13, s21
	s_waitcnt vmcnt(0)
	v_readfirstlane_b32 s22, v6
	v_readfirstlane_b32 s23, v7
	s_and_b64 s[22:23], s[22:23], s[20:21]
	s_mul_i32 s15, s23, 24
	s_mul_hi_u32 s23, s22, 24
	s_mul_i32 s22, s22, 24
	s_add_i32 s23, s23, s15
	v_add_co_u32 v10, vcc_lo, v22, s22
	v_add_co_ci_u32_e32 v11, vcc_lo, s23, v23, vcc_lo
	s_mov_b32 s15, exec_lo
	global_store_dwordx2 v[10:11], v[14:15], off
	s_waitcnt_vscnt null, 0x0
	global_atomic_cmpswap_x2 v[8:9], v3, v[12:15], s[6:7] offset:32 glc
	s_waitcnt vmcnt(0)
	v_cmpx_ne_u64_e64 v[8:9], v[14:15]
	s_cbranch_execz .LBB4_1486
; %bb.1484:                             ;   in Loop: Header=BB4_1425 Depth=1
	s_mov_b32 s22, 0
.LBB4_1485:                             ;   Parent Loop BB4_1425 Depth=1
                                        ; =>  This Inner Loop Header: Depth=2
	v_mov_b32_e32 v6, s20
	v_mov_b32_e32 v7, s21
	s_sleep 1
	global_store_dwordx2 v[10:11], v[8:9], off
	s_waitcnt_vscnt null, 0x0
	global_atomic_cmpswap_x2 v[6:7], v3, v[6:9], s[6:7] offset:32 glc
	s_waitcnt vmcnt(0)
	v_cmp_eq_u64_e32 vcc_lo, v[6:7], v[8:9]
	v_mov_b32_e32 v9, v7
	v_mov_b32_e32 v8, v6
	s_or_b32 s22, vcc_lo, s22
	s_andn2_b32 exec_lo, exec_lo, s22
	s_cbranch_execnz .LBB4_1485
.LBB4_1486:                             ;   in Loop: Header=BB4_1425 Depth=1
	s_or_b32 exec_lo, exec_lo, s15
	global_load_dwordx2 v[6:7], v3, s[6:7] offset:16
	s_mov_b32 s22, exec_lo
	s_mov_b32 s15, exec_lo
	v_mbcnt_lo_u32_b32 v2, s22, 0
	v_cmpx_eq_u32_e32 0, v2
	s_cbranch_execz .LBB4_1488
; %bb.1487:                             ;   in Loop: Header=BB4_1425 Depth=1
	s_bcnt1_i32_b32 s22, s22
	v_mov_b32_e32 v2, s22
	s_waitcnt vmcnt(0)
	global_atomic_add_x2 v[6:7], v[2:3], off offset:8
.LBB4_1488:                             ;   in Loop: Header=BB4_1425 Depth=1
	s_or_b32 exec_lo, exec_lo, s15
	s_waitcnt vmcnt(0)
	global_load_dwordx2 v[8:9], v[6:7], off offset:16
	s_waitcnt vmcnt(0)
	v_cmp_eq_u64_e32 vcc_lo, 0, v[8:9]
	s_cbranch_vccnz .LBB4_1490
; %bb.1489:                             ;   in Loop: Header=BB4_1425 Depth=1
	global_load_dword v2, v[6:7], off offset:24
	s_waitcnt vmcnt(0)
	v_and_b32_e32 v6, 0x7fffff, v2
	s_waitcnt_vscnt null, 0x0
	global_store_dwordx2 v[8:9], v[2:3], off
	v_readfirstlane_b32 m0, v6
	s_sendmsg sendmsg(MSG_INTERRUPT)
.LBB4_1490:                             ;   in Loop: Header=BB4_1425 Depth=1
	s_or_b32 exec_lo, exec_lo, s5
	v_add_co_u32 v6, vcc_lo, v24, v31
	v_add_co_ci_u32_e32 v7, vcc_lo, 0, v25, vcc_lo
	s_branch .LBB4_1494
	.p2align	6
.LBB4_1491:                             ;   in Loop: Header=BB4_1494 Depth=2
	s_or_b32 exec_lo, exec_lo, s5
	v_readfirstlane_b32 s5, v2
	s_cmp_eq_u32 s5, 0
	s_cbranch_scc1 .LBB4_1493
; %bb.1492:                             ;   in Loop: Header=BB4_1494 Depth=2
	s_sleep 1
	s_cbranch_execnz .LBB4_1494
	s_branch .LBB4_1496
	.p2align	6
.LBB4_1493:                             ;   in Loop: Header=BB4_1425 Depth=1
	s_branch .LBB4_1496
.LBB4_1494:                             ;   Parent Loop BB4_1425 Depth=1
                                        ; =>  This Inner Loop Header: Depth=2
	v_mov_b32_e32 v2, 1
	s_and_saveexec_b32 s5, s4
	s_cbranch_execz .LBB4_1491
; %bb.1495:                             ;   in Loop: Header=BB4_1494 Depth=2
	global_load_dword v2, v[26:27], off offset:20 glc dlc
	s_waitcnt vmcnt(0)
	buffer_gl1_inv
	buffer_gl0_inv
	v_and_b32_e32 v2, 1, v2
	s_branch .LBB4_1491
.LBB4_1496:                             ;   in Loop: Header=BB4_1425 Depth=1
	global_load_dwordx4 v[6:9], v[6:7], off
	s_and_saveexec_b32 s5, s4
	s_cbranch_execz .LBB4_1424
; %bb.1497:                             ;   in Loop: Header=BB4_1425 Depth=1
	s_clause 0x2
	global_load_dwordx2 v[10:11], v3, s[6:7] offset:40
	global_load_dwordx2 v[14:15], v3, s[6:7] offset:24 glc dlc
	global_load_dwordx2 v[12:13], v3, s[6:7]
	s_waitcnt vmcnt(2)
	v_add_co_u32 v2, vcc_lo, v10, 1
	v_add_co_ci_u32_e32 v16, vcc_lo, 0, v11, vcc_lo
	v_add_co_u32 v8, vcc_lo, v2, s20
	v_add_co_ci_u32_e32 v9, vcc_lo, s21, v16, vcc_lo
	v_cmp_eq_u64_e32 vcc_lo, 0, v[8:9]
	v_cndmask_b32_e32 v9, v9, v16, vcc_lo
	v_cndmask_b32_e32 v8, v8, v2, vcc_lo
	v_and_b32_e32 v2, v9, v11
	v_and_b32_e32 v10, v8, v10
	v_mul_lo_u32 v2, v2, 24
	v_mul_hi_u32 v11, v10, 24
	v_mul_lo_u32 v10, v10, 24
	v_add_nc_u32_e32 v2, v11, v2
	s_waitcnt vmcnt(0)
	v_add_co_u32 v12, vcc_lo, v12, v10
	v_mov_b32_e32 v10, v14
	v_mov_b32_e32 v11, v15
	v_add_co_ci_u32_e32 v13, vcc_lo, v13, v2, vcc_lo
	global_store_dwordx2 v[12:13], v[14:15], off
	s_waitcnt_vscnt null, 0x0
	global_atomic_cmpswap_x2 v[10:11], v3, v[8:11], s[6:7] offset:24 glc
	s_waitcnt vmcnt(0)
	v_cmp_ne_u64_e32 vcc_lo, v[10:11], v[14:15]
	s_and_b32 exec_lo, exec_lo, vcc_lo
	s_cbranch_execz .LBB4_1424
; %bb.1498:                             ;   in Loop: Header=BB4_1425 Depth=1
	s_mov_b32 s4, 0
.LBB4_1499:                             ;   Parent Loop BB4_1425 Depth=1
                                        ; =>  This Inner Loop Header: Depth=2
	s_sleep 1
	global_store_dwordx2 v[12:13], v[10:11], off
	s_waitcnt_vscnt null, 0x0
	global_atomic_cmpswap_x2 v[14:15], v3, v[8:11], s[6:7] offset:24 glc
	s_waitcnt vmcnt(0)
	v_cmp_eq_u64_e32 vcc_lo, v[14:15], v[10:11]
	v_mov_b32_e32 v10, v14
	v_mov_b32_e32 v11, v15
	s_or_b32 s4, vcc_lo, s4
	s_andn2_b32 exec_lo, exec_lo, s4
	s_cbranch_execnz .LBB4_1499
	s_branch .LBB4_1424
.LBB4_1500:
	s_mov_b32 s4, 0
	s_branch .LBB4_1502
.LBB4_1501:
	s_mov_b32 s4, -1
.LBB4_1502:
	s_mov_b32 s41, s12
	s_mov_b32 s42, s13
	;; [unrolled: 1-line block ×3, first 2 shown]
	s_and_b32 vcc_lo, exec_lo, s4
	s_cbranch_vccz .LBB4_1530
; %bb.1503:
	v_readfirstlane_b32 s4, v32
	s_waitcnt vmcnt(0)
	v_mov_b32_e32 v8, 0
	v_mov_b32_e32 v9, 0
	v_cmp_eq_u32_e64 s4, s4, v32
	s_and_saveexec_b32 s5, s4
	s_cbranch_execz .LBB4_1509
; %bb.1504:
	v_mov_b32_e32 v2, 0
	s_mov_b32 s10, exec_lo
	global_load_dwordx2 v[5:6], v2, s[6:7] offset:24 glc dlc
	s_waitcnt vmcnt(0)
	buffer_gl1_inv
	buffer_gl0_inv
	s_clause 0x1
	global_load_dwordx2 v[3:4], v2, s[6:7] offset:40
	global_load_dwordx2 v[7:8], v2, s[6:7]
	s_waitcnt vmcnt(1)
	v_and_b32_e32 v4, v4, v6
	v_and_b32_e32 v3, v3, v5
	v_mul_lo_u32 v4, v4, 24
	v_mul_hi_u32 v9, v3, 24
	v_mul_lo_u32 v3, v3, 24
	v_add_nc_u32_e32 v4, v9, v4
	s_waitcnt vmcnt(0)
	v_add_co_u32 v3, vcc_lo, v7, v3
	v_add_co_ci_u32_e32 v4, vcc_lo, v8, v4, vcc_lo
	global_load_dwordx2 v[3:4], v[3:4], off glc dlc
	s_waitcnt vmcnt(0)
	global_atomic_cmpswap_x2 v[8:9], v2, v[3:6], s[6:7] offset:24 glc
	s_waitcnt vmcnt(0)
	buffer_gl1_inv
	buffer_gl0_inv
	v_cmpx_ne_u64_e64 v[8:9], v[5:6]
	s_cbranch_execz .LBB4_1508
; %bb.1505:
	s_mov_b32 s11, 0
	.p2align	6
.LBB4_1506:                             ; =>This Inner Loop Header: Depth=1
	s_sleep 1
	s_clause 0x1
	global_load_dwordx2 v[3:4], v2, s[6:7] offset:40
	global_load_dwordx2 v[10:11], v2, s[6:7]
	v_mov_b32_e32 v5, v8
	v_mov_b32_e32 v6, v9
	s_waitcnt vmcnt(1)
	v_and_b32_e32 v3, v3, v5
	v_and_b32_e32 v4, v4, v6
	s_waitcnt vmcnt(0)
	v_mad_u64_u32 v[7:8], null, v3, 24, v[10:11]
	v_mov_b32_e32 v3, v8
	v_mad_u64_u32 v[3:4], null, v4, 24, v[3:4]
	v_mov_b32_e32 v8, v3
	global_load_dwordx2 v[3:4], v[7:8], off glc dlc
	s_waitcnt vmcnt(0)
	global_atomic_cmpswap_x2 v[8:9], v2, v[3:6], s[6:7] offset:24 glc
	s_waitcnt vmcnt(0)
	buffer_gl1_inv
	buffer_gl0_inv
	v_cmp_eq_u64_e32 vcc_lo, v[8:9], v[5:6]
	s_or_b32 s11, vcc_lo, s11
	s_andn2_b32 exec_lo, exec_lo, s11
	s_cbranch_execnz .LBB4_1506
; %bb.1507:
	s_or_b32 exec_lo, exec_lo, s11
.LBB4_1508:
	s_or_b32 exec_lo, exec_lo, s10
.LBB4_1509:
	s_or_b32 exec_lo, exec_lo, s5
	v_mov_b32_e32 v2, 0
	v_readfirstlane_b32 s10, v8
	v_readfirstlane_b32 s11, v9
	s_mov_b32 s5, exec_lo
	s_clause 0x1
	global_load_dwordx2 v[10:11], v2, s[6:7] offset:40
	global_load_dwordx4 v[4:7], v2, s[6:7]
	s_waitcnt vmcnt(1)
	v_readfirstlane_b32 s12, v10
	v_readfirstlane_b32 s13, v11
	s_and_b64 s[12:13], s[10:11], s[12:13]
	s_mul_i32 s14, s13, 24
	s_mul_hi_u32 s15, s12, 24
	s_mul_i32 s16, s12, 24
	s_add_i32 s15, s15, s14
	s_waitcnt vmcnt(0)
	v_add_co_u32 v8, vcc_lo, v4, s16
	v_add_co_ci_u32_e32 v9, vcc_lo, s15, v5, vcc_lo
	s_and_saveexec_b32 s14, s4
	s_cbranch_execz .LBB4_1511
; %bb.1510:
	v_mov_b32_e32 v10, s5
	v_mov_b32_e32 v11, v2
	;; [unrolled: 1-line block ×4, first 2 shown]
	global_store_dwordx4 v[8:9], v[10:13], off offset:8
.LBB4_1511:
	s_or_b32 exec_lo, exec_lo, s14
	s_lshl_b64 s[12:13], s[12:13], 12
	v_and_or_b32 v0, 0xffffff1d, v0, 34
	v_add_co_u32 v6, vcc_lo, v6, s12
	v_add_co_ci_u32_e32 v7, vcc_lo, s13, v7, vcc_lo
	s_mov_b32 s12, 0
	v_mov_b32_e32 v3, v2
	s_mov_b32 s13, s12
	s_mov_b32 s14, s12
	;; [unrolled: 1-line block ×3, first 2 shown]
	v_readfirstlane_b32 s16, v6
	v_readfirstlane_b32 s17, v7
	v_mov_b32_e32 v10, s12
	v_mov_b32_e32 v11, s13
	;; [unrolled: 1-line block ×4, first 2 shown]
	global_store_dwordx4 v31, v[0:3], s[16:17]
	global_store_dwordx4 v31, v[10:13], s[16:17] offset:16
	global_store_dwordx4 v31, v[10:13], s[16:17] offset:32
	;; [unrolled: 1-line block ×3, first 2 shown]
	s_and_saveexec_b32 s5, s4
	s_cbranch_execz .LBB4_1519
; %bb.1512:
	v_mov_b32_e32 v6, 0
	v_mov_b32_e32 v10, s10
	v_mov_b32_e32 v11, s11
	s_clause 0x1
	global_load_dwordx2 v[12:13], v6, s[6:7] offset:32 glc dlc
	global_load_dwordx2 v[0:1], v6, s[6:7] offset:40
	s_waitcnt vmcnt(0)
	v_readfirstlane_b32 s12, v0
	v_readfirstlane_b32 s13, v1
	s_and_b64 s[12:13], s[12:13], s[10:11]
	s_mul_i32 s13, s13, 24
	s_mul_hi_u32 s14, s12, 24
	s_mul_i32 s12, s12, 24
	s_add_i32 s14, s14, s13
	v_add_co_u32 v4, vcc_lo, v4, s12
	v_add_co_ci_u32_e32 v5, vcc_lo, s14, v5, vcc_lo
	s_mov_b32 s12, exec_lo
	global_store_dwordx2 v[4:5], v[12:13], off
	s_waitcnt_vscnt null, 0x0
	global_atomic_cmpswap_x2 v[2:3], v6, v[10:13], s[6:7] offset:32 glc
	s_waitcnt vmcnt(0)
	v_cmpx_ne_u64_e64 v[2:3], v[12:13]
	s_cbranch_execz .LBB4_1515
; %bb.1513:
	s_mov_b32 s13, 0
.LBB4_1514:                             ; =>This Inner Loop Header: Depth=1
	v_mov_b32_e32 v0, s10
	v_mov_b32_e32 v1, s11
	s_sleep 1
	global_store_dwordx2 v[4:5], v[2:3], off
	s_waitcnt_vscnt null, 0x0
	global_atomic_cmpswap_x2 v[0:1], v6, v[0:3], s[6:7] offset:32 glc
	s_waitcnt vmcnt(0)
	v_cmp_eq_u64_e32 vcc_lo, v[0:1], v[2:3]
	v_mov_b32_e32 v3, v1
	v_mov_b32_e32 v2, v0
	s_or_b32 s13, vcc_lo, s13
	s_andn2_b32 exec_lo, exec_lo, s13
	s_cbranch_execnz .LBB4_1514
.LBB4_1515:
	s_or_b32 exec_lo, exec_lo, s12
	v_mov_b32_e32 v3, 0
	s_mov_b32 s13, exec_lo
	s_mov_b32 s12, exec_lo
	v_mbcnt_lo_u32_b32 v2, s13, 0
	global_load_dwordx2 v[0:1], v3, s[6:7] offset:16
	v_cmpx_eq_u32_e32 0, v2
	s_cbranch_execz .LBB4_1517
; %bb.1516:
	s_bcnt1_i32_b32 s13, s13
	v_mov_b32_e32 v2, s13
	s_waitcnt vmcnt(0)
	global_atomic_add_x2 v[0:1], v[2:3], off offset:8
.LBB4_1517:
	s_or_b32 exec_lo, exec_lo, s12
	s_waitcnt vmcnt(0)
	global_load_dwordx2 v[2:3], v[0:1], off offset:16
	s_waitcnt vmcnt(0)
	v_cmp_eq_u64_e32 vcc_lo, 0, v[2:3]
	s_cbranch_vccnz .LBB4_1519
; %bb.1518:
	global_load_dword v0, v[0:1], off offset:24
	v_mov_b32_e32 v1, 0
	s_waitcnt vmcnt(0)
	v_and_b32_e32 v4, 0x7fffff, v0
	s_waitcnt_vscnt null, 0x0
	global_store_dwordx2 v[2:3], v[0:1], off
	v_readfirstlane_b32 m0, v4
	s_sendmsg sendmsg(MSG_INTERRUPT)
.LBB4_1519:
	s_or_b32 exec_lo, exec_lo, s5
	s_branch .LBB4_1523
	.p2align	6
.LBB4_1520:                             ;   in Loop: Header=BB4_1523 Depth=1
	s_or_b32 exec_lo, exec_lo, s5
	v_readfirstlane_b32 s5, v0
	s_cmp_eq_u32 s5, 0
	s_cbranch_scc1 .LBB4_1522
; %bb.1521:                             ;   in Loop: Header=BB4_1523 Depth=1
	s_sleep 1
	s_cbranch_execnz .LBB4_1523
	s_branch .LBB4_1525
	.p2align	6
.LBB4_1522:
	s_branch .LBB4_1525
.LBB4_1523:                             ; =>This Inner Loop Header: Depth=1
	v_mov_b32_e32 v0, 1
	s_and_saveexec_b32 s5, s4
	s_cbranch_execz .LBB4_1520
; %bb.1524:                             ;   in Loop: Header=BB4_1523 Depth=1
	global_load_dword v0, v[8:9], off offset:20 glc dlc
	s_waitcnt vmcnt(0)
	buffer_gl1_inv
	buffer_gl0_inv
	v_and_b32_e32 v0, 1, v0
	s_branch .LBB4_1520
.LBB4_1525:
	s_and_saveexec_b32 s5, s4
	s_cbranch_execz .LBB4_1529
; %bb.1526:
	v_mov_b32_e32 v6, 0
	s_clause 0x2
	global_load_dwordx2 v[2:3], v6, s[6:7] offset:40
	global_load_dwordx2 v[7:8], v6, s[6:7] offset:24 glc dlc
	global_load_dwordx2 v[4:5], v6, s[6:7]
	s_waitcnt vmcnt(2)
	v_add_co_u32 v9, vcc_lo, v2, 1
	v_add_co_ci_u32_e32 v10, vcc_lo, 0, v3, vcc_lo
	v_add_co_u32 v0, vcc_lo, v9, s10
	v_add_co_ci_u32_e32 v1, vcc_lo, s11, v10, vcc_lo
	v_cmp_eq_u64_e32 vcc_lo, 0, v[0:1]
	v_cndmask_b32_e32 v1, v1, v10, vcc_lo
	v_cndmask_b32_e32 v0, v0, v9, vcc_lo
	v_and_b32_e32 v3, v1, v3
	v_and_b32_e32 v2, v0, v2
	v_mul_lo_u32 v3, v3, 24
	v_mul_hi_u32 v9, v2, 24
	v_mul_lo_u32 v2, v2, 24
	v_add_nc_u32_e32 v3, v9, v3
	s_waitcnt vmcnt(0)
	v_add_co_u32 v4, vcc_lo, v4, v2
	v_mov_b32_e32 v2, v7
	v_add_co_ci_u32_e32 v5, vcc_lo, v5, v3, vcc_lo
	v_mov_b32_e32 v3, v8
	global_store_dwordx2 v[4:5], v[7:8], off
	s_waitcnt_vscnt null, 0x0
	global_atomic_cmpswap_x2 v[2:3], v6, v[0:3], s[6:7] offset:24 glc
	s_waitcnt vmcnt(0)
	v_cmp_ne_u64_e32 vcc_lo, v[2:3], v[7:8]
	s_and_b32 exec_lo, exec_lo, vcc_lo
	s_cbranch_execz .LBB4_1529
; %bb.1527:
	s_mov_b32 s4, 0
.LBB4_1528:                             ; =>This Inner Loop Header: Depth=1
	s_sleep 1
	global_store_dwordx2 v[4:5], v[2:3], off
	s_waitcnt_vscnt null, 0x0
	global_atomic_cmpswap_x2 v[7:8], v6, v[0:3], s[6:7] offset:24 glc
	s_waitcnt vmcnt(0)
	v_cmp_eq_u64_e32 vcc_lo, v[7:8], v[2:3]
	v_mov_b32_e32 v2, v7
	v_mov_b32_e32 v3, v8
	s_or_b32 s4, vcc_lo, s4
	s_andn2_b32 exec_lo, exec_lo, s4
	s_cbranch_execnz .LBB4_1528
.LBB4_1529:
	s_or_b32 exec_lo, exec_lo, s5
.LBB4_1530:
	s_getpc_b64 s[4:5]
	s_add_u32 s4, s4, .str@rel32@lo+4
	s_addc_u32 s5, s5, .str@rel32@hi+12
	s_waitcnt vmcnt(0)
	v_mov_b32_e32 v0, s4
	v_mov_b32_e32 v1, s5
	s_mov_b64 s[22:23], src_private_base
	s_getpc_b64 s[44:45]
	s_add_u32 s44, s44, _ZNK8migraphx13basic_printerIZNS_4coutEvEUlT_E_ElsEPKc@rel32@lo+4
	s_addc_u32 s45, s45, _ZNK8migraphx13basic_printerIZNS_4coutEvEUlT_E_ElsEPKc@rel32@hi+12
	s_mov_b64 s[38:39], s[8:9]
	s_swappc_b64 s[30:31], s[44:45]
	s_getpc_b64 s[4:5]
	s_add_u32 s4, s4, .str.3@rel32@lo+4
	s_addc_u32 s5, s5, .str.3@rel32@hi+12
	v_mov_b32_e32 v0, s4
	v_mov_b32_e32 v1, s5
	s_mov_b64 s[8:9], s[38:39]
	s_swappc_b64 s[30:31], s[44:45]
	v_lshrrev_b32_e64 v0, 5, s33
	v_mov_b32_e32 v1, s23
	s_mov_b64 s[8:9], s[38:39]
	s_getpc_b64 s[4:5]
	s_add_u32 s4, s4, _ZN8migraphx4testlsIKNS_13basic_printerIZNS_4coutEvEUlT_E_EEEERS3_S7_RKNS0_10expressionINS0_14lhs_expressionIRNS_5arrayIiLj6EEENS0_3nopEEESC_NS0_5equalEEE@rel32@lo+4
	s_addc_u32 s5, s5, _ZN8migraphx4testlsIKNS_13basic_printerIZNS_4coutEvEUlT_E_EEEERS3_S7_RKNS0_10expressionINS0_14lhs_expressionIRNS_5arrayIiLj6EEENS0_3nopEEESC_NS0_5equalEEE@rel32@hi+12
	v_add_nc_u32_e32 v0, 0x48, v0
	s_swappc_b64 s[30:31], s[4:5]
	s_getpc_b64 s[4:5]
	s_add_u32 s4, s4, .str.4@rel32@lo+4
	s_addc_u32 s5, s5, .str.4@rel32@hi+12
	v_mov_b32_e32 v0, s4
	v_mov_b32_e32 v1, s5
	s_mov_b64 s[8:9], s[38:39]
	s_swappc_b64 s[30:31], s[44:45]
	v_mov_b32_e32 v0, 10
	s_mov_b64 s[8:9], s[38:39]
	s_getpc_b64 s[4:5]
	s_add_u32 s4, s4, _ZNK8migraphx13basic_printerIZNS_4coutEvEUlT_E_ElsEc@rel32@lo+4
	s_addc_u32 s5, s5, _ZNK8migraphx13basic_printerIZNS_4coutEvEUlT_E_ElsEc@rel32@hi+12
	s_swappc_b64 s[30:31], s[4:5]
	flat_load_dwordx2 v[0:1], v[66:67]
	s_mov_b64 s[8:9], s[38:39]
	s_mov_b32 s14, s43
	s_mov_b32 s13, s42
	;; [unrolled: 1-line block ×3, first 2 shown]
	s_waitcnt vmcnt(0) lgkmcnt(0)
	flat_load_dword v2, v[0:1]
	s_waitcnt vmcnt(0) lgkmcnt(0)
	v_add_nc_u32_e32 v2, 1, v2
	flat_store_dword v[0:1], v2
.LBB4_1531:
	s_or_b32 exec_lo, exec_lo, s40
	s_getpc_b64 s[4:5]
	s_add_u32 s4, s4, _ZN8migraphx4test4failEv@rel32@lo+4
	s_addc_u32 s5, s5, _ZN8migraphx4test4failEv@rel32@hi+12
	s_swappc_b64 s[30:31], s[4:5]
	; divergent unreachable
.LBB4_1532:
	s_andn2_saveexec_b32 s4, s37
	s_or_b32 exec_lo, exec_lo, s4
	v_readlane_b32 s30, v41, 0
	v_readlane_b32 s31, v41, 1
	;; [unrolled: 1-line block ×3, first 2 shown]
	s_or_saveexec_b32 s5, -1
	buffer_load_dword v41, off, s[0:3], s33 offset:88 ; 4-byte Folded Reload
	s_mov_b32 exec_lo, s5
	s_addk_i32 s32, 0xf400
	s_mov_b32 s33, s4
	s_waitcnt vmcnt(0)
	s_setpc_b64 s[30:31]
.Lfunc_end4:
	.size	_ZL22merge_first_all_largerRN8migraphx4test12test_managerE, .Lfunc_end4-_ZL22merge_first_all_largerRN8migraphx4test12test_managerE
                                        ; -- End function
	.section	.AMDGPU.csdata,"",@progbits
; Function info:
; codeLenInByte = 55452
; NumSgprs: 48
; NumVgprs: 68
; ScratchSize: 112
; MemoryBound: 0
	.text
	.p2align	2                               ; -- Begin function _ZN8migraphx4testlsIKNS_13basic_printerIZNS_4coutEvEUlT_E_EEEERS3_S7_RKNS0_10expressionINS0_14lhs_expressionIRNS_5arrayIiLj8EEENS0_3nopEEESC_NS0_5equalEEE
	.type	_ZN8migraphx4testlsIKNS_13basic_printerIZNS_4coutEvEUlT_E_EEEERS3_S7_RKNS0_10expressionINS0_14lhs_expressionIRNS_5arrayIiLj8EEENS0_3nopEEESC_NS0_5equalEEE,@function
_ZN8migraphx4testlsIKNS_13basic_printerIZNS_4coutEvEUlT_E_EEEERS3_S7_RKNS0_10expressionINS0_14lhs_expressionIRNS_5arrayIiLj8EEENS0_3nopEEESC_NS0_5equalEEE: ; @_ZN8migraphx4testlsIKNS_13basic_printerIZNS_4coutEvEUlT_E_EEEERS3_S7_RKNS0_10expressionINS0_14lhs_expressionIRNS_5arrayIiLj8EEENS0_3nopEEESC_NS0_5equalEEE
; %bb.0:
	s_waitcnt vmcnt(0) expcnt(0) lgkmcnt(0)
	s_mov_b32 s4, s33
	s_mov_b32 s33, s32
	s_or_saveexec_b32 s5, -1
	buffer_store_dword v40, off, s[0:3], s33 ; 4-byte Folded Spill
	s_mov_b32 exec_lo, s5
	v_writelane_b32 v40, s4, 2
	v_writelane_b32 v40, s30, 0
	s_addk_i32 s32, 0x200
	v_writelane_b32 v40, s31, 1
	v_mov_b32_e32 v37, v1
	v_mov_b32_e32 v36, v0
	v_mbcnt_lo_u32_b32 v64, -1, 0
	v_mov_b32_e32 v49, 0
	s_getpc_b64 s[4:5]
	s_add_u32 s4, s4, .str.7@rel32@lo+4
	s_addc_u32 s5, s5, .str.7@rel32@hi+12
	v_mov_b32_e32 v50, 2
	flat_load_dwordx2 v[38:39], v[36:37]
	v_mov_b32_e32 v51, 1
	v_lshlrev_b32_e32 v65, 6, v64
	v_mov_b32_e32 v52, 33
	v_mov_b32_e32 v53, v49
	;; [unrolled: 1-line block ×4, first 2 shown]
	s_cmp_lg_u64 s[4:5], 0
	s_mov_b32 s35, 0
	s_mov_b64 s[22:23], s[8:9]
	s_cselect_b32 s36, -1, 0
	s_mov_b32 s24, s35
	s_mov_b32 s25, s35
	;; [unrolled: 1-line block ×5, first 2 shown]
	s_branch .LBB5_2
.LBB5_1:                                ;   in Loop: Header=BB5_2 Depth=1
	s_or_b32 exec_lo, exec_lo, s5
	s_add_i32 s34, s34, 1
	s_cmp_lg_u32 s34, 8
	s_cbranch_scc0 .LBB5_163
.LBB5_2:                                ; =>This Loop Header: Depth=1
                                        ;     Child Loop BB5_7 Depth 2
                                        ;     Child Loop BB5_15 Depth 2
	;; [unrolled: 1-line block ×9, first 2 shown]
                                        ;       Child Loop BB5_36 Depth 3
                                        ;       Child Loop BB5_43 Depth 3
	;; [unrolled: 1-line block ×11, first 2 shown]
                                        ;     Child Loop BB5_140 Depth 2
                                        ;     Child Loop BB5_148 Depth 2
	;; [unrolled: 1-line block ×4, first 2 shown]
	s_cmp_eq_u32 s34, 0
	s_cbranch_scc1 .LBB5_4
; %bb.3:                                ;   in Loop: Header=BB5_2 Depth=1
	s_getpc_b64 s[4:5]
	s_add_u32 s4, s4, .str.11@rel32@lo+4
	s_addc_u32 s5, s5, .str.11@rel32@hi+12
	v_mov_b32_e32 v0, s4
	v_mov_b32_e32 v1, s5
	s_mov_b64 s[8:9], s[22:23]
	s_getpc_b64 s[6:7]
	s_add_u32 s6, s6, _ZNK8migraphx13basic_printerIZNS_4coutEvEUlT_E_ElsEPKc@rel32@lo+4
	s_addc_u32 s7, s7, _ZNK8migraphx13basic_printerIZNS_4coutEvEUlT_E_ElsEPKc@rel32@hi+12
	s_swappc_b64 s[30:31], s[6:7]
.LBB5_4:                                ;   in Loop: Header=BB5_2 Depth=1
	s_lshl_b64 s[4:5], s[34:35], 2
	s_load_dwordx2 s[28:29], s[22:23], 0x50
	s_waitcnt vmcnt(0) lgkmcnt(0)
	v_add_co_u32 v0, vcc_lo, v38, s4
	v_add_co_ci_u32_e32 v1, vcc_lo, s5, v39, vcc_lo
	v_readfirstlane_b32 s4, v64
	v_mov_b32_e32 v4, 0
	v_mov_b32_e32 v5, 0
	flat_load_dword v24, v[0:1]
	v_cmp_eq_u32_e64 s4, s4, v64
	s_and_saveexec_b32 s5, s4
	s_cbranch_execz .LBB5_10
; %bb.5:                                ;   in Loop: Header=BB5_2 Depth=1
	global_load_dwordx2 v[2:3], v49, s[28:29] offset:24 glc dlc
	s_waitcnt vmcnt(0)
	buffer_gl1_inv
	buffer_gl0_inv
	s_clause 0x1
	global_load_dwordx2 v[0:1], v49, s[28:29] offset:40
	global_load_dwordx2 v[4:5], v49, s[28:29]
	s_mov_b32 s6, exec_lo
	s_waitcnt vmcnt(1)
	v_and_b32_e32 v1, v1, v3
	v_and_b32_e32 v0, v0, v2
	v_mul_lo_u32 v1, v1, 24
	v_mul_hi_u32 v6, v0, 24
	v_mul_lo_u32 v0, v0, 24
	v_add_nc_u32_e32 v1, v6, v1
	s_waitcnt vmcnt(0)
	v_add_co_u32 v0, vcc_lo, v4, v0
	v_add_co_ci_u32_e32 v1, vcc_lo, v5, v1, vcc_lo
	global_load_dwordx2 v[0:1], v[0:1], off glc dlc
	s_waitcnt vmcnt(0)
	global_atomic_cmpswap_x2 v[4:5], v49, v[0:3], s[28:29] offset:24 glc
	s_waitcnt vmcnt(0)
	buffer_gl1_inv
	buffer_gl0_inv
	v_cmpx_ne_u64_e64 v[4:5], v[2:3]
	s_cbranch_execz .LBB5_9
; %bb.6:                                ;   in Loop: Header=BB5_2 Depth=1
	s_mov_b32 s7, 0
	.p2align	6
.LBB5_7:                                ;   Parent Loop BB5_2 Depth=1
                                        ; =>  This Inner Loop Header: Depth=2
	s_sleep 1
	s_clause 0x1
	global_load_dwordx2 v[0:1], v49, s[28:29] offset:40
	global_load_dwordx2 v[6:7], v49, s[28:29]
	v_mov_b32_e32 v2, v4
	v_mov_b32_e32 v3, v5
	s_waitcnt vmcnt(1)
	v_and_b32_e32 v0, v0, v2
	v_and_b32_e32 v1, v1, v3
	s_waitcnt vmcnt(0)
	v_mad_u64_u32 v[4:5], null, v0, 24, v[6:7]
	v_mov_b32_e32 v0, v5
	v_mad_u64_u32 v[0:1], null, v1, 24, v[0:1]
	v_mov_b32_e32 v5, v0
	global_load_dwordx2 v[0:1], v[4:5], off glc dlc
	s_waitcnt vmcnt(0)
	global_atomic_cmpswap_x2 v[4:5], v49, v[0:3], s[28:29] offset:24 glc
	s_waitcnt vmcnt(0)
	buffer_gl1_inv
	buffer_gl0_inv
	v_cmp_eq_u64_e32 vcc_lo, v[4:5], v[2:3]
	s_or_b32 s7, vcc_lo, s7
	s_andn2_b32 exec_lo, exec_lo, s7
	s_cbranch_execnz .LBB5_7
; %bb.8:                                ;   in Loop: Header=BB5_2 Depth=1
	s_or_b32 exec_lo, exec_lo, s7
.LBB5_9:                                ;   in Loop: Header=BB5_2 Depth=1
	s_or_b32 exec_lo, exec_lo, s6
.LBB5_10:                               ;   in Loop: Header=BB5_2 Depth=1
	s_or_b32 exec_lo, exec_lo, s5
	s_clause 0x1
	global_load_dwordx2 v[6:7], v49, s[28:29] offset:40
	global_load_dwordx4 v[0:3], v49, s[28:29]
	v_readfirstlane_b32 s6, v4
	v_readfirstlane_b32 s7, v5
	s_mov_b32 s5, exec_lo
	s_waitcnt vmcnt(1)
	v_readfirstlane_b32 s8, v6
	v_readfirstlane_b32 s9, v7
	s_and_b64 s[8:9], s[6:7], s[8:9]
	s_mul_i32 s10, s9, 24
	s_mul_hi_u32 s11, s8, 24
	s_mul_i32 s12, s8, 24
	s_add_i32 s11, s11, s10
	s_waitcnt vmcnt(0)
	v_add_co_u32 v4, vcc_lo, v0, s12
	v_add_co_ci_u32_e32 v5, vcc_lo, s11, v1, vcc_lo
	s_and_saveexec_b32 s10, s4
	s_cbranch_execz .LBB5_12
; %bb.11:                               ;   in Loop: Header=BB5_2 Depth=1
	v_mov_b32_e32 v48, s5
	global_store_dwordx4 v[4:5], v[48:51], off offset:8
.LBB5_12:                               ;   in Loop: Header=BB5_2 Depth=1
	s_or_b32 exec_lo, exec_lo, s10
	s_lshl_b64 s[8:9], s[8:9], 12
	v_mov_b32_e32 v10, s24
	v_add_co_u32 v8, vcc_lo, v2, s8
	v_add_co_ci_u32_e32 v9, vcc_lo, s9, v3, vcc_lo
	v_mov_b32_e32 v11, s25
	v_readfirstlane_b32 s8, v8
	v_mov_b32_e32 v12, s26
	v_readfirstlane_b32 s9, v9
	v_mov_b32_e32 v13, s27
	global_store_dwordx4 v65, v[52:55], s[8:9]
	global_store_dwordx4 v65, v[10:13], s[8:9] offset:16
	global_store_dwordx4 v65, v[10:13], s[8:9] offset:32
	;; [unrolled: 1-line block ×3, first 2 shown]
	s_and_saveexec_b32 s5, s4
	s_cbranch_execz .LBB5_20
; %bb.13:                               ;   in Loop: Header=BB5_2 Depth=1
	s_clause 0x1
	global_load_dwordx2 v[12:13], v49, s[28:29] offset:32 glc dlc
	global_load_dwordx2 v[2:3], v49, s[28:29] offset:40
	v_mov_b32_e32 v10, s6
	v_mov_b32_e32 v11, s7
	s_mov_b32 s8, exec_lo
	s_waitcnt vmcnt(0)
	v_and_b32_e32 v3, s7, v3
	v_and_b32_e32 v2, s6, v2
	v_mul_lo_u32 v3, v3, 24
	v_mul_hi_u32 v6, v2, 24
	v_mul_lo_u32 v2, v2, 24
	v_add_nc_u32_e32 v3, v6, v3
	v_add_co_u32 v6, vcc_lo, v0, v2
	v_add_co_ci_u32_e32 v7, vcc_lo, v1, v3, vcc_lo
	global_store_dwordx2 v[6:7], v[12:13], off
	s_waitcnt_vscnt null, 0x0
	global_atomic_cmpswap_x2 v[2:3], v49, v[10:13], s[28:29] offset:32 glc
	s_waitcnt vmcnt(0)
	v_cmpx_ne_u64_e64 v[2:3], v[12:13]
	s_cbranch_execz .LBB5_16
; %bb.14:                               ;   in Loop: Header=BB5_2 Depth=1
	s_mov_b32 s9, 0
.LBB5_15:                               ;   Parent Loop BB5_2 Depth=1
                                        ; =>  This Inner Loop Header: Depth=2
	v_mov_b32_e32 v0, s6
	v_mov_b32_e32 v1, s7
	s_sleep 1
	global_store_dwordx2 v[6:7], v[2:3], off
	s_waitcnt_vscnt null, 0x0
	global_atomic_cmpswap_x2 v[0:1], v49, v[0:3], s[28:29] offset:32 glc
	s_waitcnt vmcnt(0)
	v_cmp_eq_u64_e32 vcc_lo, v[0:1], v[2:3]
	v_mov_b32_e32 v3, v1
	v_mov_b32_e32 v2, v0
	s_or_b32 s9, vcc_lo, s9
	s_andn2_b32 exec_lo, exec_lo, s9
	s_cbranch_execnz .LBB5_15
.LBB5_16:                               ;   in Loop: Header=BB5_2 Depth=1
	s_or_b32 exec_lo, exec_lo, s8
	global_load_dwordx2 v[0:1], v49, s[28:29] offset:16
	s_mov_b32 s9, exec_lo
	s_mov_b32 s8, exec_lo
	v_mbcnt_lo_u32_b32 v2, s9, 0
	v_cmpx_eq_u32_e32 0, v2
	s_cbranch_execz .LBB5_18
; %bb.17:                               ;   in Loop: Header=BB5_2 Depth=1
	s_bcnt1_i32_b32 s9, s9
	v_mov_b32_e32 v48, s9
	s_waitcnt vmcnt(0)
	global_atomic_add_x2 v[0:1], v[48:49], off offset:8
.LBB5_18:                               ;   in Loop: Header=BB5_2 Depth=1
	s_or_b32 exec_lo, exec_lo, s8
	s_waitcnt vmcnt(0)
	global_load_dwordx2 v[2:3], v[0:1], off offset:16
	s_waitcnt vmcnt(0)
	v_cmp_eq_u64_e32 vcc_lo, 0, v[2:3]
	s_cbranch_vccnz .LBB5_20
; %bb.19:                               ;   in Loop: Header=BB5_2 Depth=1
	global_load_dword v48, v[0:1], off offset:24
	s_waitcnt vmcnt(0)
	v_and_b32_e32 v0, 0x7fffff, v48
	s_waitcnt_vscnt null, 0x0
	global_store_dwordx2 v[2:3], v[48:49], off
	v_readfirstlane_b32 m0, v0
	s_sendmsg sendmsg(MSG_INTERRUPT)
.LBB5_20:                               ;   in Loop: Header=BB5_2 Depth=1
	s_or_b32 exec_lo, exec_lo, s5
	v_add_co_u32 v0, vcc_lo, v8, v65
	v_add_co_ci_u32_e32 v1, vcc_lo, 0, v9, vcc_lo
	s_branch .LBB5_24
	.p2align	6
.LBB5_21:                               ;   in Loop: Header=BB5_24 Depth=2
	s_or_b32 exec_lo, exec_lo, s5
	v_readfirstlane_b32 s5, v2
	s_cmp_eq_u32 s5, 0
	s_cbranch_scc1 .LBB5_23
; %bb.22:                               ;   in Loop: Header=BB5_24 Depth=2
	s_sleep 1
	s_cbranch_execnz .LBB5_24
	s_branch .LBB5_26
	.p2align	6
.LBB5_23:                               ;   in Loop: Header=BB5_2 Depth=1
	s_branch .LBB5_26
.LBB5_24:                               ;   Parent Loop BB5_2 Depth=1
                                        ; =>  This Inner Loop Header: Depth=2
	v_mov_b32_e32 v2, 1
	s_and_saveexec_b32 s5, s4
	s_cbranch_execz .LBB5_21
; %bb.25:                               ;   in Loop: Header=BB5_24 Depth=2
	global_load_dword v2, v[4:5], off offset:20 glc dlc
	s_waitcnt vmcnt(0)
	buffer_gl1_inv
	buffer_gl0_inv
	v_and_b32_e32 v2, 1, v2
	s_branch .LBB5_21
.LBB5_26:                               ;   in Loop: Header=BB5_2 Depth=1
	global_load_dwordx2 v[0:1], v[0:1], off
	s_and_saveexec_b32 s5, s4
	s_cbranch_execz .LBB5_30
; %bb.27:                               ;   in Loop: Header=BB5_2 Depth=1
	s_clause 0x2
	global_load_dwordx2 v[4:5], v49, s[28:29] offset:40
	global_load_dwordx2 v[8:9], v49, s[28:29] offset:24 glc dlc
	global_load_dwordx2 v[6:7], v49, s[28:29]
	s_waitcnt vmcnt(2)
	v_add_co_u32 v10, vcc_lo, v4, 1
	v_add_co_ci_u32_e32 v11, vcc_lo, 0, v5, vcc_lo
	v_add_co_u32 v2, vcc_lo, v10, s6
	v_add_co_ci_u32_e32 v3, vcc_lo, s7, v11, vcc_lo
	v_cmp_eq_u64_e32 vcc_lo, 0, v[2:3]
	v_cndmask_b32_e32 v3, v3, v11, vcc_lo
	v_cndmask_b32_e32 v2, v2, v10, vcc_lo
	v_and_b32_e32 v5, v3, v5
	v_and_b32_e32 v4, v2, v4
	v_mul_lo_u32 v5, v5, 24
	v_mul_hi_u32 v10, v4, 24
	v_mul_lo_u32 v4, v4, 24
	v_add_nc_u32_e32 v5, v10, v5
	s_waitcnt vmcnt(0)
	v_add_co_u32 v6, vcc_lo, v6, v4
	v_mov_b32_e32 v4, v8
	v_add_co_ci_u32_e32 v7, vcc_lo, v7, v5, vcc_lo
	v_mov_b32_e32 v5, v9
	global_store_dwordx2 v[6:7], v[8:9], off
	s_waitcnt_vscnt null, 0x0
	global_atomic_cmpswap_x2 v[4:5], v49, v[2:5], s[28:29] offset:24 glc
	s_waitcnt vmcnt(0)
	v_cmp_ne_u64_e32 vcc_lo, v[4:5], v[8:9]
	s_and_b32 exec_lo, exec_lo, vcc_lo
	s_cbranch_execz .LBB5_30
; %bb.28:                               ;   in Loop: Header=BB5_2 Depth=1
	s_mov_b32 s4, 0
.LBB5_29:                               ;   Parent Loop BB5_2 Depth=1
                                        ; =>  This Inner Loop Header: Depth=2
	s_sleep 1
	global_store_dwordx2 v[6:7], v[4:5], off
	s_waitcnt_vscnt null, 0x0
	global_atomic_cmpswap_x2 v[8:9], v49, v[2:5], s[28:29] offset:24 glc
	s_waitcnt vmcnt(0)
	v_cmp_eq_u64_e32 vcc_lo, v[8:9], v[4:5]
	v_mov_b32_e32 v4, v8
	v_mov_b32_e32 v5, v9
	s_or_b32 s4, vcc_lo, s4
	s_andn2_b32 exec_lo, exec_lo, s4
	s_cbranch_execnz .LBB5_29
.LBB5_30:                               ;   in Loop: Header=BB5_2 Depth=1
	s_or_b32 exec_lo, exec_lo, s5
	s_and_b32 vcc_lo, exec_lo, s36
	s_cbranch_vccz .LBB5_109
; %bb.31:                               ;   in Loop: Header=BB5_2 Depth=1
	s_waitcnt vmcnt(0)
	v_and_b32_e32 v25, 2, v0
	v_and_b32_e32 v2, -3, v0
	v_mov_b32_e32 v3, v1
	s_mov_b64 s[8:9], 4
	s_getpc_b64 s[6:7]
	s_add_u32 s6, s6, .str.7@rel32@lo+4
	s_addc_u32 s7, s7, .str.7@rel32@hi+12
	s_branch .LBB5_33
.LBB5_32:                               ;   in Loop: Header=BB5_33 Depth=2
	s_or_b32 exec_lo, exec_lo, s5
	s_sub_u32 s8, s8, s10
	s_subb_u32 s9, s9, s11
	s_add_u32 s6, s6, s10
	s_addc_u32 s7, s7, s11
	s_cmp_lg_u64 s[8:9], 0
	s_cbranch_scc0 .LBB5_108
.LBB5_33:                               ;   Parent Loop BB5_2 Depth=1
                                        ; =>  This Loop Header: Depth=2
                                        ;       Child Loop BB5_36 Depth 3
                                        ;       Child Loop BB5_43 Depth 3
	;; [unrolled: 1-line block ×11, first 2 shown]
	v_cmp_lt_u64_e64 s4, s[8:9], 56
	v_cmp_gt_u64_e64 s5, s[8:9], 7
	s_and_b32 s4, s4, exec_lo
	s_cselect_b32 s11, s9, 0
	s_cselect_b32 s10, s8, 56
	s_and_b32 vcc_lo, exec_lo, s5
	s_cbranch_vccnz .LBB5_38
; %bb.34:                               ;   in Loop: Header=BB5_33 Depth=2
	s_waitcnt vmcnt(0)
	v_mov_b32_e32 v4, 0
	v_mov_b32_e32 v5, 0
	s_cmp_eq_u64 s[8:9], 0
	s_mov_b64 s[4:5], 0
	s_cbranch_scc1 .LBB5_37
; %bb.35:                               ;   in Loop: Header=BB5_33 Depth=2
	v_mov_b32_e32 v4, 0
	v_mov_b32_e32 v5, 0
	s_lshl_b64 s[12:13], s[10:11], 3
	s_mov_b64 s[14:15], s[6:7]
.LBB5_36:                               ;   Parent Loop BB5_2 Depth=1
                                        ;     Parent Loop BB5_33 Depth=2
                                        ; =>    This Inner Loop Header: Depth=3
	global_load_ubyte v6, v49, s[14:15]
	s_waitcnt vmcnt(0)
	v_and_b32_e32 v48, 0xffff, v6
	v_lshlrev_b64 v[6:7], s4, v[48:49]
	s_add_u32 s4, s4, 8
	s_addc_u32 s5, s5, 0
	s_add_u32 s14, s14, 1
	s_addc_u32 s15, s15, 0
	s_cmp_lg_u32 s12, s4
	v_or_b32_e32 v4, v6, v4
	v_or_b32_e32 v5, v7, v5
	s_cbranch_scc1 .LBB5_36
.LBB5_37:                               ;   in Loop: Header=BB5_33 Depth=2
	s_mov_b32 s16, 0
	s_mov_b64 s[4:5], s[6:7]
	s_cbranch_execz .LBB5_39
	s_branch .LBB5_40
.LBB5_38:                               ;   in Loop: Header=BB5_33 Depth=2
                                        ; implicit-def: $vgpr4_vgpr5
                                        ; implicit-def: $sgpr16
	s_mov_b64 s[4:5], s[6:7]
.LBB5_39:                               ;   in Loop: Header=BB5_33 Depth=2
	global_load_dwordx2 v[4:5], v49, s[6:7]
	s_add_i32 s16, s10, -8
	s_add_u32 s4, s6, 8
	s_addc_u32 s5, s7, 0
.LBB5_40:                               ;   in Loop: Header=BB5_33 Depth=2
	s_cmp_gt_u32 s16, 7
	s_cbranch_scc1 .LBB5_45
; %bb.41:                               ;   in Loop: Header=BB5_33 Depth=2
	v_mov_b32_e32 v6, 0
	v_mov_b32_e32 v7, 0
	s_cmp_eq_u32 s16, 0
	s_cbranch_scc1 .LBB5_44
; %bb.42:                               ;   in Loop: Header=BB5_33 Depth=2
	s_mov_b64 s[12:13], 0
	s_mov_b64 s[14:15], 0
.LBB5_43:                               ;   Parent Loop BB5_2 Depth=1
                                        ;     Parent Loop BB5_33 Depth=2
                                        ; =>    This Inner Loop Header: Depth=3
	s_add_u32 s18, s4, s14
	s_addc_u32 s19, s5, s15
	s_add_u32 s14, s14, 1
	global_load_ubyte v8, v49, s[18:19]
	s_addc_u32 s15, s15, 0
	s_waitcnt vmcnt(0)
	v_and_b32_e32 v48, 0xffff, v8
	v_lshlrev_b64 v[8:9], s12, v[48:49]
	s_add_u32 s12, s12, 8
	s_addc_u32 s13, s13, 0
	s_cmp_lg_u32 s16, s14
	v_or_b32_e32 v6, v8, v6
	v_or_b32_e32 v7, v9, v7
	s_cbranch_scc1 .LBB5_43
.LBB5_44:                               ;   in Loop: Header=BB5_33 Depth=2
	s_mov_b32 s17, 0
	s_cbranch_execz .LBB5_46
	s_branch .LBB5_47
.LBB5_45:                               ;   in Loop: Header=BB5_33 Depth=2
                                        ; implicit-def: $vgpr6_vgpr7
                                        ; implicit-def: $sgpr17
.LBB5_46:                               ;   in Loop: Header=BB5_33 Depth=2
	global_load_dwordx2 v[6:7], v49, s[4:5]
	s_add_i32 s17, s16, -8
	s_add_u32 s4, s4, 8
	s_addc_u32 s5, s5, 0
.LBB5_47:                               ;   in Loop: Header=BB5_33 Depth=2
	s_cmp_gt_u32 s17, 7
	s_cbranch_scc1 .LBB5_52
; %bb.48:                               ;   in Loop: Header=BB5_33 Depth=2
	v_mov_b32_e32 v8, 0
	v_mov_b32_e32 v9, 0
	s_cmp_eq_u32 s17, 0
	s_cbranch_scc1 .LBB5_51
; %bb.49:                               ;   in Loop: Header=BB5_33 Depth=2
	s_mov_b64 s[12:13], 0
	s_mov_b64 s[14:15], 0
.LBB5_50:                               ;   Parent Loop BB5_2 Depth=1
                                        ;     Parent Loop BB5_33 Depth=2
                                        ; =>    This Inner Loop Header: Depth=3
	s_add_u32 s18, s4, s14
	s_addc_u32 s19, s5, s15
	s_add_u32 s14, s14, 1
	global_load_ubyte v10, v49, s[18:19]
	s_addc_u32 s15, s15, 0
	s_waitcnt vmcnt(0)
	v_and_b32_e32 v48, 0xffff, v10
	v_lshlrev_b64 v[10:11], s12, v[48:49]
	s_add_u32 s12, s12, 8
	s_addc_u32 s13, s13, 0
	s_cmp_lg_u32 s17, s14
	v_or_b32_e32 v8, v10, v8
	v_or_b32_e32 v9, v11, v9
	s_cbranch_scc1 .LBB5_50
.LBB5_51:                               ;   in Loop: Header=BB5_33 Depth=2
	s_mov_b32 s16, 0
	s_cbranch_execz .LBB5_53
	s_branch .LBB5_54
.LBB5_52:                               ;   in Loop: Header=BB5_33 Depth=2
                                        ; implicit-def: $sgpr16
.LBB5_53:                               ;   in Loop: Header=BB5_33 Depth=2
	global_load_dwordx2 v[8:9], v49, s[4:5]
	s_add_i32 s16, s17, -8
	s_add_u32 s4, s4, 8
	s_addc_u32 s5, s5, 0
.LBB5_54:                               ;   in Loop: Header=BB5_33 Depth=2
	s_cmp_gt_u32 s16, 7
	s_cbranch_scc1 .LBB5_59
; %bb.55:                               ;   in Loop: Header=BB5_33 Depth=2
	v_mov_b32_e32 v10, 0
	v_mov_b32_e32 v11, 0
	s_cmp_eq_u32 s16, 0
	s_cbranch_scc1 .LBB5_58
; %bb.56:                               ;   in Loop: Header=BB5_33 Depth=2
	s_mov_b64 s[12:13], 0
	s_mov_b64 s[14:15], 0
.LBB5_57:                               ;   Parent Loop BB5_2 Depth=1
                                        ;     Parent Loop BB5_33 Depth=2
                                        ; =>    This Inner Loop Header: Depth=3
	s_add_u32 s18, s4, s14
	s_addc_u32 s19, s5, s15
	s_add_u32 s14, s14, 1
	global_load_ubyte v12, v49, s[18:19]
	s_addc_u32 s15, s15, 0
	s_waitcnt vmcnt(0)
	v_and_b32_e32 v48, 0xffff, v12
	v_lshlrev_b64 v[12:13], s12, v[48:49]
	s_add_u32 s12, s12, 8
	s_addc_u32 s13, s13, 0
	s_cmp_lg_u32 s16, s14
	v_or_b32_e32 v10, v12, v10
	v_or_b32_e32 v11, v13, v11
	s_cbranch_scc1 .LBB5_57
.LBB5_58:                               ;   in Loop: Header=BB5_33 Depth=2
	s_mov_b32 s17, 0
	s_cbranch_execz .LBB5_60
	s_branch .LBB5_61
.LBB5_59:                               ;   in Loop: Header=BB5_33 Depth=2
                                        ; implicit-def: $vgpr10_vgpr11
                                        ; implicit-def: $sgpr17
.LBB5_60:                               ;   in Loop: Header=BB5_33 Depth=2
	global_load_dwordx2 v[10:11], v49, s[4:5]
	s_add_i32 s17, s16, -8
	s_add_u32 s4, s4, 8
	s_addc_u32 s5, s5, 0
.LBB5_61:                               ;   in Loop: Header=BB5_33 Depth=2
	s_cmp_gt_u32 s17, 7
	s_cbranch_scc1 .LBB5_66
; %bb.62:                               ;   in Loop: Header=BB5_33 Depth=2
	v_mov_b32_e32 v12, 0
	v_mov_b32_e32 v13, 0
	s_cmp_eq_u32 s17, 0
	s_cbranch_scc1 .LBB5_65
; %bb.63:                               ;   in Loop: Header=BB5_33 Depth=2
	s_mov_b64 s[12:13], 0
	s_mov_b64 s[14:15], 0
.LBB5_64:                               ;   Parent Loop BB5_2 Depth=1
                                        ;     Parent Loop BB5_33 Depth=2
                                        ; =>    This Inner Loop Header: Depth=3
	s_add_u32 s18, s4, s14
	s_addc_u32 s19, s5, s15
	s_add_u32 s14, s14, 1
	global_load_ubyte v14, v49, s[18:19]
	s_addc_u32 s15, s15, 0
	s_waitcnt vmcnt(0)
	v_and_b32_e32 v48, 0xffff, v14
	v_lshlrev_b64 v[14:15], s12, v[48:49]
	s_add_u32 s12, s12, 8
	s_addc_u32 s13, s13, 0
	s_cmp_lg_u32 s17, s14
	v_or_b32_e32 v12, v14, v12
	v_or_b32_e32 v13, v15, v13
	s_cbranch_scc1 .LBB5_64
.LBB5_65:                               ;   in Loop: Header=BB5_33 Depth=2
	s_mov_b32 s16, 0
	s_cbranch_execz .LBB5_67
	s_branch .LBB5_68
.LBB5_66:                               ;   in Loop: Header=BB5_33 Depth=2
                                        ; implicit-def: $sgpr16
.LBB5_67:                               ;   in Loop: Header=BB5_33 Depth=2
	global_load_dwordx2 v[12:13], v49, s[4:5]
	s_add_i32 s16, s17, -8
	s_add_u32 s4, s4, 8
	s_addc_u32 s5, s5, 0
.LBB5_68:                               ;   in Loop: Header=BB5_33 Depth=2
	s_cmp_gt_u32 s16, 7
	s_cbranch_scc1 .LBB5_73
; %bb.69:                               ;   in Loop: Header=BB5_33 Depth=2
	v_mov_b32_e32 v14, 0
	v_mov_b32_e32 v15, 0
	s_cmp_eq_u32 s16, 0
	s_cbranch_scc1 .LBB5_72
; %bb.70:                               ;   in Loop: Header=BB5_33 Depth=2
	s_mov_b64 s[12:13], 0
	s_mov_b64 s[14:15], 0
.LBB5_71:                               ;   Parent Loop BB5_2 Depth=1
                                        ;     Parent Loop BB5_33 Depth=2
                                        ; =>    This Inner Loop Header: Depth=3
	s_add_u32 s18, s4, s14
	s_addc_u32 s19, s5, s15
	s_add_u32 s14, s14, 1
	global_load_ubyte v16, v49, s[18:19]
	s_addc_u32 s15, s15, 0
	s_waitcnt vmcnt(0)
	v_and_b32_e32 v48, 0xffff, v16
	v_lshlrev_b64 v[16:17], s12, v[48:49]
	s_add_u32 s12, s12, 8
	s_addc_u32 s13, s13, 0
	s_cmp_lg_u32 s16, s14
	v_or_b32_e32 v14, v16, v14
	v_or_b32_e32 v15, v17, v15
	s_cbranch_scc1 .LBB5_71
.LBB5_72:                               ;   in Loop: Header=BB5_33 Depth=2
	s_mov_b32 s17, 0
	s_cbranch_execz .LBB5_74
	s_branch .LBB5_75
.LBB5_73:                               ;   in Loop: Header=BB5_33 Depth=2
                                        ; implicit-def: $vgpr14_vgpr15
                                        ; implicit-def: $sgpr17
.LBB5_74:                               ;   in Loop: Header=BB5_33 Depth=2
	global_load_dwordx2 v[14:15], v49, s[4:5]
	s_add_i32 s17, s16, -8
	s_add_u32 s4, s4, 8
	s_addc_u32 s5, s5, 0
.LBB5_75:                               ;   in Loop: Header=BB5_33 Depth=2
	s_cmp_gt_u32 s17, 7
	s_cbranch_scc1 .LBB5_80
; %bb.76:                               ;   in Loop: Header=BB5_33 Depth=2
	v_mov_b32_e32 v16, 0
	v_mov_b32_e32 v17, 0
	s_cmp_eq_u32 s17, 0
	s_cbranch_scc1 .LBB5_79
; %bb.77:                               ;   in Loop: Header=BB5_33 Depth=2
	s_mov_b64 s[12:13], 0
	s_mov_b64 s[14:15], s[4:5]
.LBB5_78:                               ;   Parent Loop BB5_2 Depth=1
                                        ;     Parent Loop BB5_33 Depth=2
                                        ; =>    This Inner Loop Header: Depth=3
	global_load_ubyte v18, v49, s[14:15]
	s_add_i32 s17, s17, -1
	s_waitcnt vmcnt(0)
	v_and_b32_e32 v48, 0xffff, v18
	v_lshlrev_b64 v[18:19], s12, v[48:49]
	s_add_u32 s12, s12, 8
	s_addc_u32 s13, s13, 0
	s_add_u32 s14, s14, 1
	s_addc_u32 s15, s15, 0
	s_cmp_lg_u32 s17, 0
	v_or_b32_e32 v16, v18, v16
	v_or_b32_e32 v17, v19, v17
	s_cbranch_scc1 .LBB5_78
.LBB5_79:                               ;   in Loop: Header=BB5_33 Depth=2
	s_cbranch_execz .LBB5_81
	s_branch .LBB5_82
.LBB5_80:                               ;   in Loop: Header=BB5_33 Depth=2
.LBB5_81:                               ;   in Loop: Header=BB5_33 Depth=2
	global_load_dwordx2 v[16:17], v49, s[4:5]
.LBB5_82:                               ;   in Loop: Header=BB5_33 Depth=2
	v_readfirstlane_b32 s4, v64
	v_mov_b32_e32 v22, 0
	v_mov_b32_e32 v23, 0
	v_cmp_eq_u32_e64 s4, s4, v64
	s_and_saveexec_b32 s5, s4
	s_cbranch_execz .LBB5_88
; %bb.83:                               ;   in Loop: Header=BB5_33 Depth=2
	global_load_dwordx2 v[20:21], v49, s[28:29] offset:24 glc dlc
	s_waitcnt vmcnt(0)
	buffer_gl1_inv
	buffer_gl0_inv
	s_clause 0x1
	global_load_dwordx2 v[18:19], v49, s[28:29] offset:40
	global_load_dwordx2 v[22:23], v49, s[28:29]
	s_mov_b32 s12, exec_lo
	s_waitcnt vmcnt(1)
	v_and_b32_e32 v19, v19, v21
	v_and_b32_e32 v18, v18, v20
	v_mul_lo_u32 v19, v19, 24
	v_mul_hi_u32 v26, v18, 24
	v_mul_lo_u32 v18, v18, 24
	v_add_nc_u32_e32 v19, v26, v19
	s_waitcnt vmcnt(0)
	v_add_co_u32 v18, vcc_lo, v22, v18
	v_add_co_ci_u32_e32 v19, vcc_lo, v23, v19, vcc_lo
	global_load_dwordx2 v[18:19], v[18:19], off glc dlc
	s_waitcnt vmcnt(0)
	global_atomic_cmpswap_x2 v[22:23], v49, v[18:21], s[28:29] offset:24 glc
	s_waitcnt vmcnt(0)
	buffer_gl1_inv
	buffer_gl0_inv
	v_cmpx_ne_u64_e64 v[22:23], v[20:21]
	s_cbranch_execz .LBB5_87
; %bb.84:                               ;   in Loop: Header=BB5_33 Depth=2
	s_mov_b32 s13, 0
	.p2align	6
.LBB5_85:                               ;   Parent Loop BB5_2 Depth=1
                                        ;     Parent Loop BB5_33 Depth=2
                                        ; =>    This Inner Loop Header: Depth=3
	s_sleep 1
	s_clause 0x1
	global_load_dwordx2 v[18:19], v49, s[28:29] offset:40
	global_load_dwordx2 v[26:27], v49, s[28:29]
	v_mov_b32_e32 v20, v22
	v_mov_b32_e32 v21, v23
	s_waitcnt vmcnt(1)
	v_and_b32_e32 v18, v18, v20
	v_and_b32_e32 v19, v19, v21
	s_waitcnt vmcnt(0)
	v_mad_u64_u32 v[22:23], null, v18, 24, v[26:27]
	v_mov_b32_e32 v18, v23
	v_mad_u64_u32 v[18:19], null, v19, 24, v[18:19]
	v_mov_b32_e32 v23, v18
	global_load_dwordx2 v[18:19], v[22:23], off glc dlc
	s_waitcnt vmcnt(0)
	global_atomic_cmpswap_x2 v[22:23], v49, v[18:21], s[28:29] offset:24 glc
	s_waitcnt vmcnt(0)
	buffer_gl1_inv
	buffer_gl0_inv
	v_cmp_eq_u64_e32 vcc_lo, v[22:23], v[20:21]
	s_or_b32 s13, vcc_lo, s13
	s_andn2_b32 exec_lo, exec_lo, s13
	s_cbranch_execnz .LBB5_85
; %bb.86:                               ;   in Loop: Header=BB5_33 Depth=2
	s_or_b32 exec_lo, exec_lo, s13
.LBB5_87:                               ;   in Loop: Header=BB5_33 Depth=2
	s_or_b32 exec_lo, exec_lo, s12
.LBB5_88:                               ;   in Loop: Header=BB5_33 Depth=2
	s_or_b32 exec_lo, exec_lo, s5
	s_clause 0x1
	global_load_dwordx2 v[26:27], v49, s[28:29] offset:40
	global_load_dwordx4 v[18:21], v49, s[28:29]
	v_readfirstlane_b32 s12, v22
	v_readfirstlane_b32 s13, v23
	s_mov_b32 s5, exec_lo
	s_waitcnt vmcnt(1)
	v_readfirstlane_b32 s14, v26
	v_readfirstlane_b32 s15, v27
	s_and_b64 s[14:15], s[12:13], s[14:15]
	s_mul_i32 s16, s15, 24
	s_mul_hi_u32 s17, s14, 24
	s_mul_i32 s18, s14, 24
	s_add_i32 s17, s17, s16
	s_waitcnt vmcnt(0)
	v_add_co_u32 v22, vcc_lo, v18, s18
	v_add_co_ci_u32_e32 v23, vcc_lo, s17, v19, vcc_lo
	s_and_saveexec_b32 s16, s4
	s_cbranch_execz .LBB5_90
; %bb.89:                               ;   in Loop: Header=BB5_33 Depth=2
	v_mov_b32_e32 v48, s5
	global_store_dwordx4 v[22:23], v[48:51], off offset:8
.LBB5_90:                               ;   in Loop: Header=BB5_33 Depth=2
	s_or_b32 exec_lo, exec_lo, s16
	v_cmp_gt_u64_e64 vcc_lo, s[8:9], 56
	v_or_b32_e32 v26, 0, v3
	v_or_b32_e32 v27, v2, v25
	s_lshl_b64 s[14:15], s[14:15], 12
	s_lshl_b32 s5, s10, 2
	s_add_i32 s5, s5, 28
	v_cndmask_b32_e32 v3, v26, v3, vcc_lo
	v_cndmask_b32_e32 v2, v27, v2, vcc_lo
	v_add_co_u32 v20, vcc_lo, v20, s14
	v_add_co_ci_u32_e32 v21, vcc_lo, s15, v21, vcc_lo
	s_and_b32 s5, s5, 0x1e0
	v_lshlrev_b32_e32 v26, 6, v64
	v_and_or_b32 v2, 0xffffff1f, v2, s5
	v_readfirstlane_b32 s14, v20
	v_readfirstlane_b32 s15, v21
	global_store_dwordx4 v26, v[2:5], s[14:15]
	global_store_dwordx4 v26, v[6:9], s[14:15] offset:16
	global_store_dwordx4 v26, v[10:13], s[14:15] offset:32
	;; [unrolled: 1-line block ×3, first 2 shown]
	s_and_saveexec_b32 s5, s4
	s_cbranch_execz .LBB5_98
; %bb.91:                               ;   in Loop: Header=BB5_33 Depth=2
	s_clause 0x1
	global_load_dwordx2 v[10:11], v49, s[28:29] offset:32 glc dlc
	global_load_dwordx2 v[2:3], v49, s[28:29] offset:40
	v_mov_b32_e32 v8, s12
	v_mov_b32_e32 v9, s13
	s_waitcnt vmcnt(0)
	v_readfirstlane_b32 s14, v2
	v_readfirstlane_b32 s15, v3
	s_and_b64 s[14:15], s[14:15], s[12:13]
	s_mul_i32 s15, s15, 24
	s_mul_hi_u32 s16, s14, 24
	s_mul_i32 s14, s14, 24
	s_add_i32 s16, s16, s15
	v_add_co_u32 v6, vcc_lo, v18, s14
	v_add_co_ci_u32_e32 v7, vcc_lo, s16, v19, vcc_lo
	s_mov_b32 s14, exec_lo
	global_store_dwordx2 v[6:7], v[10:11], off
	s_waitcnt_vscnt null, 0x0
	global_atomic_cmpswap_x2 v[4:5], v49, v[8:11], s[28:29] offset:32 glc
	s_waitcnt vmcnt(0)
	v_cmpx_ne_u64_e64 v[4:5], v[10:11]
	s_cbranch_execz .LBB5_94
; %bb.92:                               ;   in Loop: Header=BB5_33 Depth=2
	s_mov_b32 s15, 0
.LBB5_93:                               ;   Parent Loop BB5_2 Depth=1
                                        ;     Parent Loop BB5_33 Depth=2
                                        ; =>    This Inner Loop Header: Depth=3
	v_mov_b32_e32 v2, s12
	v_mov_b32_e32 v3, s13
	s_sleep 1
	global_store_dwordx2 v[6:7], v[4:5], off
	s_waitcnt_vscnt null, 0x0
	global_atomic_cmpswap_x2 v[2:3], v49, v[2:5], s[28:29] offset:32 glc
	s_waitcnt vmcnt(0)
	v_cmp_eq_u64_e32 vcc_lo, v[2:3], v[4:5]
	v_mov_b32_e32 v5, v3
	v_mov_b32_e32 v4, v2
	s_or_b32 s15, vcc_lo, s15
	s_andn2_b32 exec_lo, exec_lo, s15
	s_cbranch_execnz .LBB5_93
.LBB5_94:                               ;   in Loop: Header=BB5_33 Depth=2
	s_or_b32 exec_lo, exec_lo, s14
	global_load_dwordx2 v[2:3], v49, s[28:29] offset:16
	s_mov_b32 s15, exec_lo
	s_mov_b32 s14, exec_lo
	v_mbcnt_lo_u32_b32 v4, s15, 0
	v_cmpx_eq_u32_e32 0, v4
	s_cbranch_execz .LBB5_96
; %bb.95:                               ;   in Loop: Header=BB5_33 Depth=2
	s_bcnt1_i32_b32 s15, s15
	v_mov_b32_e32 v48, s15
	s_waitcnt vmcnt(0)
	global_atomic_add_x2 v[2:3], v[48:49], off offset:8
.LBB5_96:                               ;   in Loop: Header=BB5_33 Depth=2
	s_or_b32 exec_lo, exec_lo, s14
	s_waitcnt vmcnt(0)
	global_load_dwordx2 v[4:5], v[2:3], off offset:16
	s_waitcnt vmcnt(0)
	v_cmp_eq_u64_e32 vcc_lo, 0, v[4:5]
	s_cbranch_vccnz .LBB5_98
; %bb.97:                               ;   in Loop: Header=BB5_33 Depth=2
	global_load_dword v48, v[2:3], off offset:24
	s_waitcnt vmcnt(0)
	v_and_b32_e32 v2, 0x7fffff, v48
	s_waitcnt_vscnt null, 0x0
	global_store_dwordx2 v[4:5], v[48:49], off
	v_readfirstlane_b32 m0, v2
	s_sendmsg sendmsg(MSG_INTERRUPT)
.LBB5_98:                               ;   in Loop: Header=BB5_33 Depth=2
	s_or_b32 exec_lo, exec_lo, s5
	v_add_co_u32 v2, vcc_lo, v20, v26
	v_add_co_ci_u32_e32 v3, vcc_lo, 0, v21, vcc_lo
	s_branch .LBB5_102
	.p2align	6
.LBB5_99:                               ;   in Loop: Header=BB5_102 Depth=3
	s_or_b32 exec_lo, exec_lo, s5
	v_readfirstlane_b32 s5, v4
	s_cmp_eq_u32 s5, 0
	s_cbranch_scc1 .LBB5_101
; %bb.100:                              ;   in Loop: Header=BB5_102 Depth=3
	s_sleep 1
	s_cbranch_execnz .LBB5_102
	s_branch .LBB5_104
	.p2align	6
.LBB5_101:                              ;   in Loop: Header=BB5_33 Depth=2
	s_branch .LBB5_104
.LBB5_102:                              ;   Parent Loop BB5_2 Depth=1
                                        ;     Parent Loop BB5_33 Depth=2
                                        ; =>    This Inner Loop Header: Depth=3
	v_mov_b32_e32 v4, 1
	s_and_saveexec_b32 s5, s4
	s_cbranch_execz .LBB5_99
; %bb.103:                              ;   in Loop: Header=BB5_102 Depth=3
	global_load_dword v4, v[22:23], off offset:20 glc dlc
	s_waitcnt vmcnt(0)
	buffer_gl1_inv
	buffer_gl0_inv
	v_and_b32_e32 v4, 1, v4
	s_branch .LBB5_99
.LBB5_104:                              ;   in Loop: Header=BB5_33 Depth=2
	global_load_dwordx4 v[2:5], v[2:3], off
	s_and_saveexec_b32 s5, s4
	s_cbranch_execz .LBB5_32
; %bb.105:                              ;   in Loop: Header=BB5_33 Depth=2
	s_clause 0x2
	global_load_dwordx2 v[6:7], v49, s[28:29] offset:40
	global_load_dwordx2 v[10:11], v49, s[28:29] offset:24 glc dlc
	global_load_dwordx2 v[8:9], v49, s[28:29]
	s_waitcnt vmcnt(2)
	v_add_co_u32 v12, vcc_lo, v6, 1
	v_add_co_ci_u32_e32 v13, vcc_lo, 0, v7, vcc_lo
	v_add_co_u32 v4, vcc_lo, v12, s12
	v_add_co_ci_u32_e32 v5, vcc_lo, s13, v13, vcc_lo
	v_cmp_eq_u64_e32 vcc_lo, 0, v[4:5]
	v_cndmask_b32_e32 v5, v5, v13, vcc_lo
	v_cndmask_b32_e32 v4, v4, v12, vcc_lo
	v_and_b32_e32 v7, v5, v7
	v_and_b32_e32 v6, v4, v6
	v_mul_lo_u32 v7, v7, 24
	v_mul_hi_u32 v12, v6, 24
	v_mul_lo_u32 v6, v6, 24
	v_add_nc_u32_e32 v7, v12, v7
	s_waitcnt vmcnt(0)
	v_add_co_u32 v8, vcc_lo, v8, v6
	v_mov_b32_e32 v6, v10
	v_add_co_ci_u32_e32 v9, vcc_lo, v9, v7, vcc_lo
	v_mov_b32_e32 v7, v11
	global_store_dwordx2 v[8:9], v[10:11], off
	s_waitcnt_vscnt null, 0x0
	global_atomic_cmpswap_x2 v[6:7], v49, v[4:7], s[28:29] offset:24 glc
	s_waitcnt vmcnt(0)
	v_cmp_ne_u64_e32 vcc_lo, v[6:7], v[10:11]
	s_and_b32 exec_lo, exec_lo, vcc_lo
	s_cbranch_execz .LBB5_32
; %bb.106:                              ;   in Loop: Header=BB5_33 Depth=2
	s_mov_b32 s4, 0
.LBB5_107:                              ;   Parent Loop BB5_2 Depth=1
                                        ;     Parent Loop BB5_33 Depth=2
                                        ; =>    This Inner Loop Header: Depth=3
	s_sleep 1
	global_store_dwordx2 v[8:9], v[6:7], off
	s_waitcnt_vscnt null, 0x0
	global_atomic_cmpswap_x2 v[10:11], v49, v[4:7], s[28:29] offset:24 glc
	s_waitcnt vmcnt(0)
	v_cmp_eq_u64_e32 vcc_lo, v[10:11], v[6:7]
	v_mov_b32_e32 v6, v10
	v_mov_b32_e32 v7, v11
	s_or_b32 s4, vcc_lo, s4
	s_andn2_b32 exec_lo, exec_lo, s4
	s_cbranch_execnz .LBB5_107
	s_branch .LBB5_32
.LBB5_108:                              ;   in Loop: Header=BB5_2 Depth=1
	s_branch .LBB5_137
.LBB5_109:                              ;   in Loop: Header=BB5_2 Depth=1
                                        ; implicit-def: $vgpr2_vgpr3
	s_cbranch_execz .LBB5_137
; %bb.110:                              ;   in Loop: Header=BB5_2 Depth=1
	v_readfirstlane_b32 s4, v64
	s_waitcnt vmcnt(0)
	v_mov_b32_e32 v2, 0
	v_mov_b32_e32 v3, 0
	v_cmp_eq_u32_e64 s4, s4, v64
	s_and_saveexec_b32 s5, s4
	s_cbranch_execz .LBB5_116
; %bb.111:                              ;   in Loop: Header=BB5_2 Depth=1
	global_load_dwordx2 v[4:5], v49, s[28:29] offset:24 glc dlc
	s_waitcnt vmcnt(0)
	buffer_gl1_inv
	buffer_gl0_inv
	s_clause 0x1
	global_load_dwordx2 v[2:3], v49, s[28:29] offset:40
	global_load_dwordx2 v[6:7], v49, s[28:29]
	s_mov_b32 s6, exec_lo
	s_waitcnt vmcnt(1)
	v_and_b32_e32 v3, v3, v5
	v_and_b32_e32 v2, v2, v4
	v_mul_lo_u32 v3, v3, 24
	v_mul_hi_u32 v8, v2, 24
	v_mul_lo_u32 v2, v2, 24
	v_add_nc_u32_e32 v3, v8, v3
	s_waitcnt vmcnt(0)
	v_add_co_u32 v2, vcc_lo, v6, v2
	v_add_co_ci_u32_e32 v3, vcc_lo, v7, v3, vcc_lo
	global_load_dwordx2 v[2:3], v[2:3], off glc dlc
	s_waitcnt vmcnt(0)
	global_atomic_cmpswap_x2 v[2:3], v49, v[2:5], s[28:29] offset:24 glc
	s_waitcnt vmcnt(0)
	buffer_gl1_inv
	buffer_gl0_inv
	v_cmpx_ne_u64_e64 v[2:3], v[4:5]
	s_cbranch_execz .LBB5_115
; %bb.112:                              ;   in Loop: Header=BB5_2 Depth=1
	s_mov_b32 s7, 0
	.p2align	6
.LBB5_113:                              ;   Parent Loop BB5_2 Depth=1
                                        ; =>  This Inner Loop Header: Depth=2
	s_sleep 1
	s_clause 0x1
	global_load_dwordx2 v[6:7], v49, s[28:29] offset:40
	global_load_dwordx2 v[8:9], v49, s[28:29]
	v_mov_b32_e32 v5, v3
	v_mov_b32_e32 v4, v2
	s_waitcnt vmcnt(1)
	v_and_b32_e32 v2, v6, v4
	v_and_b32_e32 v6, v7, v5
	s_waitcnt vmcnt(0)
	v_mad_u64_u32 v[2:3], null, v2, 24, v[8:9]
	v_mad_u64_u32 v[6:7], null, v6, 24, v[3:4]
	v_mov_b32_e32 v3, v6
	global_load_dwordx2 v[2:3], v[2:3], off glc dlc
	s_waitcnt vmcnt(0)
	global_atomic_cmpswap_x2 v[2:3], v49, v[2:5], s[28:29] offset:24 glc
	s_waitcnt vmcnt(0)
	buffer_gl1_inv
	buffer_gl0_inv
	v_cmp_eq_u64_e32 vcc_lo, v[2:3], v[4:5]
	s_or_b32 s7, vcc_lo, s7
	s_andn2_b32 exec_lo, exec_lo, s7
	s_cbranch_execnz .LBB5_113
; %bb.114:                              ;   in Loop: Header=BB5_2 Depth=1
	s_or_b32 exec_lo, exec_lo, s7
.LBB5_115:                              ;   in Loop: Header=BB5_2 Depth=1
	s_or_b32 exec_lo, exec_lo, s6
.LBB5_116:                              ;   in Loop: Header=BB5_2 Depth=1
	s_or_b32 exec_lo, exec_lo, s5
	s_clause 0x1
	global_load_dwordx2 v[8:9], v49, s[28:29] offset:40
	global_load_dwordx4 v[4:7], v49, s[28:29]
	v_readfirstlane_b32 s6, v2
	v_readfirstlane_b32 s7, v3
	s_mov_b32 s5, exec_lo
	s_waitcnt vmcnt(1)
	v_readfirstlane_b32 s8, v8
	v_readfirstlane_b32 s9, v9
	s_and_b64 s[8:9], s[6:7], s[8:9]
	s_mul_i32 s10, s9, 24
	s_mul_hi_u32 s11, s8, 24
	s_mul_i32 s12, s8, 24
	s_add_i32 s11, s11, s10
	s_waitcnt vmcnt(0)
	v_add_co_u32 v8, vcc_lo, v4, s12
	v_add_co_ci_u32_e32 v9, vcc_lo, s11, v5, vcc_lo
	s_and_saveexec_b32 s10, s4
	s_cbranch_execz .LBB5_118
; %bb.117:                              ;   in Loop: Header=BB5_2 Depth=1
	v_mov_b32_e32 v48, s5
	global_store_dwordx4 v[8:9], v[48:51], off offset:8
.LBB5_118:                              ;   in Loop: Header=BB5_2 Depth=1
	s_or_b32 exec_lo, exec_lo, s10
	s_lshl_b64 s[8:9], s[8:9], 12
	v_and_or_b32 v0, 0xffffff1f, v0, 32
	v_add_co_u32 v6, vcc_lo, v6, s8
	v_add_co_ci_u32_e32 v7, vcc_lo, s9, v7, vcc_lo
	v_lshlrev_b32_e32 v10, 6, v64
	v_mov_b32_e32 v2, v49
	v_mov_b32_e32 v3, v49
	v_readfirstlane_b32 s8, v6
	v_readfirstlane_b32 s9, v7
	v_mov_b32_e32 v11, s24
	v_mov_b32_e32 v12, s25
	;; [unrolled: 1-line block ×4, first 2 shown]
	global_store_dwordx4 v10, v[0:3], s[8:9]
	global_store_dwordx4 v10, v[11:14], s[8:9] offset:16
	global_store_dwordx4 v10, v[11:14], s[8:9] offset:32
	;; [unrolled: 1-line block ×3, first 2 shown]
	s_and_saveexec_b32 s5, s4
	s_cbranch_execz .LBB5_126
; %bb.119:                              ;   in Loop: Header=BB5_2 Depth=1
	s_clause 0x1
	global_load_dwordx2 v[13:14], v49, s[28:29] offset:32 glc dlc
	global_load_dwordx2 v[0:1], v49, s[28:29] offset:40
	v_mov_b32_e32 v11, s6
	v_mov_b32_e32 v12, s7
	s_waitcnt vmcnt(0)
	v_readfirstlane_b32 s8, v0
	v_readfirstlane_b32 s9, v1
	s_and_b64 s[8:9], s[8:9], s[6:7]
	s_mul_i32 s9, s9, 24
	s_mul_hi_u32 s10, s8, 24
	s_mul_i32 s8, s8, 24
	s_add_i32 s10, s10, s9
	v_add_co_u32 v4, vcc_lo, v4, s8
	v_add_co_ci_u32_e32 v5, vcc_lo, s10, v5, vcc_lo
	s_mov_b32 s8, exec_lo
	global_store_dwordx2 v[4:5], v[13:14], off
	s_waitcnt_vscnt null, 0x0
	global_atomic_cmpswap_x2 v[2:3], v49, v[11:14], s[28:29] offset:32 glc
	s_waitcnt vmcnt(0)
	v_cmpx_ne_u64_e64 v[2:3], v[13:14]
	s_cbranch_execz .LBB5_122
; %bb.120:                              ;   in Loop: Header=BB5_2 Depth=1
	s_mov_b32 s9, 0
.LBB5_121:                              ;   Parent Loop BB5_2 Depth=1
                                        ; =>  This Inner Loop Header: Depth=2
	v_mov_b32_e32 v0, s6
	v_mov_b32_e32 v1, s7
	s_sleep 1
	global_store_dwordx2 v[4:5], v[2:3], off
	s_waitcnt_vscnt null, 0x0
	global_atomic_cmpswap_x2 v[0:1], v49, v[0:3], s[28:29] offset:32 glc
	s_waitcnt vmcnt(0)
	v_cmp_eq_u64_e32 vcc_lo, v[0:1], v[2:3]
	v_mov_b32_e32 v3, v1
	v_mov_b32_e32 v2, v0
	s_or_b32 s9, vcc_lo, s9
	s_andn2_b32 exec_lo, exec_lo, s9
	s_cbranch_execnz .LBB5_121
.LBB5_122:                              ;   in Loop: Header=BB5_2 Depth=1
	s_or_b32 exec_lo, exec_lo, s8
	global_load_dwordx2 v[0:1], v49, s[28:29] offset:16
	s_mov_b32 s9, exec_lo
	s_mov_b32 s8, exec_lo
	v_mbcnt_lo_u32_b32 v2, s9, 0
	v_cmpx_eq_u32_e32 0, v2
	s_cbranch_execz .LBB5_124
; %bb.123:                              ;   in Loop: Header=BB5_2 Depth=1
	s_bcnt1_i32_b32 s9, s9
	v_mov_b32_e32 v48, s9
	s_waitcnt vmcnt(0)
	global_atomic_add_x2 v[0:1], v[48:49], off offset:8
.LBB5_124:                              ;   in Loop: Header=BB5_2 Depth=1
	s_or_b32 exec_lo, exec_lo, s8
	s_waitcnt vmcnt(0)
	global_load_dwordx2 v[2:3], v[0:1], off offset:16
	s_waitcnt vmcnt(0)
	v_cmp_eq_u64_e32 vcc_lo, 0, v[2:3]
	s_cbranch_vccnz .LBB5_126
; %bb.125:                              ;   in Loop: Header=BB5_2 Depth=1
	global_load_dword v48, v[0:1], off offset:24
	s_waitcnt vmcnt(0)
	v_and_b32_e32 v0, 0x7fffff, v48
	s_waitcnt_vscnt null, 0x0
	global_store_dwordx2 v[2:3], v[48:49], off
	v_readfirstlane_b32 m0, v0
	s_sendmsg sendmsg(MSG_INTERRUPT)
.LBB5_126:                              ;   in Loop: Header=BB5_2 Depth=1
	s_or_b32 exec_lo, exec_lo, s5
	v_add_co_u32 v0, vcc_lo, v6, v10
	v_add_co_ci_u32_e32 v1, vcc_lo, 0, v7, vcc_lo
	s_branch .LBB5_130
	.p2align	6
.LBB5_127:                              ;   in Loop: Header=BB5_130 Depth=2
	s_or_b32 exec_lo, exec_lo, s5
	v_readfirstlane_b32 s5, v2
	s_cmp_eq_u32 s5, 0
	s_cbranch_scc1 .LBB5_129
; %bb.128:                              ;   in Loop: Header=BB5_130 Depth=2
	s_sleep 1
	s_cbranch_execnz .LBB5_130
	s_branch .LBB5_132
	.p2align	6
.LBB5_129:                              ;   in Loop: Header=BB5_2 Depth=1
	s_branch .LBB5_132
.LBB5_130:                              ;   Parent Loop BB5_2 Depth=1
                                        ; =>  This Inner Loop Header: Depth=2
	v_mov_b32_e32 v2, 1
	s_and_saveexec_b32 s5, s4
	s_cbranch_execz .LBB5_127
; %bb.131:                              ;   in Loop: Header=BB5_130 Depth=2
	global_load_dword v2, v[8:9], off offset:20 glc dlc
	s_waitcnt vmcnt(0)
	buffer_gl1_inv
	buffer_gl0_inv
	v_and_b32_e32 v2, 1, v2
	s_branch .LBB5_127
.LBB5_132:                              ;   in Loop: Header=BB5_2 Depth=1
	global_load_dwordx2 v[2:3], v[0:1], off
	s_and_saveexec_b32 s5, s4
	s_cbranch_execz .LBB5_136
; %bb.133:                              ;   in Loop: Header=BB5_2 Depth=1
	s_clause 0x2
	global_load_dwordx2 v[0:1], v49, s[28:29] offset:40
	global_load_dwordx2 v[8:9], v49, s[28:29] offset:24 glc dlc
	global_load_dwordx2 v[6:7], v49, s[28:29]
	s_waitcnt vmcnt(2)
	v_add_co_u32 v10, vcc_lo, v0, 1
	v_add_co_ci_u32_e32 v11, vcc_lo, 0, v1, vcc_lo
	v_add_co_u32 v4, vcc_lo, v10, s6
	v_add_co_ci_u32_e32 v5, vcc_lo, s7, v11, vcc_lo
	v_cmp_eq_u64_e32 vcc_lo, 0, v[4:5]
	v_cndmask_b32_e32 v5, v5, v11, vcc_lo
	v_cndmask_b32_e32 v4, v4, v10, vcc_lo
	v_and_b32_e32 v1, v5, v1
	v_and_b32_e32 v0, v4, v0
	v_mul_lo_u32 v1, v1, 24
	v_mul_hi_u32 v10, v0, 24
	v_mul_lo_u32 v0, v0, 24
	v_add_nc_u32_e32 v1, v10, v1
	s_waitcnt vmcnt(0)
	v_add_co_u32 v0, vcc_lo, v6, v0
	v_mov_b32_e32 v6, v8
	v_add_co_ci_u32_e32 v1, vcc_lo, v7, v1, vcc_lo
	v_mov_b32_e32 v7, v9
	global_store_dwordx2 v[0:1], v[8:9], off
	s_waitcnt_vscnt null, 0x0
	global_atomic_cmpswap_x2 v[6:7], v49, v[4:7], s[28:29] offset:24 glc
	s_waitcnt vmcnt(0)
	v_cmp_ne_u64_e32 vcc_lo, v[6:7], v[8:9]
	s_and_b32 exec_lo, exec_lo, vcc_lo
	s_cbranch_execz .LBB5_136
; %bb.134:                              ;   in Loop: Header=BB5_2 Depth=1
	s_mov_b32 s4, 0
.LBB5_135:                              ;   Parent Loop BB5_2 Depth=1
                                        ; =>  This Inner Loop Header: Depth=2
	s_sleep 1
	global_store_dwordx2 v[0:1], v[6:7], off
	s_waitcnt_vscnt null, 0x0
	global_atomic_cmpswap_x2 v[8:9], v49, v[4:7], s[28:29] offset:24 glc
	s_waitcnt vmcnt(0)
	v_cmp_eq_u64_e32 vcc_lo, v[8:9], v[6:7]
	v_mov_b32_e32 v6, v8
	v_mov_b32_e32 v7, v9
	s_or_b32 s4, vcc_lo, s4
	s_andn2_b32 exec_lo, exec_lo, s4
	s_cbranch_execnz .LBB5_135
.LBB5_136:                              ;   in Loop: Header=BB5_2 Depth=1
	s_or_b32 exec_lo, exec_lo, s5
.LBB5_137:                              ;   in Loop: Header=BB5_2 Depth=1
	v_readfirstlane_b32 s4, v64
	s_waitcnt vmcnt(0)
	v_mov_b32_e32 v0, 0
	v_mov_b32_e32 v1, 0
	v_cmp_eq_u32_e64 s4, s4, v64
	s_and_saveexec_b32 s5, s4
	s_cbranch_execz .LBB5_143
; %bb.138:                              ;   in Loop: Header=BB5_2 Depth=1
	global_load_dwordx2 v[6:7], v49, s[28:29] offset:24 glc dlc
	s_waitcnt vmcnt(0)
	buffer_gl1_inv
	buffer_gl0_inv
	s_clause 0x1
	global_load_dwordx2 v[0:1], v49, s[28:29] offset:40
	global_load_dwordx2 v[4:5], v49, s[28:29]
	s_mov_b32 s6, exec_lo
	s_waitcnt vmcnt(1)
	v_and_b32_e32 v1, v1, v7
	v_and_b32_e32 v0, v0, v6
	v_mul_lo_u32 v1, v1, 24
	v_mul_hi_u32 v8, v0, 24
	v_mul_lo_u32 v0, v0, 24
	v_add_nc_u32_e32 v1, v8, v1
	s_waitcnt vmcnt(0)
	v_add_co_u32 v0, vcc_lo, v4, v0
	v_add_co_ci_u32_e32 v1, vcc_lo, v5, v1, vcc_lo
	global_load_dwordx2 v[4:5], v[0:1], off glc dlc
	s_waitcnt vmcnt(0)
	global_atomic_cmpswap_x2 v[0:1], v49, v[4:7], s[28:29] offset:24 glc
	s_waitcnt vmcnt(0)
	buffer_gl1_inv
	buffer_gl0_inv
	v_cmpx_ne_u64_e64 v[0:1], v[6:7]
	s_cbranch_execz .LBB5_142
; %bb.139:                              ;   in Loop: Header=BB5_2 Depth=1
	s_mov_b32 s7, 0
	.p2align	6
.LBB5_140:                              ;   Parent Loop BB5_2 Depth=1
                                        ; =>  This Inner Loop Header: Depth=2
	s_sleep 1
	s_clause 0x1
	global_load_dwordx2 v[4:5], v49, s[28:29] offset:40
	global_load_dwordx2 v[8:9], v49, s[28:29]
	v_mov_b32_e32 v7, v1
	v_mov_b32_e32 v6, v0
	s_waitcnt vmcnt(1)
	v_and_b32_e32 v0, v4, v6
	v_and_b32_e32 v4, v5, v7
	s_waitcnt vmcnt(0)
	v_mad_u64_u32 v[0:1], null, v0, 24, v[8:9]
	v_mad_u64_u32 v[4:5], null, v4, 24, v[1:2]
	v_mov_b32_e32 v1, v4
	global_load_dwordx2 v[4:5], v[0:1], off glc dlc
	s_waitcnt vmcnt(0)
	global_atomic_cmpswap_x2 v[0:1], v49, v[4:7], s[28:29] offset:24 glc
	s_waitcnt vmcnt(0)
	buffer_gl1_inv
	buffer_gl0_inv
	v_cmp_eq_u64_e32 vcc_lo, v[0:1], v[6:7]
	s_or_b32 s7, vcc_lo, s7
	s_andn2_b32 exec_lo, exec_lo, s7
	s_cbranch_execnz .LBB5_140
; %bb.141:                              ;   in Loop: Header=BB5_2 Depth=1
	s_or_b32 exec_lo, exec_lo, s7
.LBB5_142:                              ;   in Loop: Header=BB5_2 Depth=1
	s_or_b32 exec_lo, exec_lo, s6
.LBB5_143:                              ;   in Loop: Header=BB5_2 Depth=1
	s_or_b32 exec_lo, exec_lo, s5
	s_clause 0x1
	global_load_dwordx2 v[4:5], v49, s[28:29] offset:40
	global_load_dwordx4 v[6:9], v49, s[28:29]
	v_readfirstlane_b32 s6, v0
	v_readfirstlane_b32 s7, v1
	s_mov_b32 s5, exec_lo
	s_waitcnt vmcnt(1)
	v_readfirstlane_b32 s8, v4
	v_readfirstlane_b32 s9, v5
	s_and_b64 s[8:9], s[6:7], s[8:9]
	s_mul_i32 s10, s9, 24
	s_mul_hi_u32 s11, s8, 24
	s_mul_i32 s12, s8, 24
	s_add_i32 s11, s11, s10
	s_waitcnt vmcnt(0)
	v_add_co_u32 v10, vcc_lo, v6, s12
	v_add_co_ci_u32_e32 v11, vcc_lo, s11, v7, vcc_lo
	s_and_saveexec_b32 s10, s4
	s_cbranch_execz .LBB5_145
; %bb.144:                              ;   in Loop: Header=BB5_2 Depth=1
	v_mov_b32_e32 v48, s5
	global_store_dwordx4 v[10:11], v[48:51], off offset:8
.LBB5_145:                              ;   in Loop: Header=BB5_2 Depth=1
	s_or_b32 exec_lo, exec_lo, s10
	s_lshl_b64 s[8:9], s[8:9], 12
	v_and_or_b32 v2, 0xffffff1d, v2, 34
	v_add_co_u32 v0, vcc_lo, v8, s8
	v_add_co_ci_u32_e32 v1, vcc_lo, s9, v9, vcc_lo
	s_waitcnt lgkmcnt(0)
	v_ashrrev_i32_e32 v5, 31, v24
	v_lshlrev_b32_e32 v8, 6, v64
	v_mov_b32_e32 v4, v24
	v_readfirstlane_b32 s8, v0
	v_readfirstlane_b32 s9, v1
	v_mov_b32_e32 v12, s24
	v_mov_b32_e32 v13, s25
	;; [unrolled: 1-line block ×4, first 2 shown]
	global_store_dwordx4 v8, v[2:5], s[8:9]
	global_store_dwordx4 v8, v[12:15], s[8:9] offset:16
	global_store_dwordx4 v8, v[12:15], s[8:9] offset:32
	;; [unrolled: 1-line block ×3, first 2 shown]
	s_and_saveexec_b32 s5, s4
	s_cbranch_execz .LBB5_153
; %bb.146:                              ;   in Loop: Header=BB5_2 Depth=1
	s_clause 0x1
	global_load_dwordx2 v[8:9], v49, s[28:29] offset:32 glc dlc
	global_load_dwordx2 v[0:1], v49, s[28:29] offset:40
	s_waitcnt vmcnt(0)
	v_readfirstlane_b32 s8, v0
	v_readfirstlane_b32 s9, v1
	s_and_b64 s[8:9], s[8:9], s[6:7]
	s_mul_i32 s9, s9, 24
	s_mul_hi_u32 s10, s8, 24
	s_mul_i32 s8, s8, 24
	s_add_i32 s10, s10, s9
	v_add_co_u32 v4, vcc_lo, v6, s8
	v_add_co_ci_u32_e32 v5, vcc_lo, s10, v7, vcc_lo
	v_mov_b32_e32 v6, s6
	v_mov_b32_e32 v7, s7
	s_mov_b32 s8, exec_lo
	global_store_dwordx2 v[4:5], v[8:9], off
	s_waitcnt_vscnt null, 0x0
	global_atomic_cmpswap_x2 v[2:3], v49, v[6:9], s[28:29] offset:32 glc
	s_waitcnt vmcnt(0)
	v_cmpx_ne_u64_e64 v[2:3], v[8:9]
	s_cbranch_execz .LBB5_149
; %bb.147:                              ;   in Loop: Header=BB5_2 Depth=1
	s_mov_b32 s9, 0
.LBB5_148:                              ;   Parent Loop BB5_2 Depth=1
                                        ; =>  This Inner Loop Header: Depth=2
	v_mov_b32_e32 v0, s6
	v_mov_b32_e32 v1, s7
	s_sleep 1
	global_store_dwordx2 v[4:5], v[2:3], off
	s_waitcnt_vscnt null, 0x0
	global_atomic_cmpswap_x2 v[0:1], v49, v[0:3], s[28:29] offset:32 glc
	s_waitcnt vmcnt(0)
	v_cmp_eq_u64_e32 vcc_lo, v[0:1], v[2:3]
	v_mov_b32_e32 v3, v1
	v_mov_b32_e32 v2, v0
	s_or_b32 s9, vcc_lo, s9
	s_andn2_b32 exec_lo, exec_lo, s9
	s_cbranch_execnz .LBB5_148
.LBB5_149:                              ;   in Loop: Header=BB5_2 Depth=1
	s_or_b32 exec_lo, exec_lo, s8
	global_load_dwordx2 v[0:1], v49, s[28:29] offset:16
	s_mov_b32 s9, exec_lo
	s_mov_b32 s8, exec_lo
	v_mbcnt_lo_u32_b32 v2, s9, 0
	v_cmpx_eq_u32_e32 0, v2
	s_cbranch_execz .LBB5_151
; %bb.150:                              ;   in Loop: Header=BB5_2 Depth=1
	s_bcnt1_i32_b32 s9, s9
	v_mov_b32_e32 v48, s9
	s_waitcnt vmcnt(0)
	global_atomic_add_x2 v[0:1], v[48:49], off offset:8
.LBB5_151:                              ;   in Loop: Header=BB5_2 Depth=1
	s_or_b32 exec_lo, exec_lo, s8
	s_waitcnt vmcnt(0)
	global_load_dwordx2 v[2:3], v[0:1], off offset:16
	s_waitcnt vmcnt(0)
	v_cmp_eq_u64_e32 vcc_lo, 0, v[2:3]
	s_cbranch_vccnz .LBB5_153
; %bb.152:                              ;   in Loop: Header=BB5_2 Depth=1
	global_load_dword v48, v[0:1], off offset:24
	s_waitcnt vmcnt(0)
	v_and_b32_e32 v0, 0x7fffff, v48
	s_waitcnt_vscnt null, 0x0
	global_store_dwordx2 v[2:3], v[48:49], off
	v_readfirstlane_b32 m0, v0
	s_sendmsg sendmsg(MSG_INTERRUPT)
.LBB5_153:                              ;   in Loop: Header=BB5_2 Depth=1
	s_or_b32 exec_lo, exec_lo, s5
	s_branch .LBB5_157
	.p2align	6
.LBB5_154:                              ;   in Loop: Header=BB5_157 Depth=2
	s_or_b32 exec_lo, exec_lo, s5
	v_readfirstlane_b32 s5, v0
	s_cmp_eq_u32 s5, 0
	s_cbranch_scc1 .LBB5_156
; %bb.155:                              ;   in Loop: Header=BB5_157 Depth=2
	s_sleep 1
	s_cbranch_execnz .LBB5_157
	s_branch .LBB5_159
	.p2align	6
.LBB5_156:                              ;   in Loop: Header=BB5_2 Depth=1
	s_branch .LBB5_159
.LBB5_157:                              ;   Parent Loop BB5_2 Depth=1
                                        ; =>  This Inner Loop Header: Depth=2
	v_mov_b32_e32 v0, 1
	s_and_saveexec_b32 s5, s4
	s_cbranch_execz .LBB5_154
; %bb.158:                              ;   in Loop: Header=BB5_157 Depth=2
	global_load_dword v0, v[10:11], off offset:20 glc dlc
	s_waitcnt vmcnt(0)
	buffer_gl1_inv
	buffer_gl0_inv
	v_and_b32_e32 v0, 1, v0
	s_branch .LBB5_154
.LBB5_159:                              ;   in Loop: Header=BB5_2 Depth=1
	s_and_saveexec_b32 s5, s4
	s_cbranch_execz .LBB5_1
; %bb.160:                              ;   in Loop: Header=BB5_2 Depth=1
	s_clause 0x2
	global_load_dwordx2 v[2:3], v49, s[28:29] offset:40
	global_load_dwordx2 v[6:7], v49, s[28:29] offset:24 glc dlc
	global_load_dwordx2 v[4:5], v49, s[28:29]
	s_waitcnt vmcnt(2)
	v_add_co_u32 v8, vcc_lo, v2, 1
	v_add_co_ci_u32_e32 v9, vcc_lo, 0, v3, vcc_lo
	v_add_co_u32 v0, vcc_lo, v8, s6
	v_add_co_ci_u32_e32 v1, vcc_lo, s7, v9, vcc_lo
	v_cmp_eq_u64_e32 vcc_lo, 0, v[0:1]
	v_cndmask_b32_e32 v1, v1, v9, vcc_lo
	v_cndmask_b32_e32 v0, v0, v8, vcc_lo
	v_and_b32_e32 v3, v1, v3
	v_and_b32_e32 v2, v0, v2
	v_mul_lo_u32 v3, v3, 24
	v_mul_hi_u32 v8, v2, 24
	v_mul_lo_u32 v2, v2, 24
	v_add_nc_u32_e32 v3, v8, v3
	s_waitcnt vmcnt(0)
	v_add_co_u32 v4, vcc_lo, v4, v2
	v_mov_b32_e32 v2, v6
	v_add_co_ci_u32_e32 v5, vcc_lo, v5, v3, vcc_lo
	v_mov_b32_e32 v3, v7
	global_store_dwordx2 v[4:5], v[6:7], off
	s_waitcnt_vscnt null, 0x0
	global_atomic_cmpswap_x2 v[2:3], v49, v[0:3], s[28:29] offset:24 glc
	s_waitcnt vmcnt(0)
	v_cmp_ne_u64_e32 vcc_lo, v[2:3], v[6:7]
	s_and_b32 exec_lo, exec_lo, vcc_lo
	s_cbranch_execz .LBB5_1
; %bb.161:                              ;   in Loop: Header=BB5_2 Depth=1
	s_mov_b32 s4, 0
.LBB5_162:                              ;   Parent Loop BB5_2 Depth=1
                                        ; =>  This Inner Loop Header: Depth=2
	s_sleep 1
	global_store_dwordx2 v[4:5], v[2:3], off
	s_waitcnt_vscnt null, 0x0
	global_atomic_cmpswap_x2 v[6:7], v49, v[0:3], s[28:29] offset:24 glc
	s_waitcnt vmcnt(0)
	v_cmp_eq_u64_e32 vcc_lo, v[6:7], v[2:3]
	v_mov_b32_e32 v2, v6
	v_mov_b32_e32 v3, v7
	s_or_b32 s4, vcc_lo, s4
	s_andn2_b32 exec_lo, exec_lo, s4
	s_cbranch_execnz .LBB5_162
	s_branch .LBB5_1
.LBB5_163:
	s_getpc_b64 s[24:25]
	s_add_u32 s24, s24, .str.8@rel32@lo+4
	s_addc_u32 s25, s25, .str.8@rel32@hi+12
	v_mov_b32_e32 v0, s24
	v_mov_b32_e32 v1, s25
	s_mov_b64 s[8:9], s[22:23]
	s_getpc_b64 s[26:27]
	s_add_u32 s26, s26, _ZNK8migraphx13basic_printerIZNS_4coutEvEUlT_E_ElsEPKc@rel32@lo+4
	s_addc_u32 s27, s27, _ZNK8migraphx13basic_printerIZNS_4coutEvEUlT_E_ElsEPKc@rel32@hi+12
	s_swappc_b64 s[30:31], s[26:27]
	s_getpc_b64 s[4:5]
	s_add_u32 s4, s4, .str.10@rel32@lo+4
	s_addc_u32 s5, s5, .str.10@rel32@hi+12
	v_mov_b32_e32 v0, s4
	v_mov_b32_e32 v1, s5
	s_mov_b64 s[8:9], s[22:23]
	s_swappc_b64 s[30:31], s[26:27]
	v_mov_b32_e32 v0, s24
	v_mov_b32_e32 v1, s25
	s_mov_b64 s[8:9], s[22:23]
	s_swappc_b64 s[30:31], s[26:27]
	flat_load_dwordx2 v[52:53], v[36:37] offset:8
	v_mov_b32_e32 v37, 0
	v_mov_b32_e32 v38, 2
	;; [unrolled: 1-line block ×4, first 2 shown]
	s_mov_b32 s35, 0
	v_mov_b32_e32 v49, v37
	v_mov_b32_e32 v50, v37
	;; [unrolled: 1-line block ×3, first 2 shown]
	s_mov_b32 s24, s35
	s_mov_b32 s25, s35
	;; [unrolled: 1-line block ×5, first 2 shown]
	s_branch .LBB5_165
.LBB5_164:                              ;   in Loop: Header=BB5_165 Depth=1
	s_or_b32 exec_lo, exec_lo, s5
	s_add_i32 s34, s34, 1
	s_cmp_lg_u32 s34, 8
	s_cbranch_scc0 .LBB5_326
.LBB5_165:                              ; =>This Loop Header: Depth=1
                                        ;     Child Loop BB5_170 Depth 2
                                        ;     Child Loop BB5_178 Depth 2
	;; [unrolled: 1-line block ×9, first 2 shown]
                                        ;       Child Loop BB5_199 Depth 3
                                        ;       Child Loop BB5_206 Depth 3
	;; [unrolled: 1-line block ×11, first 2 shown]
                                        ;     Child Loop BB5_303 Depth 2
                                        ;     Child Loop BB5_311 Depth 2
	;; [unrolled: 1-line block ×4, first 2 shown]
	s_cmp_eq_u32 s34, 0
	s_cbranch_scc1 .LBB5_167
; %bb.166:                              ;   in Loop: Header=BB5_165 Depth=1
	s_getpc_b64 s[4:5]
	s_add_u32 s4, s4, .str.11@rel32@lo+4
	s_addc_u32 s5, s5, .str.11@rel32@hi+12
	v_mov_b32_e32 v0, s4
	v_mov_b32_e32 v1, s5
	s_mov_b64 s[8:9], s[22:23]
	s_getpc_b64 s[6:7]
	s_add_u32 s6, s6, _ZNK8migraphx13basic_printerIZNS_4coutEvEUlT_E_ElsEPKc@rel32@lo+4
	s_addc_u32 s7, s7, _ZNK8migraphx13basic_printerIZNS_4coutEvEUlT_E_ElsEPKc@rel32@hi+12
	s_swappc_b64 s[30:31], s[6:7]
.LBB5_167:                              ;   in Loop: Header=BB5_165 Depth=1
	s_lshl_b64 s[4:5], s[34:35], 2
	v_mov_b32_e32 v4, 0
	s_waitcnt vmcnt(0) lgkmcnt(0)
	v_add_co_u32 v0, vcc_lo, v52, s4
	v_add_co_ci_u32_e32 v1, vcc_lo, s5, v53, vcc_lo
	v_readfirstlane_b32 s4, v64
	v_mov_b32_e32 v5, 0
	flat_load_dword v24, v[0:1]
	v_cmp_eq_u32_e64 s4, s4, v64
	s_and_saveexec_b32 s5, s4
	s_cbranch_execz .LBB5_173
; %bb.168:                              ;   in Loop: Header=BB5_165 Depth=1
	global_load_dwordx2 v[2:3], v37, s[28:29] offset:24 glc dlc
	s_waitcnt vmcnt(0)
	buffer_gl1_inv
	buffer_gl0_inv
	s_clause 0x1
	global_load_dwordx2 v[0:1], v37, s[28:29] offset:40
	global_load_dwordx2 v[4:5], v37, s[28:29]
	s_mov_b32 s6, exec_lo
	s_waitcnt vmcnt(1)
	v_and_b32_e32 v1, v1, v3
	v_and_b32_e32 v0, v0, v2
	v_mul_lo_u32 v1, v1, 24
	v_mul_hi_u32 v6, v0, 24
	v_mul_lo_u32 v0, v0, 24
	v_add_nc_u32_e32 v1, v6, v1
	s_waitcnt vmcnt(0)
	v_add_co_u32 v0, vcc_lo, v4, v0
	v_add_co_ci_u32_e32 v1, vcc_lo, v5, v1, vcc_lo
	global_load_dwordx2 v[0:1], v[0:1], off glc dlc
	s_waitcnt vmcnt(0)
	global_atomic_cmpswap_x2 v[4:5], v37, v[0:3], s[28:29] offset:24 glc
	s_waitcnt vmcnt(0)
	buffer_gl1_inv
	buffer_gl0_inv
	v_cmpx_ne_u64_e64 v[4:5], v[2:3]
	s_cbranch_execz .LBB5_172
; %bb.169:                              ;   in Loop: Header=BB5_165 Depth=1
	s_mov_b32 s7, 0
	.p2align	6
.LBB5_170:                              ;   Parent Loop BB5_165 Depth=1
                                        ; =>  This Inner Loop Header: Depth=2
	s_sleep 1
	s_clause 0x1
	global_load_dwordx2 v[0:1], v37, s[28:29] offset:40
	global_load_dwordx2 v[6:7], v37, s[28:29]
	v_mov_b32_e32 v2, v4
	v_mov_b32_e32 v3, v5
	s_waitcnt vmcnt(1)
	v_and_b32_e32 v0, v0, v2
	v_and_b32_e32 v1, v1, v3
	s_waitcnt vmcnt(0)
	v_mad_u64_u32 v[4:5], null, v0, 24, v[6:7]
	v_mov_b32_e32 v0, v5
	v_mad_u64_u32 v[0:1], null, v1, 24, v[0:1]
	v_mov_b32_e32 v5, v0
	global_load_dwordx2 v[0:1], v[4:5], off glc dlc
	s_waitcnt vmcnt(0)
	global_atomic_cmpswap_x2 v[4:5], v37, v[0:3], s[28:29] offset:24 glc
	s_waitcnt vmcnt(0)
	buffer_gl1_inv
	buffer_gl0_inv
	v_cmp_eq_u64_e32 vcc_lo, v[4:5], v[2:3]
	s_or_b32 s7, vcc_lo, s7
	s_andn2_b32 exec_lo, exec_lo, s7
	s_cbranch_execnz .LBB5_170
; %bb.171:                              ;   in Loop: Header=BB5_165 Depth=1
	s_or_b32 exec_lo, exec_lo, s7
.LBB5_172:                              ;   in Loop: Header=BB5_165 Depth=1
	s_or_b32 exec_lo, exec_lo, s6
.LBB5_173:                              ;   in Loop: Header=BB5_165 Depth=1
	s_or_b32 exec_lo, exec_lo, s5
	s_clause 0x1
	global_load_dwordx2 v[6:7], v37, s[28:29] offset:40
	global_load_dwordx4 v[0:3], v37, s[28:29]
	v_readfirstlane_b32 s6, v4
	v_readfirstlane_b32 s7, v5
	s_mov_b32 s5, exec_lo
	s_waitcnt vmcnt(1)
	v_readfirstlane_b32 s8, v6
	v_readfirstlane_b32 s9, v7
	s_and_b64 s[8:9], s[6:7], s[8:9]
	s_mul_i32 s10, s9, 24
	s_mul_hi_u32 s11, s8, 24
	s_mul_i32 s12, s8, 24
	s_add_i32 s11, s11, s10
	s_waitcnt vmcnt(0)
	v_add_co_u32 v4, vcc_lo, v0, s12
	v_add_co_ci_u32_e32 v5, vcc_lo, s11, v1, vcc_lo
	s_and_saveexec_b32 s10, s4
	s_cbranch_execz .LBB5_175
; %bb.174:                              ;   in Loop: Header=BB5_165 Depth=1
	v_mov_b32_e32 v36, s5
	global_store_dwordx4 v[4:5], v[36:39], off offset:8
.LBB5_175:                              ;   in Loop: Header=BB5_165 Depth=1
	s_or_b32 exec_lo, exec_lo, s10
	s_lshl_b64 s[8:9], s[8:9], 12
	v_mov_b32_e32 v10, s24
	v_add_co_u32 v8, vcc_lo, v2, s8
	v_add_co_ci_u32_e32 v9, vcc_lo, s9, v3, vcc_lo
	v_mov_b32_e32 v11, s25
	v_readfirstlane_b32 s8, v8
	v_mov_b32_e32 v12, s26
	v_readfirstlane_b32 s9, v9
	v_mov_b32_e32 v13, s27
	global_store_dwordx4 v65, v[48:51], s[8:9]
	global_store_dwordx4 v65, v[10:13], s[8:9] offset:16
	global_store_dwordx4 v65, v[10:13], s[8:9] offset:32
	;; [unrolled: 1-line block ×3, first 2 shown]
	s_and_saveexec_b32 s5, s4
	s_cbranch_execz .LBB5_183
; %bb.176:                              ;   in Loop: Header=BB5_165 Depth=1
	s_clause 0x1
	global_load_dwordx2 v[12:13], v37, s[28:29] offset:32 glc dlc
	global_load_dwordx2 v[2:3], v37, s[28:29] offset:40
	v_mov_b32_e32 v10, s6
	v_mov_b32_e32 v11, s7
	s_waitcnt vmcnt(0)
	v_readfirstlane_b32 s8, v2
	v_readfirstlane_b32 s9, v3
	s_and_b64 s[8:9], s[8:9], s[6:7]
	s_mul_i32 s9, s9, 24
	s_mul_hi_u32 s10, s8, 24
	s_mul_i32 s8, s8, 24
	s_add_i32 s10, s10, s9
	v_add_co_u32 v6, vcc_lo, v0, s8
	v_add_co_ci_u32_e32 v7, vcc_lo, s10, v1, vcc_lo
	s_mov_b32 s8, exec_lo
	global_store_dwordx2 v[6:7], v[12:13], off
	s_waitcnt_vscnt null, 0x0
	global_atomic_cmpswap_x2 v[2:3], v37, v[10:13], s[28:29] offset:32 glc
	s_waitcnt vmcnt(0)
	v_cmpx_ne_u64_e64 v[2:3], v[12:13]
	s_cbranch_execz .LBB5_179
; %bb.177:                              ;   in Loop: Header=BB5_165 Depth=1
	s_mov_b32 s9, 0
.LBB5_178:                              ;   Parent Loop BB5_165 Depth=1
                                        ; =>  This Inner Loop Header: Depth=2
	v_mov_b32_e32 v0, s6
	v_mov_b32_e32 v1, s7
	s_sleep 1
	global_store_dwordx2 v[6:7], v[2:3], off
	s_waitcnt_vscnt null, 0x0
	global_atomic_cmpswap_x2 v[0:1], v37, v[0:3], s[28:29] offset:32 glc
	s_waitcnt vmcnt(0)
	v_cmp_eq_u64_e32 vcc_lo, v[0:1], v[2:3]
	v_mov_b32_e32 v3, v1
	v_mov_b32_e32 v2, v0
	s_or_b32 s9, vcc_lo, s9
	s_andn2_b32 exec_lo, exec_lo, s9
	s_cbranch_execnz .LBB5_178
.LBB5_179:                              ;   in Loop: Header=BB5_165 Depth=1
	s_or_b32 exec_lo, exec_lo, s8
	global_load_dwordx2 v[0:1], v37, s[28:29] offset:16
	s_mov_b32 s9, exec_lo
	s_mov_b32 s8, exec_lo
	v_mbcnt_lo_u32_b32 v2, s9, 0
	v_cmpx_eq_u32_e32 0, v2
	s_cbranch_execz .LBB5_181
; %bb.180:                              ;   in Loop: Header=BB5_165 Depth=1
	s_bcnt1_i32_b32 s9, s9
	v_mov_b32_e32 v36, s9
	s_waitcnt vmcnt(0)
	global_atomic_add_x2 v[0:1], v[36:37], off offset:8
.LBB5_181:                              ;   in Loop: Header=BB5_165 Depth=1
	s_or_b32 exec_lo, exec_lo, s8
	s_waitcnt vmcnt(0)
	global_load_dwordx2 v[2:3], v[0:1], off offset:16
	s_waitcnt vmcnt(0)
	v_cmp_eq_u64_e32 vcc_lo, 0, v[2:3]
	s_cbranch_vccnz .LBB5_183
; %bb.182:                              ;   in Loop: Header=BB5_165 Depth=1
	global_load_dword v36, v[0:1], off offset:24
	s_waitcnt vmcnt(0)
	v_and_b32_e32 v0, 0x7fffff, v36
	s_waitcnt_vscnt null, 0x0
	global_store_dwordx2 v[2:3], v[36:37], off
	v_readfirstlane_b32 m0, v0
	s_sendmsg sendmsg(MSG_INTERRUPT)
.LBB5_183:                              ;   in Loop: Header=BB5_165 Depth=1
	s_or_b32 exec_lo, exec_lo, s5
	v_add_co_u32 v0, vcc_lo, v8, v65
	v_add_co_ci_u32_e32 v1, vcc_lo, 0, v9, vcc_lo
	s_branch .LBB5_187
	.p2align	6
.LBB5_184:                              ;   in Loop: Header=BB5_187 Depth=2
	s_or_b32 exec_lo, exec_lo, s5
	v_readfirstlane_b32 s5, v2
	s_cmp_eq_u32 s5, 0
	s_cbranch_scc1 .LBB5_186
; %bb.185:                              ;   in Loop: Header=BB5_187 Depth=2
	s_sleep 1
	s_cbranch_execnz .LBB5_187
	s_branch .LBB5_189
	.p2align	6
.LBB5_186:                              ;   in Loop: Header=BB5_165 Depth=1
	s_branch .LBB5_189
.LBB5_187:                              ;   Parent Loop BB5_165 Depth=1
                                        ; =>  This Inner Loop Header: Depth=2
	v_mov_b32_e32 v2, 1
	s_and_saveexec_b32 s5, s4
	s_cbranch_execz .LBB5_184
; %bb.188:                              ;   in Loop: Header=BB5_187 Depth=2
	global_load_dword v2, v[4:5], off offset:20 glc dlc
	s_waitcnt vmcnt(0)
	buffer_gl1_inv
	buffer_gl0_inv
	v_and_b32_e32 v2, 1, v2
	s_branch .LBB5_184
.LBB5_189:                              ;   in Loop: Header=BB5_165 Depth=1
	global_load_dwordx2 v[0:1], v[0:1], off
	s_and_saveexec_b32 s5, s4
	s_cbranch_execz .LBB5_193
; %bb.190:                              ;   in Loop: Header=BB5_165 Depth=1
	s_clause 0x2
	global_load_dwordx2 v[4:5], v37, s[28:29] offset:40
	global_load_dwordx2 v[8:9], v37, s[28:29] offset:24 glc dlc
	global_load_dwordx2 v[6:7], v37, s[28:29]
	s_waitcnt vmcnt(2)
	v_add_co_u32 v10, vcc_lo, v4, 1
	v_add_co_ci_u32_e32 v11, vcc_lo, 0, v5, vcc_lo
	v_add_co_u32 v2, vcc_lo, v10, s6
	v_add_co_ci_u32_e32 v3, vcc_lo, s7, v11, vcc_lo
	v_cmp_eq_u64_e32 vcc_lo, 0, v[2:3]
	v_cndmask_b32_e32 v3, v3, v11, vcc_lo
	v_cndmask_b32_e32 v2, v2, v10, vcc_lo
	v_and_b32_e32 v5, v3, v5
	v_and_b32_e32 v4, v2, v4
	v_mul_lo_u32 v5, v5, 24
	v_mul_hi_u32 v10, v4, 24
	v_mul_lo_u32 v4, v4, 24
	v_add_nc_u32_e32 v5, v10, v5
	s_waitcnt vmcnt(0)
	v_add_co_u32 v6, vcc_lo, v6, v4
	v_mov_b32_e32 v4, v8
	v_add_co_ci_u32_e32 v7, vcc_lo, v7, v5, vcc_lo
	v_mov_b32_e32 v5, v9
	global_store_dwordx2 v[6:7], v[8:9], off
	s_waitcnt_vscnt null, 0x0
	global_atomic_cmpswap_x2 v[4:5], v37, v[2:5], s[28:29] offset:24 glc
	s_waitcnt vmcnt(0)
	v_cmp_ne_u64_e32 vcc_lo, v[4:5], v[8:9]
	s_and_b32 exec_lo, exec_lo, vcc_lo
	s_cbranch_execz .LBB5_193
; %bb.191:                              ;   in Loop: Header=BB5_165 Depth=1
	s_mov_b32 s4, 0
.LBB5_192:                              ;   Parent Loop BB5_165 Depth=1
                                        ; =>  This Inner Loop Header: Depth=2
	s_sleep 1
	global_store_dwordx2 v[6:7], v[4:5], off
	s_waitcnt_vscnt null, 0x0
	global_atomic_cmpswap_x2 v[8:9], v37, v[2:5], s[28:29] offset:24 glc
	s_waitcnt vmcnt(0)
	v_cmp_eq_u64_e32 vcc_lo, v[8:9], v[4:5]
	v_mov_b32_e32 v4, v8
	v_mov_b32_e32 v5, v9
	s_or_b32 s4, vcc_lo, s4
	s_andn2_b32 exec_lo, exec_lo, s4
	s_cbranch_execnz .LBB5_192
.LBB5_193:                              ;   in Loop: Header=BB5_165 Depth=1
	s_or_b32 exec_lo, exec_lo, s5
	s_and_b32 vcc_lo, exec_lo, s36
	s_cbranch_vccz .LBB5_272
; %bb.194:                              ;   in Loop: Header=BB5_165 Depth=1
	s_waitcnt vmcnt(0)
	v_and_b32_e32 v25, 2, v0
	v_and_b32_e32 v2, -3, v0
	v_mov_b32_e32 v3, v1
	s_mov_b64 s[8:9], 4
	s_getpc_b64 s[6:7]
	s_add_u32 s6, s6, .str.7@rel32@lo+4
	s_addc_u32 s7, s7, .str.7@rel32@hi+12
	s_branch .LBB5_196
.LBB5_195:                              ;   in Loop: Header=BB5_196 Depth=2
	s_or_b32 exec_lo, exec_lo, s5
	s_sub_u32 s8, s8, s10
	s_subb_u32 s9, s9, s11
	s_add_u32 s6, s6, s10
	s_addc_u32 s7, s7, s11
	s_cmp_lg_u64 s[8:9], 0
	s_cbranch_scc0 .LBB5_271
.LBB5_196:                              ;   Parent Loop BB5_165 Depth=1
                                        ; =>  This Loop Header: Depth=2
                                        ;       Child Loop BB5_199 Depth 3
                                        ;       Child Loop BB5_206 Depth 3
	;; [unrolled: 1-line block ×11, first 2 shown]
	v_cmp_lt_u64_e64 s4, s[8:9], 56
	v_cmp_gt_u64_e64 s5, s[8:9], 7
	s_and_b32 s4, s4, exec_lo
	s_cselect_b32 s11, s9, 0
	s_cselect_b32 s10, s8, 56
	s_and_b32 vcc_lo, exec_lo, s5
	s_cbranch_vccnz .LBB5_201
; %bb.197:                              ;   in Loop: Header=BB5_196 Depth=2
	s_waitcnt vmcnt(0)
	v_mov_b32_e32 v4, 0
	v_mov_b32_e32 v5, 0
	s_cmp_eq_u64 s[8:9], 0
	s_mov_b64 s[4:5], 0
	s_cbranch_scc1 .LBB5_200
; %bb.198:                              ;   in Loop: Header=BB5_196 Depth=2
	v_mov_b32_e32 v4, 0
	v_mov_b32_e32 v5, 0
	s_lshl_b64 s[12:13], s[10:11], 3
	s_mov_b64 s[14:15], s[6:7]
.LBB5_199:                              ;   Parent Loop BB5_165 Depth=1
                                        ;     Parent Loop BB5_196 Depth=2
                                        ; =>    This Inner Loop Header: Depth=3
	global_load_ubyte v6, v37, s[14:15]
	s_waitcnt vmcnt(0)
	v_and_b32_e32 v36, 0xffff, v6
	v_lshlrev_b64 v[6:7], s4, v[36:37]
	s_add_u32 s4, s4, 8
	s_addc_u32 s5, s5, 0
	s_add_u32 s14, s14, 1
	s_addc_u32 s15, s15, 0
	s_cmp_lg_u32 s12, s4
	v_or_b32_e32 v4, v6, v4
	v_or_b32_e32 v5, v7, v5
	s_cbranch_scc1 .LBB5_199
.LBB5_200:                              ;   in Loop: Header=BB5_196 Depth=2
	s_mov_b32 s16, 0
	s_mov_b64 s[4:5], s[6:7]
	s_cbranch_execz .LBB5_202
	s_branch .LBB5_203
.LBB5_201:                              ;   in Loop: Header=BB5_196 Depth=2
                                        ; implicit-def: $vgpr4_vgpr5
                                        ; implicit-def: $sgpr16
	s_mov_b64 s[4:5], s[6:7]
.LBB5_202:                              ;   in Loop: Header=BB5_196 Depth=2
	global_load_dwordx2 v[4:5], v37, s[6:7]
	s_add_i32 s16, s10, -8
	s_add_u32 s4, s6, 8
	s_addc_u32 s5, s7, 0
.LBB5_203:                              ;   in Loop: Header=BB5_196 Depth=2
	s_cmp_gt_u32 s16, 7
	s_cbranch_scc1 .LBB5_208
; %bb.204:                              ;   in Loop: Header=BB5_196 Depth=2
	v_mov_b32_e32 v6, 0
	v_mov_b32_e32 v7, 0
	s_cmp_eq_u32 s16, 0
	s_cbranch_scc1 .LBB5_207
; %bb.205:                              ;   in Loop: Header=BB5_196 Depth=2
	s_mov_b64 s[12:13], 0
	s_mov_b64 s[14:15], 0
.LBB5_206:                              ;   Parent Loop BB5_165 Depth=1
                                        ;     Parent Loop BB5_196 Depth=2
                                        ; =>    This Inner Loop Header: Depth=3
	s_add_u32 s18, s4, s14
	s_addc_u32 s19, s5, s15
	s_add_u32 s14, s14, 1
	global_load_ubyte v8, v37, s[18:19]
	s_addc_u32 s15, s15, 0
	s_waitcnt vmcnt(0)
	v_and_b32_e32 v36, 0xffff, v8
	v_lshlrev_b64 v[8:9], s12, v[36:37]
	s_add_u32 s12, s12, 8
	s_addc_u32 s13, s13, 0
	s_cmp_lg_u32 s16, s14
	v_or_b32_e32 v6, v8, v6
	v_or_b32_e32 v7, v9, v7
	s_cbranch_scc1 .LBB5_206
.LBB5_207:                              ;   in Loop: Header=BB5_196 Depth=2
	s_mov_b32 s17, 0
	s_cbranch_execz .LBB5_209
	s_branch .LBB5_210
.LBB5_208:                              ;   in Loop: Header=BB5_196 Depth=2
                                        ; implicit-def: $vgpr6_vgpr7
                                        ; implicit-def: $sgpr17
.LBB5_209:                              ;   in Loop: Header=BB5_196 Depth=2
	global_load_dwordx2 v[6:7], v37, s[4:5]
	s_add_i32 s17, s16, -8
	s_add_u32 s4, s4, 8
	s_addc_u32 s5, s5, 0
.LBB5_210:                              ;   in Loop: Header=BB5_196 Depth=2
	s_cmp_gt_u32 s17, 7
	s_cbranch_scc1 .LBB5_215
; %bb.211:                              ;   in Loop: Header=BB5_196 Depth=2
	v_mov_b32_e32 v8, 0
	v_mov_b32_e32 v9, 0
	s_cmp_eq_u32 s17, 0
	s_cbranch_scc1 .LBB5_214
; %bb.212:                              ;   in Loop: Header=BB5_196 Depth=2
	s_mov_b64 s[12:13], 0
	s_mov_b64 s[14:15], 0
.LBB5_213:                              ;   Parent Loop BB5_165 Depth=1
                                        ;     Parent Loop BB5_196 Depth=2
                                        ; =>    This Inner Loop Header: Depth=3
	s_add_u32 s18, s4, s14
	s_addc_u32 s19, s5, s15
	s_add_u32 s14, s14, 1
	global_load_ubyte v10, v37, s[18:19]
	s_addc_u32 s15, s15, 0
	s_waitcnt vmcnt(0)
	v_and_b32_e32 v36, 0xffff, v10
	v_lshlrev_b64 v[10:11], s12, v[36:37]
	s_add_u32 s12, s12, 8
	s_addc_u32 s13, s13, 0
	s_cmp_lg_u32 s17, s14
	v_or_b32_e32 v8, v10, v8
	v_or_b32_e32 v9, v11, v9
	s_cbranch_scc1 .LBB5_213
.LBB5_214:                              ;   in Loop: Header=BB5_196 Depth=2
	s_mov_b32 s16, 0
	s_cbranch_execz .LBB5_216
	s_branch .LBB5_217
.LBB5_215:                              ;   in Loop: Header=BB5_196 Depth=2
                                        ; implicit-def: $sgpr16
.LBB5_216:                              ;   in Loop: Header=BB5_196 Depth=2
	global_load_dwordx2 v[8:9], v37, s[4:5]
	s_add_i32 s16, s17, -8
	s_add_u32 s4, s4, 8
	s_addc_u32 s5, s5, 0
.LBB5_217:                              ;   in Loop: Header=BB5_196 Depth=2
	s_cmp_gt_u32 s16, 7
	s_cbranch_scc1 .LBB5_222
; %bb.218:                              ;   in Loop: Header=BB5_196 Depth=2
	v_mov_b32_e32 v10, 0
	v_mov_b32_e32 v11, 0
	s_cmp_eq_u32 s16, 0
	s_cbranch_scc1 .LBB5_221
; %bb.219:                              ;   in Loop: Header=BB5_196 Depth=2
	s_mov_b64 s[12:13], 0
	s_mov_b64 s[14:15], 0
.LBB5_220:                              ;   Parent Loop BB5_165 Depth=1
                                        ;     Parent Loop BB5_196 Depth=2
                                        ; =>    This Inner Loop Header: Depth=3
	s_add_u32 s18, s4, s14
	s_addc_u32 s19, s5, s15
	s_add_u32 s14, s14, 1
	global_load_ubyte v12, v37, s[18:19]
	s_addc_u32 s15, s15, 0
	s_waitcnt vmcnt(0)
	v_and_b32_e32 v36, 0xffff, v12
	v_lshlrev_b64 v[12:13], s12, v[36:37]
	s_add_u32 s12, s12, 8
	s_addc_u32 s13, s13, 0
	s_cmp_lg_u32 s16, s14
	v_or_b32_e32 v10, v12, v10
	v_or_b32_e32 v11, v13, v11
	s_cbranch_scc1 .LBB5_220
.LBB5_221:                              ;   in Loop: Header=BB5_196 Depth=2
	s_mov_b32 s17, 0
	s_cbranch_execz .LBB5_223
	s_branch .LBB5_224
.LBB5_222:                              ;   in Loop: Header=BB5_196 Depth=2
                                        ; implicit-def: $vgpr10_vgpr11
                                        ; implicit-def: $sgpr17
.LBB5_223:                              ;   in Loop: Header=BB5_196 Depth=2
	global_load_dwordx2 v[10:11], v37, s[4:5]
	s_add_i32 s17, s16, -8
	s_add_u32 s4, s4, 8
	s_addc_u32 s5, s5, 0
.LBB5_224:                              ;   in Loop: Header=BB5_196 Depth=2
	s_cmp_gt_u32 s17, 7
	s_cbranch_scc1 .LBB5_229
; %bb.225:                              ;   in Loop: Header=BB5_196 Depth=2
	v_mov_b32_e32 v12, 0
	v_mov_b32_e32 v13, 0
	s_cmp_eq_u32 s17, 0
	s_cbranch_scc1 .LBB5_228
; %bb.226:                              ;   in Loop: Header=BB5_196 Depth=2
	s_mov_b64 s[12:13], 0
	s_mov_b64 s[14:15], 0
.LBB5_227:                              ;   Parent Loop BB5_165 Depth=1
                                        ;     Parent Loop BB5_196 Depth=2
                                        ; =>    This Inner Loop Header: Depth=3
	s_add_u32 s18, s4, s14
	s_addc_u32 s19, s5, s15
	s_add_u32 s14, s14, 1
	global_load_ubyte v14, v37, s[18:19]
	s_addc_u32 s15, s15, 0
	s_waitcnt vmcnt(0)
	v_and_b32_e32 v36, 0xffff, v14
	v_lshlrev_b64 v[14:15], s12, v[36:37]
	s_add_u32 s12, s12, 8
	s_addc_u32 s13, s13, 0
	s_cmp_lg_u32 s17, s14
	v_or_b32_e32 v12, v14, v12
	v_or_b32_e32 v13, v15, v13
	s_cbranch_scc1 .LBB5_227
.LBB5_228:                              ;   in Loop: Header=BB5_196 Depth=2
	s_mov_b32 s16, 0
	s_cbranch_execz .LBB5_230
	s_branch .LBB5_231
.LBB5_229:                              ;   in Loop: Header=BB5_196 Depth=2
                                        ; implicit-def: $sgpr16
.LBB5_230:                              ;   in Loop: Header=BB5_196 Depth=2
	global_load_dwordx2 v[12:13], v37, s[4:5]
	s_add_i32 s16, s17, -8
	s_add_u32 s4, s4, 8
	s_addc_u32 s5, s5, 0
.LBB5_231:                              ;   in Loop: Header=BB5_196 Depth=2
	s_cmp_gt_u32 s16, 7
	s_cbranch_scc1 .LBB5_236
; %bb.232:                              ;   in Loop: Header=BB5_196 Depth=2
	v_mov_b32_e32 v14, 0
	v_mov_b32_e32 v15, 0
	s_cmp_eq_u32 s16, 0
	s_cbranch_scc1 .LBB5_235
; %bb.233:                              ;   in Loop: Header=BB5_196 Depth=2
	s_mov_b64 s[12:13], 0
	s_mov_b64 s[14:15], 0
.LBB5_234:                              ;   Parent Loop BB5_165 Depth=1
                                        ;     Parent Loop BB5_196 Depth=2
                                        ; =>    This Inner Loop Header: Depth=3
	s_add_u32 s18, s4, s14
	s_addc_u32 s19, s5, s15
	s_add_u32 s14, s14, 1
	global_load_ubyte v16, v37, s[18:19]
	s_addc_u32 s15, s15, 0
	s_waitcnt vmcnt(0)
	v_and_b32_e32 v36, 0xffff, v16
	v_lshlrev_b64 v[16:17], s12, v[36:37]
	s_add_u32 s12, s12, 8
	s_addc_u32 s13, s13, 0
	s_cmp_lg_u32 s16, s14
	v_or_b32_e32 v14, v16, v14
	v_or_b32_e32 v15, v17, v15
	s_cbranch_scc1 .LBB5_234
.LBB5_235:                              ;   in Loop: Header=BB5_196 Depth=2
	s_mov_b32 s17, 0
	s_cbranch_execz .LBB5_237
	s_branch .LBB5_238
.LBB5_236:                              ;   in Loop: Header=BB5_196 Depth=2
                                        ; implicit-def: $vgpr14_vgpr15
                                        ; implicit-def: $sgpr17
.LBB5_237:                              ;   in Loop: Header=BB5_196 Depth=2
	global_load_dwordx2 v[14:15], v37, s[4:5]
	s_add_i32 s17, s16, -8
	s_add_u32 s4, s4, 8
	s_addc_u32 s5, s5, 0
.LBB5_238:                              ;   in Loop: Header=BB5_196 Depth=2
	s_cmp_gt_u32 s17, 7
	s_cbranch_scc1 .LBB5_243
; %bb.239:                              ;   in Loop: Header=BB5_196 Depth=2
	v_mov_b32_e32 v16, 0
	v_mov_b32_e32 v17, 0
	s_cmp_eq_u32 s17, 0
	s_cbranch_scc1 .LBB5_242
; %bb.240:                              ;   in Loop: Header=BB5_196 Depth=2
	s_mov_b64 s[12:13], 0
	s_mov_b64 s[14:15], s[4:5]
.LBB5_241:                              ;   Parent Loop BB5_165 Depth=1
                                        ;     Parent Loop BB5_196 Depth=2
                                        ; =>    This Inner Loop Header: Depth=3
	global_load_ubyte v18, v37, s[14:15]
	s_add_i32 s17, s17, -1
	s_waitcnt vmcnt(0)
	v_and_b32_e32 v36, 0xffff, v18
	v_lshlrev_b64 v[18:19], s12, v[36:37]
	s_add_u32 s12, s12, 8
	s_addc_u32 s13, s13, 0
	s_add_u32 s14, s14, 1
	s_addc_u32 s15, s15, 0
	s_cmp_lg_u32 s17, 0
	v_or_b32_e32 v16, v18, v16
	v_or_b32_e32 v17, v19, v17
	s_cbranch_scc1 .LBB5_241
.LBB5_242:                              ;   in Loop: Header=BB5_196 Depth=2
	s_cbranch_execz .LBB5_244
	s_branch .LBB5_245
.LBB5_243:                              ;   in Loop: Header=BB5_196 Depth=2
.LBB5_244:                              ;   in Loop: Header=BB5_196 Depth=2
	global_load_dwordx2 v[16:17], v37, s[4:5]
.LBB5_245:                              ;   in Loop: Header=BB5_196 Depth=2
	v_readfirstlane_b32 s4, v64
	v_mov_b32_e32 v22, 0
	v_mov_b32_e32 v23, 0
	v_cmp_eq_u32_e64 s4, s4, v64
	s_and_saveexec_b32 s5, s4
	s_cbranch_execz .LBB5_251
; %bb.246:                              ;   in Loop: Header=BB5_196 Depth=2
	global_load_dwordx2 v[20:21], v37, s[28:29] offset:24 glc dlc
	s_waitcnt vmcnt(0)
	buffer_gl1_inv
	buffer_gl0_inv
	s_clause 0x1
	global_load_dwordx2 v[18:19], v37, s[28:29] offset:40
	global_load_dwordx2 v[22:23], v37, s[28:29]
	s_mov_b32 s12, exec_lo
	s_waitcnt vmcnt(1)
	v_and_b32_e32 v19, v19, v21
	v_and_b32_e32 v18, v18, v20
	v_mul_lo_u32 v19, v19, 24
	v_mul_hi_u32 v26, v18, 24
	v_mul_lo_u32 v18, v18, 24
	v_add_nc_u32_e32 v19, v26, v19
	s_waitcnt vmcnt(0)
	v_add_co_u32 v18, vcc_lo, v22, v18
	v_add_co_ci_u32_e32 v19, vcc_lo, v23, v19, vcc_lo
	global_load_dwordx2 v[18:19], v[18:19], off glc dlc
	s_waitcnt vmcnt(0)
	global_atomic_cmpswap_x2 v[22:23], v37, v[18:21], s[28:29] offset:24 glc
	s_waitcnt vmcnt(0)
	buffer_gl1_inv
	buffer_gl0_inv
	v_cmpx_ne_u64_e64 v[22:23], v[20:21]
	s_cbranch_execz .LBB5_250
; %bb.247:                              ;   in Loop: Header=BB5_196 Depth=2
	s_mov_b32 s13, 0
	.p2align	6
.LBB5_248:                              ;   Parent Loop BB5_165 Depth=1
                                        ;     Parent Loop BB5_196 Depth=2
                                        ; =>    This Inner Loop Header: Depth=3
	s_sleep 1
	s_clause 0x1
	global_load_dwordx2 v[18:19], v37, s[28:29] offset:40
	global_load_dwordx2 v[26:27], v37, s[28:29]
	v_mov_b32_e32 v20, v22
	v_mov_b32_e32 v21, v23
	s_waitcnt vmcnt(1)
	v_and_b32_e32 v18, v18, v20
	v_and_b32_e32 v19, v19, v21
	s_waitcnt vmcnt(0)
	v_mad_u64_u32 v[22:23], null, v18, 24, v[26:27]
	v_mov_b32_e32 v18, v23
	v_mad_u64_u32 v[18:19], null, v19, 24, v[18:19]
	v_mov_b32_e32 v23, v18
	global_load_dwordx2 v[18:19], v[22:23], off glc dlc
	s_waitcnt vmcnt(0)
	global_atomic_cmpswap_x2 v[22:23], v37, v[18:21], s[28:29] offset:24 glc
	s_waitcnt vmcnt(0)
	buffer_gl1_inv
	buffer_gl0_inv
	v_cmp_eq_u64_e32 vcc_lo, v[22:23], v[20:21]
	s_or_b32 s13, vcc_lo, s13
	s_andn2_b32 exec_lo, exec_lo, s13
	s_cbranch_execnz .LBB5_248
; %bb.249:                              ;   in Loop: Header=BB5_196 Depth=2
	s_or_b32 exec_lo, exec_lo, s13
.LBB5_250:                              ;   in Loop: Header=BB5_196 Depth=2
	s_or_b32 exec_lo, exec_lo, s12
.LBB5_251:                              ;   in Loop: Header=BB5_196 Depth=2
	s_or_b32 exec_lo, exec_lo, s5
	s_clause 0x1
	global_load_dwordx2 v[26:27], v37, s[28:29] offset:40
	global_load_dwordx4 v[18:21], v37, s[28:29]
	v_readfirstlane_b32 s12, v22
	v_readfirstlane_b32 s13, v23
	s_mov_b32 s5, exec_lo
	s_waitcnt vmcnt(1)
	v_readfirstlane_b32 s14, v26
	v_readfirstlane_b32 s15, v27
	s_and_b64 s[14:15], s[12:13], s[14:15]
	s_mul_i32 s16, s15, 24
	s_mul_hi_u32 s17, s14, 24
	s_mul_i32 s18, s14, 24
	s_add_i32 s17, s17, s16
	s_waitcnt vmcnt(0)
	v_add_co_u32 v22, vcc_lo, v18, s18
	v_add_co_ci_u32_e32 v23, vcc_lo, s17, v19, vcc_lo
	s_and_saveexec_b32 s16, s4
	s_cbranch_execz .LBB5_253
; %bb.252:                              ;   in Loop: Header=BB5_196 Depth=2
	v_mov_b32_e32 v36, s5
	global_store_dwordx4 v[22:23], v[36:39], off offset:8
.LBB5_253:                              ;   in Loop: Header=BB5_196 Depth=2
	s_or_b32 exec_lo, exec_lo, s16
	s_lshl_b64 s[14:15], s[14:15], 12
	v_cmp_gt_u64_e64 vcc_lo, s[8:9], 56
	v_or_b32_e32 v27, v2, v25
	v_add_co_u32 v20, s5, v20, s14
	v_add_co_ci_u32_e64 v21, s5, s15, v21, s5
	s_lshl_b32 s5, s10, 2
	v_or_b32_e32 v26, 0, v3
	v_cndmask_b32_e32 v2, v27, v2, vcc_lo
	s_add_i32 s5, s5, 28
	v_readfirstlane_b32 s14, v20
	s_and_b32 s5, s5, 0x1e0
	v_cndmask_b32_e32 v3, v26, v3, vcc_lo
	v_readfirstlane_b32 s15, v21
	v_and_or_b32 v2, 0xffffff1f, v2, s5
	global_store_dwordx4 v65, v[2:5], s[14:15]
	global_store_dwordx4 v65, v[6:9], s[14:15] offset:16
	global_store_dwordx4 v65, v[10:13], s[14:15] offset:32
	;; [unrolled: 1-line block ×3, first 2 shown]
	s_and_saveexec_b32 s5, s4
	s_cbranch_execz .LBB5_261
; %bb.254:                              ;   in Loop: Header=BB5_196 Depth=2
	s_clause 0x1
	global_load_dwordx2 v[10:11], v37, s[28:29] offset:32 glc dlc
	global_load_dwordx2 v[2:3], v37, s[28:29] offset:40
	v_mov_b32_e32 v8, s12
	v_mov_b32_e32 v9, s13
	s_waitcnt vmcnt(0)
	v_readfirstlane_b32 s14, v2
	v_readfirstlane_b32 s15, v3
	s_and_b64 s[14:15], s[14:15], s[12:13]
	s_mul_i32 s15, s15, 24
	s_mul_hi_u32 s16, s14, 24
	s_mul_i32 s14, s14, 24
	s_add_i32 s16, s16, s15
	v_add_co_u32 v6, vcc_lo, v18, s14
	v_add_co_ci_u32_e32 v7, vcc_lo, s16, v19, vcc_lo
	s_mov_b32 s14, exec_lo
	global_store_dwordx2 v[6:7], v[10:11], off
	s_waitcnt_vscnt null, 0x0
	global_atomic_cmpswap_x2 v[4:5], v37, v[8:11], s[28:29] offset:32 glc
	s_waitcnt vmcnt(0)
	v_cmpx_ne_u64_e64 v[4:5], v[10:11]
	s_cbranch_execz .LBB5_257
; %bb.255:                              ;   in Loop: Header=BB5_196 Depth=2
	s_mov_b32 s15, 0
.LBB5_256:                              ;   Parent Loop BB5_165 Depth=1
                                        ;     Parent Loop BB5_196 Depth=2
                                        ; =>    This Inner Loop Header: Depth=3
	v_mov_b32_e32 v2, s12
	v_mov_b32_e32 v3, s13
	s_sleep 1
	global_store_dwordx2 v[6:7], v[4:5], off
	s_waitcnt_vscnt null, 0x0
	global_atomic_cmpswap_x2 v[2:3], v37, v[2:5], s[28:29] offset:32 glc
	s_waitcnt vmcnt(0)
	v_cmp_eq_u64_e32 vcc_lo, v[2:3], v[4:5]
	v_mov_b32_e32 v5, v3
	v_mov_b32_e32 v4, v2
	s_or_b32 s15, vcc_lo, s15
	s_andn2_b32 exec_lo, exec_lo, s15
	s_cbranch_execnz .LBB5_256
.LBB5_257:                              ;   in Loop: Header=BB5_196 Depth=2
	s_or_b32 exec_lo, exec_lo, s14
	global_load_dwordx2 v[2:3], v37, s[28:29] offset:16
	s_mov_b32 s15, exec_lo
	s_mov_b32 s14, exec_lo
	v_mbcnt_lo_u32_b32 v4, s15, 0
	v_cmpx_eq_u32_e32 0, v4
	s_cbranch_execz .LBB5_259
; %bb.258:                              ;   in Loop: Header=BB5_196 Depth=2
	s_bcnt1_i32_b32 s15, s15
	v_mov_b32_e32 v36, s15
	s_waitcnt vmcnt(0)
	global_atomic_add_x2 v[2:3], v[36:37], off offset:8
.LBB5_259:                              ;   in Loop: Header=BB5_196 Depth=2
	s_or_b32 exec_lo, exec_lo, s14
	s_waitcnt vmcnt(0)
	global_load_dwordx2 v[4:5], v[2:3], off offset:16
	s_waitcnt vmcnt(0)
	v_cmp_eq_u64_e32 vcc_lo, 0, v[4:5]
	s_cbranch_vccnz .LBB5_261
; %bb.260:                              ;   in Loop: Header=BB5_196 Depth=2
	global_load_dword v36, v[2:3], off offset:24
	s_waitcnt vmcnt(0)
	v_and_b32_e32 v2, 0x7fffff, v36
	s_waitcnt_vscnt null, 0x0
	global_store_dwordx2 v[4:5], v[36:37], off
	v_readfirstlane_b32 m0, v2
	s_sendmsg sendmsg(MSG_INTERRUPT)
.LBB5_261:                              ;   in Loop: Header=BB5_196 Depth=2
	s_or_b32 exec_lo, exec_lo, s5
	v_add_co_u32 v2, vcc_lo, v20, v65
	v_add_co_ci_u32_e32 v3, vcc_lo, 0, v21, vcc_lo
	s_branch .LBB5_265
	.p2align	6
.LBB5_262:                              ;   in Loop: Header=BB5_265 Depth=3
	s_or_b32 exec_lo, exec_lo, s5
	v_readfirstlane_b32 s5, v4
	s_cmp_eq_u32 s5, 0
	s_cbranch_scc1 .LBB5_264
; %bb.263:                              ;   in Loop: Header=BB5_265 Depth=3
	s_sleep 1
	s_cbranch_execnz .LBB5_265
	s_branch .LBB5_267
	.p2align	6
.LBB5_264:                              ;   in Loop: Header=BB5_196 Depth=2
	s_branch .LBB5_267
.LBB5_265:                              ;   Parent Loop BB5_165 Depth=1
                                        ;     Parent Loop BB5_196 Depth=2
                                        ; =>    This Inner Loop Header: Depth=3
	v_mov_b32_e32 v4, 1
	s_and_saveexec_b32 s5, s4
	s_cbranch_execz .LBB5_262
; %bb.266:                              ;   in Loop: Header=BB5_265 Depth=3
	global_load_dword v4, v[22:23], off offset:20 glc dlc
	s_waitcnt vmcnt(0)
	buffer_gl1_inv
	buffer_gl0_inv
	v_and_b32_e32 v4, 1, v4
	s_branch .LBB5_262
.LBB5_267:                              ;   in Loop: Header=BB5_196 Depth=2
	global_load_dwordx4 v[2:5], v[2:3], off
	s_and_saveexec_b32 s5, s4
	s_cbranch_execz .LBB5_195
; %bb.268:                              ;   in Loop: Header=BB5_196 Depth=2
	s_clause 0x2
	global_load_dwordx2 v[6:7], v37, s[28:29] offset:40
	global_load_dwordx2 v[10:11], v37, s[28:29] offset:24 glc dlc
	global_load_dwordx2 v[8:9], v37, s[28:29]
	s_waitcnt vmcnt(2)
	v_add_co_u32 v12, vcc_lo, v6, 1
	v_add_co_ci_u32_e32 v13, vcc_lo, 0, v7, vcc_lo
	v_add_co_u32 v4, vcc_lo, v12, s12
	v_add_co_ci_u32_e32 v5, vcc_lo, s13, v13, vcc_lo
	v_cmp_eq_u64_e32 vcc_lo, 0, v[4:5]
	v_cndmask_b32_e32 v5, v5, v13, vcc_lo
	v_cndmask_b32_e32 v4, v4, v12, vcc_lo
	v_and_b32_e32 v7, v5, v7
	v_and_b32_e32 v6, v4, v6
	v_mul_lo_u32 v7, v7, 24
	v_mul_hi_u32 v12, v6, 24
	v_mul_lo_u32 v6, v6, 24
	v_add_nc_u32_e32 v7, v12, v7
	s_waitcnt vmcnt(0)
	v_add_co_u32 v8, vcc_lo, v8, v6
	v_mov_b32_e32 v6, v10
	v_add_co_ci_u32_e32 v9, vcc_lo, v9, v7, vcc_lo
	v_mov_b32_e32 v7, v11
	global_store_dwordx2 v[8:9], v[10:11], off
	s_waitcnt_vscnt null, 0x0
	global_atomic_cmpswap_x2 v[6:7], v37, v[4:7], s[28:29] offset:24 glc
	s_waitcnt vmcnt(0)
	v_cmp_ne_u64_e32 vcc_lo, v[6:7], v[10:11]
	s_and_b32 exec_lo, exec_lo, vcc_lo
	s_cbranch_execz .LBB5_195
; %bb.269:                              ;   in Loop: Header=BB5_196 Depth=2
	s_mov_b32 s4, 0
.LBB5_270:                              ;   Parent Loop BB5_165 Depth=1
                                        ;     Parent Loop BB5_196 Depth=2
                                        ; =>    This Inner Loop Header: Depth=3
	s_sleep 1
	global_store_dwordx2 v[8:9], v[6:7], off
	s_waitcnt_vscnt null, 0x0
	global_atomic_cmpswap_x2 v[10:11], v37, v[4:7], s[28:29] offset:24 glc
	s_waitcnt vmcnt(0)
	v_cmp_eq_u64_e32 vcc_lo, v[10:11], v[6:7]
	v_mov_b32_e32 v6, v10
	v_mov_b32_e32 v7, v11
	s_or_b32 s4, vcc_lo, s4
	s_andn2_b32 exec_lo, exec_lo, s4
	s_cbranch_execnz .LBB5_270
	s_branch .LBB5_195
.LBB5_271:                              ;   in Loop: Header=BB5_165 Depth=1
	s_branch .LBB5_300
.LBB5_272:                              ;   in Loop: Header=BB5_165 Depth=1
                                        ; implicit-def: $vgpr2_vgpr3
	s_cbranch_execz .LBB5_300
; %bb.273:                              ;   in Loop: Header=BB5_165 Depth=1
	v_readfirstlane_b32 s4, v64
	s_waitcnt vmcnt(0)
	v_mov_b32_e32 v2, 0
	v_mov_b32_e32 v3, 0
	v_cmp_eq_u32_e64 s4, s4, v64
	s_and_saveexec_b32 s5, s4
	s_cbranch_execz .LBB5_279
; %bb.274:                              ;   in Loop: Header=BB5_165 Depth=1
	global_load_dwordx2 v[4:5], v37, s[28:29] offset:24 glc dlc
	s_waitcnt vmcnt(0)
	buffer_gl1_inv
	buffer_gl0_inv
	s_clause 0x1
	global_load_dwordx2 v[2:3], v37, s[28:29] offset:40
	global_load_dwordx2 v[6:7], v37, s[28:29]
	s_mov_b32 s6, exec_lo
	s_waitcnt vmcnt(1)
	v_and_b32_e32 v3, v3, v5
	v_and_b32_e32 v2, v2, v4
	v_mul_lo_u32 v3, v3, 24
	v_mul_hi_u32 v8, v2, 24
	v_mul_lo_u32 v2, v2, 24
	v_add_nc_u32_e32 v3, v8, v3
	s_waitcnt vmcnt(0)
	v_add_co_u32 v2, vcc_lo, v6, v2
	v_add_co_ci_u32_e32 v3, vcc_lo, v7, v3, vcc_lo
	global_load_dwordx2 v[2:3], v[2:3], off glc dlc
	s_waitcnt vmcnt(0)
	global_atomic_cmpswap_x2 v[2:3], v37, v[2:5], s[28:29] offset:24 glc
	s_waitcnt vmcnt(0)
	buffer_gl1_inv
	buffer_gl0_inv
	v_cmpx_ne_u64_e64 v[2:3], v[4:5]
	s_cbranch_execz .LBB5_278
; %bb.275:                              ;   in Loop: Header=BB5_165 Depth=1
	s_mov_b32 s7, 0
	.p2align	6
.LBB5_276:                              ;   Parent Loop BB5_165 Depth=1
                                        ; =>  This Inner Loop Header: Depth=2
	s_sleep 1
	s_clause 0x1
	global_load_dwordx2 v[6:7], v37, s[28:29] offset:40
	global_load_dwordx2 v[8:9], v37, s[28:29]
	v_mov_b32_e32 v5, v3
	v_mov_b32_e32 v4, v2
	s_waitcnt vmcnt(1)
	v_and_b32_e32 v2, v6, v4
	v_and_b32_e32 v6, v7, v5
	s_waitcnt vmcnt(0)
	v_mad_u64_u32 v[2:3], null, v2, 24, v[8:9]
	v_mad_u64_u32 v[6:7], null, v6, 24, v[3:4]
	v_mov_b32_e32 v3, v6
	global_load_dwordx2 v[2:3], v[2:3], off glc dlc
	s_waitcnt vmcnt(0)
	global_atomic_cmpswap_x2 v[2:3], v37, v[2:5], s[28:29] offset:24 glc
	s_waitcnt vmcnt(0)
	buffer_gl1_inv
	buffer_gl0_inv
	v_cmp_eq_u64_e32 vcc_lo, v[2:3], v[4:5]
	s_or_b32 s7, vcc_lo, s7
	s_andn2_b32 exec_lo, exec_lo, s7
	s_cbranch_execnz .LBB5_276
; %bb.277:                              ;   in Loop: Header=BB5_165 Depth=1
	s_or_b32 exec_lo, exec_lo, s7
.LBB5_278:                              ;   in Loop: Header=BB5_165 Depth=1
	s_or_b32 exec_lo, exec_lo, s6
.LBB5_279:                              ;   in Loop: Header=BB5_165 Depth=1
	s_or_b32 exec_lo, exec_lo, s5
	s_clause 0x1
	global_load_dwordx2 v[8:9], v37, s[28:29] offset:40
	global_load_dwordx4 v[4:7], v37, s[28:29]
	v_readfirstlane_b32 s6, v2
	v_readfirstlane_b32 s7, v3
	s_mov_b32 s5, exec_lo
	s_waitcnt vmcnt(1)
	v_readfirstlane_b32 s8, v8
	v_readfirstlane_b32 s9, v9
	s_and_b64 s[8:9], s[6:7], s[8:9]
	s_mul_i32 s10, s9, 24
	s_mul_hi_u32 s11, s8, 24
	s_mul_i32 s12, s8, 24
	s_add_i32 s11, s11, s10
	s_waitcnt vmcnt(0)
	v_add_co_u32 v8, vcc_lo, v4, s12
	v_add_co_ci_u32_e32 v9, vcc_lo, s11, v5, vcc_lo
	s_and_saveexec_b32 s10, s4
	s_cbranch_execz .LBB5_281
; %bb.280:                              ;   in Loop: Header=BB5_165 Depth=1
	v_mov_b32_e32 v36, s5
	global_store_dwordx4 v[8:9], v[36:39], off offset:8
.LBB5_281:                              ;   in Loop: Header=BB5_165 Depth=1
	s_or_b32 exec_lo, exec_lo, s10
	s_lshl_b64 s[8:9], s[8:9], 12
	v_and_or_b32 v0, 0xffffff1f, v0, 32
	v_add_co_u32 v6, vcc_lo, v6, s8
	v_add_co_ci_u32_e32 v7, vcc_lo, s9, v7, vcc_lo
	v_mov_b32_e32 v2, v37
	v_mov_b32_e32 v3, v37
	v_readfirstlane_b32 s8, v6
	v_readfirstlane_b32 s9, v7
	v_mov_b32_e32 v10, s24
	v_mov_b32_e32 v11, s25
	;; [unrolled: 1-line block ×4, first 2 shown]
	global_store_dwordx4 v65, v[0:3], s[8:9]
	global_store_dwordx4 v65, v[10:13], s[8:9] offset:16
	global_store_dwordx4 v65, v[10:13], s[8:9] offset:32
	;; [unrolled: 1-line block ×3, first 2 shown]
	s_and_saveexec_b32 s5, s4
	s_cbranch_execz .LBB5_289
; %bb.282:                              ;   in Loop: Header=BB5_165 Depth=1
	s_clause 0x1
	global_load_dwordx2 v[12:13], v37, s[28:29] offset:32 glc dlc
	global_load_dwordx2 v[0:1], v37, s[28:29] offset:40
	v_mov_b32_e32 v10, s6
	v_mov_b32_e32 v11, s7
	s_waitcnt vmcnt(0)
	v_readfirstlane_b32 s8, v0
	v_readfirstlane_b32 s9, v1
	s_and_b64 s[8:9], s[8:9], s[6:7]
	s_mul_i32 s9, s9, 24
	s_mul_hi_u32 s10, s8, 24
	s_mul_i32 s8, s8, 24
	s_add_i32 s10, s10, s9
	v_add_co_u32 v4, vcc_lo, v4, s8
	v_add_co_ci_u32_e32 v5, vcc_lo, s10, v5, vcc_lo
	s_mov_b32 s8, exec_lo
	global_store_dwordx2 v[4:5], v[12:13], off
	s_waitcnt_vscnt null, 0x0
	global_atomic_cmpswap_x2 v[2:3], v37, v[10:13], s[28:29] offset:32 glc
	s_waitcnt vmcnt(0)
	v_cmpx_ne_u64_e64 v[2:3], v[12:13]
	s_cbranch_execz .LBB5_285
; %bb.283:                              ;   in Loop: Header=BB5_165 Depth=1
	s_mov_b32 s9, 0
.LBB5_284:                              ;   Parent Loop BB5_165 Depth=1
                                        ; =>  This Inner Loop Header: Depth=2
	v_mov_b32_e32 v0, s6
	v_mov_b32_e32 v1, s7
	s_sleep 1
	global_store_dwordx2 v[4:5], v[2:3], off
	s_waitcnt_vscnt null, 0x0
	global_atomic_cmpswap_x2 v[0:1], v37, v[0:3], s[28:29] offset:32 glc
	s_waitcnt vmcnt(0)
	v_cmp_eq_u64_e32 vcc_lo, v[0:1], v[2:3]
	v_mov_b32_e32 v3, v1
	v_mov_b32_e32 v2, v0
	s_or_b32 s9, vcc_lo, s9
	s_andn2_b32 exec_lo, exec_lo, s9
	s_cbranch_execnz .LBB5_284
.LBB5_285:                              ;   in Loop: Header=BB5_165 Depth=1
	s_or_b32 exec_lo, exec_lo, s8
	global_load_dwordx2 v[0:1], v37, s[28:29] offset:16
	s_mov_b32 s9, exec_lo
	s_mov_b32 s8, exec_lo
	v_mbcnt_lo_u32_b32 v2, s9, 0
	v_cmpx_eq_u32_e32 0, v2
	s_cbranch_execz .LBB5_287
; %bb.286:                              ;   in Loop: Header=BB5_165 Depth=1
	s_bcnt1_i32_b32 s9, s9
	v_mov_b32_e32 v36, s9
	s_waitcnt vmcnt(0)
	global_atomic_add_x2 v[0:1], v[36:37], off offset:8
.LBB5_287:                              ;   in Loop: Header=BB5_165 Depth=1
	s_or_b32 exec_lo, exec_lo, s8
	s_waitcnt vmcnt(0)
	global_load_dwordx2 v[2:3], v[0:1], off offset:16
	s_waitcnt vmcnt(0)
	v_cmp_eq_u64_e32 vcc_lo, 0, v[2:3]
	s_cbranch_vccnz .LBB5_289
; %bb.288:                              ;   in Loop: Header=BB5_165 Depth=1
	global_load_dword v36, v[0:1], off offset:24
	s_waitcnt vmcnt(0)
	v_and_b32_e32 v0, 0x7fffff, v36
	s_waitcnt_vscnt null, 0x0
	global_store_dwordx2 v[2:3], v[36:37], off
	v_readfirstlane_b32 m0, v0
	s_sendmsg sendmsg(MSG_INTERRUPT)
.LBB5_289:                              ;   in Loop: Header=BB5_165 Depth=1
	s_or_b32 exec_lo, exec_lo, s5
	v_add_co_u32 v0, vcc_lo, v6, v65
	v_add_co_ci_u32_e32 v1, vcc_lo, 0, v7, vcc_lo
	s_branch .LBB5_293
	.p2align	6
.LBB5_290:                              ;   in Loop: Header=BB5_293 Depth=2
	s_or_b32 exec_lo, exec_lo, s5
	v_readfirstlane_b32 s5, v2
	s_cmp_eq_u32 s5, 0
	s_cbranch_scc1 .LBB5_292
; %bb.291:                              ;   in Loop: Header=BB5_293 Depth=2
	s_sleep 1
	s_cbranch_execnz .LBB5_293
	s_branch .LBB5_295
	.p2align	6
.LBB5_292:                              ;   in Loop: Header=BB5_165 Depth=1
	s_branch .LBB5_295
.LBB5_293:                              ;   Parent Loop BB5_165 Depth=1
                                        ; =>  This Inner Loop Header: Depth=2
	v_mov_b32_e32 v2, 1
	s_and_saveexec_b32 s5, s4
	s_cbranch_execz .LBB5_290
; %bb.294:                              ;   in Loop: Header=BB5_293 Depth=2
	global_load_dword v2, v[8:9], off offset:20 glc dlc
	s_waitcnt vmcnt(0)
	buffer_gl1_inv
	buffer_gl0_inv
	v_and_b32_e32 v2, 1, v2
	s_branch .LBB5_290
.LBB5_295:                              ;   in Loop: Header=BB5_165 Depth=1
	global_load_dwordx2 v[2:3], v[0:1], off
	s_and_saveexec_b32 s5, s4
	s_cbranch_execz .LBB5_299
; %bb.296:                              ;   in Loop: Header=BB5_165 Depth=1
	s_clause 0x2
	global_load_dwordx2 v[0:1], v37, s[28:29] offset:40
	global_load_dwordx2 v[8:9], v37, s[28:29] offset:24 glc dlc
	global_load_dwordx2 v[6:7], v37, s[28:29]
	s_waitcnt vmcnt(2)
	v_add_co_u32 v10, vcc_lo, v0, 1
	v_add_co_ci_u32_e32 v11, vcc_lo, 0, v1, vcc_lo
	v_add_co_u32 v4, vcc_lo, v10, s6
	v_add_co_ci_u32_e32 v5, vcc_lo, s7, v11, vcc_lo
	v_cmp_eq_u64_e32 vcc_lo, 0, v[4:5]
	v_cndmask_b32_e32 v5, v5, v11, vcc_lo
	v_cndmask_b32_e32 v4, v4, v10, vcc_lo
	v_and_b32_e32 v1, v5, v1
	v_and_b32_e32 v0, v4, v0
	v_mul_lo_u32 v1, v1, 24
	v_mul_hi_u32 v10, v0, 24
	v_mul_lo_u32 v0, v0, 24
	v_add_nc_u32_e32 v1, v10, v1
	s_waitcnt vmcnt(0)
	v_add_co_u32 v0, vcc_lo, v6, v0
	v_mov_b32_e32 v6, v8
	v_add_co_ci_u32_e32 v1, vcc_lo, v7, v1, vcc_lo
	v_mov_b32_e32 v7, v9
	global_store_dwordx2 v[0:1], v[8:9], off
	s_waitcnt_vscnt null, 0x0
	global_atomic_cmpswap_x2 v[6:7], v37, v[4:7], s[28:29] offset:24 glc
	s_waitcnt vmcnt(0)
	v_cmp_ne_u64_e32 vcc_lo, v[6:7], v[8:9]
	s_and_b32 exec_lo, exec_lo, vcc_lo
	s_cbranch_execz .LBB5_299
; %bb.297:                              ;   in Loop: Header=BB5_165 Depth=1
	s_mov_b32 s4, 0
.LBB5_298:                              ;   Parent Loop BB5_165 Depth=1
                                        ; =>  This Inner Loop Header: Depth=2
	s_sleep 1
	global_store_dwordx2 v[0:1], v[6:7], off
	s_waitcnt_vscnt null, 0x0
	global_atomic_cmpswap_x2 v[8:9], v37, v[4:7], s[28:29] offset:24 glc
	s_waitcnt vmcnt(0)
	v_cmp_eq_u64_e32 vcc_lo, v[8:9], v[6:7]
	v_mov_b32_e32 v6, v8
	v_mov_b32_e32 v7, v9
	s_or_b32 s4, vcc_lo, s4
	s_andn2_b32 exec_lo, exec_lo, s4
	s_cbranch_execnz .LBB5_298
.LBB5_299:                              ;   in Loop: Header=BB5_165 Depth=1
	s_or_b32 exec_lo, exec_lo, s5
.LBB5_300:                              ;   in Loop: Header=BB5_165 Depth=1
	v_readfirstlane_b32 s4, v64
	s_waitcnt vmcnt(0)
	v_mov_b32_e32 v0, 0
	v_mov_b32_e32 v1, 0
	v_cmp_eq_u32_e64 s4, s4, v64
	s_and_saveexec_b32 s5, s4
	s_cbranch_execz .LBB5_306
; %bb.301:                              ;   in Loop: Header=BB5_165 Depth=1
	global_load_dwordx2 v[6:7], v37, s[28:29] offset:24 glc dlc
	s_waitcnt vmcnt(0)
	buffer_gl1_inv
	buffer_gl0_inv
	s_clause 0x1
	global_load_dwordx2 v[0:1], v37, s[28:29] offset:40
	global_load_dwordx2 v[4:5], v37, s[28:29]
	s_mov_b32 s6, exec_lo
	s_waitcnt vmcnt(1)
	v_and_b32_e32 v1, v1, v7
	v_and_b32_e32 v0, v0, v6
	v_mul_lo_u32 v1, v1, 24
	v_mul_hi_u32 v8, v0, 24
	v_mul_lo_u32 v0, v0, 24
	v_add_nc_u32_e32 v1, v8, v1
	s_waitcnt vmcnt(0)
	v_add_co_u32 v0, vcc_lo, v4, v0
	v_add_co_ci_u32_e32 v1, vcc_lo, v5, v1, vcc_lo
	global_load_dwordx2 v[4:5], v[0:1], off glc dlc
	s_waitcnt vmcnt(0)
	global_atomic_cmpswap_x2 v[0:1], v37, v[4:7], s[28:29] offset:24 glc
	s_waitcnt vmcnt(0)
	buffer_gl1_inv
	buffer_gl0_inv
	v_cmpx_ne_u64_e64 v[0:1], v[6:7]
	s_cbranch_execz .LBB5_305
; %bb.302:                              ;   in Loop: Header=BB5_165 Depth=1
	s_mov_b32 s7, 0
	.p2align	6
.LBB5_303:                              ;   Parent Loop BB5_165 Depth=1
                                        ; =>  This Inner Loop Header: Depth=2
	s_sleep 1
	s_clause 0x1
	global_load_dwordx2 v[4:5], v37, s[28:29] offset:40
	global_load_dwordx2 v[8:9], v37, s[28:29]
	v_mov_b32_e32 v7, v1
	v_mov_b32_e32 v6, v0
	s_waitcnt vmcnt(1)
	v_and_b32_e32 v0, v4, v6
	v_and_b32_e32 v4, v5, v7
	s_waitcnt vmcnt(0)
	v_mad_u64_u32 v[0:1], null, v0, 24, v[8:9]
	v_mad_u64_u32 v[4:5], null, v4, 24, v[1:2]
	v_mov_b32_e32 v1, v4
	global_load_dwordx2 v[4:5], v[0:1], off glc dlc
	s_waitcnt vmcnt(0)
	global_atomic_cmpswap_x2 v[0:1], v37, v[4:7], s[28:29] offset:24 glc
	s_waitcnt vmcnt(0)
	buffer_gl1_inv
	buffer_gl0_inv
	v_cmp_eq_u64_e32 vcc_lo, v[0:1], v[6:7]
	s_or_b32 s7, vcc_lo, s7
	s_andn2_b32 exec_lo, exec_lo, s7
	s_cbranch_execnz .LBB5_303
; %bb.304:                              ;   in Loop: Header=BB5_165 Depth=1
	s_or_b32 exec_lo, exec_lo, s7
.LBB5_305:                              ;   in Loop: Header=BB5_165 Depth=1
	s_or_b32 exec_lo, exec_lo, s6
.LBB5_306:                              ;   in Loop: Header=BB5_165 Depth=1
	s_or_b32 exec_lo, exec_lo, s5
	s_clause 0x1
	global_load_dwordx2 v[4:5], v37, s[28:29] offset:40
	global_load_dwordx4 v[6:9], v37, s[28:29]
	v_readfirstlane_b32 s6, v0
	v_readfirstlane_b32 s7, v1
	s_mov_b32 s5, exec_lo
	s_waitcnt vmcnt(1)
	v_readfirstlane_b32 s8, v4
	v_readfirstlane_b32 s9, v5
	s_and_b64 s[8:9], s[6:7], s[8:9]
	s_mul_i32 s10, s9, 24
	s_mul_hi_u32 s11, s8, 24
	s_mul_i32 s12, s8, 24
	s_add_i32 s11, s11, s10
	s_waitcnt vmcnt(0)
	v_add_co_u32 v10, vcc_lo, v6, s12
	v_add_co_ci_u32_e32 v11, vcc_lo, s11, v7, vcc_lo
	s_and_saveexec_b32 s10, s4
	s_cbranch_execz .LBB5_308
; %bb.307:                              ;   in Loop: Header=BB5_165 Depth=1
	v_mov_b32_e32 v36, s5
	global_store_dwordx4 v[10:11], v[36:39], off offset:8
.LBB5_308:                              ;   in Loop: Header=BB5_165 Depth=1
	s_or_b32 exec_lo, exec_lo, s10
	s_lshl_b64 s[8:9], s[8:9], 12
	v_and_or_b32 v2, 0xffffff1d, v2, 34
	v_add_co_u32 v0, vcc_lo, v8, s8
	v_add_co_ci_u32_e32 v1, vcc_lo, s9, v9, vcc_lo
	s_waitcnt lgkmcnt(0)
	v_ashrrev_i32_e32 v5, 31, v24
	v_mov_b32_e32 v4, v24
	v_readfirstlane_b32 s8, v0
	v_readfirstlane_b32 s9, v1
	v_mov_b32_e32 v12, s24
	v_mov_b32_e32 v13, s25
	;; [unrolled: 1-line block ×4, first 2 shown]
	global_store_dwordx4 v65, v[2:5], s[8:9]
	global_store_dwordx4 v65, v[12:15], s[8:9] offset:16
	global_store_dwordx4 v65, v[12:15], s[8:9] offset:32
	;; [unrolled: 1-line block ×3, first 2 shown]
	s_and_saveexec_b32 s5, s4
	s_cbranch_execz .LBB5_316
; %bb.309:                              ;   in Loop: Header=BB5_165 Depth=1
	s_clause 0x1
	global_load_dwordx2 v[8:9], v37, s[28:29] offset:32 glc dlc
	global_load_dwordx2 v[0:1], v37, s[28:29] offset:40
	s_waitcnt vmcnt(0)
	v_readfirstlane_b32 s8, v0
	v_readfirstlane_b32 s9, v1
	s_and_b64 s[8:9], s[8:9], s[6:7]
	s_mul_i32 s9, s9, 24
	s_mul_hi_u32 s10, s8, 24
	s_mul_i32 s8, s8, 24
	s_add_i32 s10, s10, s9
	v_add_co_u32 v4, vcc_lo, v6, s8
	v_add_co_ci_u32_e32 v5, vcc_lo, s10, v7, vcc_lo
	v_mov_b32_e32 v6, s6
	v_mov_b32_e32 v7, s7
	s_mov_b32 s8, exec_lo
	global_store_dwordx2 v[4:5], v[8:9], off
	s_waitcnt_vscnt null, 0x0
	global_atomic_cmpswap_x2 v[2:3], v37, v[6:9], s[28:29] offset:32 glc
	s_waitcnt vmcnt(0)
	v_cmpx_ne_u64_e64 v[2:3], v[8:9]
	s_cbranch_execz .LBB5_312
; %bb.310:                              ;   in Loop: Header=BB5_165 Depth=1
	s_mov_b32 s9, 0
.LBB5_311:                              ;   Parent Loop BB5_165 Depth=1
                                        ; =>  This Inner Loop Header: Depth=2
	v_mov_b32_e32 v0, s6
	v_mov_b32_e32 v1, s7
	s_sleep 1
	global_store_dwordx2 v[4:5], v[2:3], off
	s_waitcnt_vscnt null, 0x0
	global_atomic_cmpswap_x2 v[0:1], v37, v[0:3], s[28:29] offset:32 glc
	s_waitcnt vmcnt(0)
	v_cmp_eq_u64_e32 vcc_lo, v[0:1], v[2:3]
	v_mov_b32_e32 v3, v1
	v_mov_b32_e32 v2, v0
	s_or_b32 s9, vcc_lo, s9
	s_andn2_b32 exec_lo, exec_lo, s9
	s_cbranch_execnz .LBB5_311
.LBB5_312:                              ;   in Loop: Header=BB5_165 Depth=1
	s_or_b32 exec_lo, exec_lo, s8
	global_load_dwordx2 v[0:1], v37, s[28:29] offset:16
	s_mov_b32 s9, exec_lo
	s_mov_b32 s8, exec_lo
	v_mbcnt_lo_u32_b32 v2, s9, 0
	v_cmpx_eq_u32_e32 0, v2
	s_cbranch_execz .LBB5_314
; %bb.313:                              ;   in Loop: Header=BB5_165 Depth=1
	s_bcnt1_i32_b32 s9, s9
	v_mov_b32_e32 v36, s9
	s_waitcnt vmcnt(0)
	global_atomic_add_x2 v[0:1], v[36:37], off offset:8
.LBB5_314:                              ;   in Loop: Header=BB5_165 Depth=1
	s_or_b32 exec_lo, exec_lo, s8
	s_waitcnt vmcnt(0)
	global_load_dwordx2 v[2:3], v[0:1], off offset:16
	s_waitcnt vmcnt(0)
	v_cmp_eq_u64_e32 vcc_lo, 0, v[2:3]
	s_cbranch_vccnz .LBB5_316
; %bb.315:                              ;   in Loop: Header=BB5_165 Depth=1
	global_load_dword v36, v[0:1], off offset:24
	s_waitcnt vmcnt(0)
	v_and_b32_e32 v0, 0x7fffff, v36
	s_waitcnt_vscnt null, 0x0
	global_store_dwordx2 v[2:3], v[36:37], off
	v_readfirstlane_b32 m0, v0
	s_sendmsg sendmsg(MSG_INTERRUPT)
.LBB5_316:                              ;   in Loop: Header=BB5_165 Depth=1
	s_or_b32 exec_lo, exec_lo, s5
	s_branch .LBB5_320
	.p2align	6
.LBB5_317:                              ;   in Loop: Header=BB5_320 Depth=2
	s_or_b32 exec_lo, exec_lo, s5
	v_readfirstlane_b32 s5, v0
	s_cmp_eq_u32 s5, 0
	s_cbranch_scc1 .LBB5_319
; %bb.318:                              ;   in Loop: Header=BB5_320 Depth=2
	s_sleep 1
	s_cbranch_execnz .LBB5_320
	s_branch .LBB5_322
	.p2align	6
.LBB5_319:                              ;   in Loop: Header=BB5_165 Depth=1
	s_branch .LBB5_322
.LBB5_320:                              ;   Parent Loop BB5_165 Depth=1
                                        ; =>  This Inner Loop Header: Depth=2
	v_mov_b32_e32 v0, 1
	s_and_saveexec_b32 s5, s4
	s_cbranch_execz .LBB5_317
; %bb.321:                              ;   in Loop: Header=BB5_320 Depth=2
	global_load_dword v0, v[10:11], off offset:20 glc dlc
	s_waitcnt vmcnt(0)
	buffer_gl1_inv
	buffer_gl0_inv
	v_and_b32_e32 v0, 1, v0
	s_branch .LBB5_317
.LBB5_322:                              ;   in Loop: Header=BB5_165 Depth=1
	s_and_saveexec_b32 s5, s4
	s_cbranch_execz .LBB5_164
; %bb.323:                              ;   in Loop: Header=BB5_165 Depth=1
	s_clause 0x2
	global_load_dwordx2 v[2:3], v37, s[28:29] offset:40
	global_load_dwordx2 v[6:7], v37, s[28:29] offset:24 glc dlc
	global_load_dwordx2 v[4:5], v37, s[28:29]
	s_waitcnt vmcnt(2)
	v_add_co_u32 v8, vcc_lo, v2, 1
	v_add_co_ci_u32_e32 v9, vcc_lo, 0, v3, vcc_lo
	v_add_co_u32 v0, vcc_lo, v8, s6
	v_add_co_ci_u32_e32 v1, vcc_lo, s7, v9, vcc_lo
	v_cmp_eq_u64_e32 vcc_lo, 0, v[0:1]
	v_cndmask_b32_e32 v1, v1, v9, vcc_lo
	v_cndmask_b32_e32 v0, v0, v8, vcc_lo
	v_and_b32_e32 v3, v1, v3
	v_and_b32_e32 v2, v0, v2
	v_mul_lo_u32 v3, v3, 24
	v_mul_hi_u32 v8, v2, 24
	v_mul_lo_u32 v2, v2, 24
	v_add_nc_u32_e32 v3, v8, v3
	s_waitcnt vmcnt(0)
	v_add_co_u32 v4, vcc_lo, v4, v2
	v_mov_b32_e32 v2, v6
	v_add_co_ci_u32_e32 v5, vcc_lo, v5, v3, vcc_lo
	v_mov_b32_e32 v3, v7
	global_store_dwordx2 v[4:5], v[6:7], off
	s_waitcnt_vscnt null, 0x0
	global_atomic_cmpswap_x2 v[2:3], v37, v[0:3], s[28:29] offset:24 glc
	s_waitcnt vmcnt(0)
	v_cmp_ne_u64_e32 vcc_lo, v[2:3], v[6:7]
	s_and_b32 exec_lo, exec_lo, vcc_lo
	s_cbranch_execz .LBB5_164
; %bb.324:                              ;   in Loop: Header=BB5_165 Depth=1
	s_mov_b32 s4, 0
.LBB5_325:                              ;   Parent Loop BB5_165 Depth=1
                                        ; =>  This Inner Loop Header: Depth=2
	s_sleep 1
	global_store_dwordx2 v[4:5], v[2:3], off
	s_waitcnt_vscnt null, 0x0
	global_atomic_cmpswap_x2 v[6:7], v37, v[0:3], s[28:29] offset:24 glc
	s_waitcnt vmcnt(0)
	v_cmp_eq_u64_e32 vcc_lo, v[6:7], v[2:3]
	v_mov_b32_e32 v2, v6
	v_mov_b32_e32 v3, v7
	s_or_b32 s4, vcc_lo, s4
	s_andn2_b32 exec_lo, exec_lo, s4
	s_cbranch_execnz .LBB5_325
	s_branch .LBB5_164
.LBB5_326:
	v_readlane_b32 s30, v40, 0
	v_readlane_b32 s31, v40, 1
	;; [unrolled: 1-line block ×3, first 2 shown]
	s_or_saveexec_b32 s5, -1
	buffer_load_dword v40, off, s[0:3], s33 ; 4-byte Folded Reload
	s_mov_b32 exec_lo, s5
	s_addk_i32 s32, 0xfe00
	s_mov_b32 s33, s4
	s_waitcnt vmcnt(0) lgkmcnt(0)
	s_setpc_b64 s[30:31]
.Lfunc_end5:
	.size	_ZN8migraphx4testlsIKNS_13basic_printerIZNS_4coutEvEUlT_E_EEEERS3_S7_RKNS0_10expressionINS0_14lhs_expressionIRNS_5arrayIiLj8EEENS0_3nopEEESC_NS0_5equalEEE, .Lfunc_end5-_ZN8migraphx4testlsIKNS_13basic_printerIZNS_4coutEvEUlT_E_EEEERS3_S7_RKNS0_10expressionINS0_14lhs_expressionIRNS_5arrayIiLj8EEENS0_3nopEEESC_NS0_5equalEEE
                                        ; -- End function
	.section	.AMDGPU.csdata,"",@progbits
; Function info:
; codeLenInByte = 12088
; NumSgprs: 39
; NumVgprs: 66
; ScratchSize: 16
; MemoryBound: 0
	.text
	.p2align	2                               ; -- Begin function _ZL17merge_interleavedRN8migraphx4test12test_managerE
	.type	_ZL17merge_interleavedRN8migraphx4test12test_managerE,@function
_ZL17merge_interleavedRN8migraphx4test12test_managerE: ; @_ZL17merge_interleavedRN8migraphx4test12test_managerE
; %bb.0:
	s_waitcnt vmcnt(0) expcnt(0) lgkmcnt(0)
	s_mov_b32 s4, s33
	s_mov_b32 s33, s32
	s_or_saveexec_b32 s5, -1
	buffer_store_dword v41, off, s[0:3], s33 offset:112 ; 4-byte Folded Spill
	s_mov_b32 exec_lo, s5
	v_writelane_b32 v41, s4, 2
	v_writelane_b32 v41, s30, 0
	s_addk_i32 s32, 0x1000
	v_writelane_b32 v41, s31, 1
	v_mov_b32_e32 v66, v0
	v_mov_b32_e32 v0, 1
	;; [unrolled: 1-line block ×6, first 2 shown]
	buffer_store_dword v0, off, s[0:3], s33
	buffer_store_dword v1, off, s[0:3], s33 offset:4
	buffer_store_dword v2, off, s[0:3], s33 offset:8
	;; [unrolled: 1-line block ×3, first 2 shown]
	v_mov_b32_e32 v0, 2
	v_mov_b32_e32 v1, 4
	;; [unrolled: 1-line block ×5, first 2 shown]
	buffer_store_dword v0, off, s[0:3], s33 offset:16
	buffer_store_dword v1, off, s[0:3], s33 offset:20
	;; [unrolled: 1-line block ×9, first 2 shown]
	v_lshrrev_b32_e64 v3, 5, s33
	v_mov_b32_e32 v4, 0
	s_mov_b32 s4, 0
	buffer_store_dword v2, off, s[0:3], s33 offset:52
	buffer_store_dword v2, off, s[0:3], s33 offset:56
	;; [unrolled: 1-line block ×3, first 2 shown]
	v_add_nc_u32_e32 v3, 32, v3
                                        ; implicit-def: $sgpr5
                                        ; implicit-def: $sgpr7
                                        ; implicit-def: $sgpr6
	s_inst_prefetch 0x1
	s_branch .LBB6_2
	.p2align	6
.LBB6_1:                                ;   in Loop: Header=BB6_2 Depth=1
	s_or_b32 exec_lo, exec_lo, s10
	s_and_b32 s10, exec_lo, s7
	s_or_b32 s4, s10, s4
	s_andn2_b32 s5, s5, exec_lo
	s_and_b32 s10, s6, exec_lo
	s_or_b32 s5, s5, s10
	s_andn2_b32 exec_lo, exec_lo, s4
	s_cbranch_execz .LBB6_4
.LBB6_2:                                ; =>This Inner Loop Header: Depth=1
	v_mov_b32_e32 v1, v4
	v_mov_b32_e32 v0, v3
	s_or_b32 s6, s6, exec_lo
	s_or_b32 s7, s7, exec_lo
	s_mov_b32 s10, exec_lo
                                        ; implicit-def: $vgpr4
                                        ; implicit-def: $vgpr3
	v_cmpx_ne_u32_e32 16, v2
	s_cbranch_execz .LBB6_1
; %bb.3:                                ;   in Loop: Header=BB6_2 Depth=1
	v_lshrrev_b32_e64 v4, 5, s33
	v_lshrrev_b32_e64 v5, 5, s33
	s_andn2_b32 s7, s7, exec_lo
	s_andn2_b32 s6, s6, exec_lo
	v_add_nc_u32_e32 v4, 16, v4
	v_add_nc_u32_e32 v3, v4, v2
	;; [unrolled: 1-line block ×3, first 2 shown]
	s_clause 0x1
	buffer_load_dword v3, v3, s[0:3], 0 offen
	buffer_load_dword v5, v4, s[0:3], 0 offen
	s_waitcnt vmcnt(0)
	v_cmp_ge_i32_e32 vcc_lo, v3, v5
	v_cndmask_b32_e64 v4, 0, 1, vcc_lo
	v_cmp_lt_i32_e32 vcc_lo, v3, v5
	v_min_i32_e32 v5, v3, v5
	v_add_nc_u32_e32 v3, 4, v0
	v_lshl_add_u32 v4, v4, 2, v1
	v_cndmask_b32_e64 v6, 0, 1, vcc_lo
	buffer_store_dword v5, v0, s[0:3], 0 offen
	v_cmp_eq_u32_e32 vcc_lo, 16, v4
	v_lshl_add_u32 v2, v6, 2, v2
	s_and_b32 s11, vcc_lo, exec_lo
	s_or_b32 s7, s7, s11
	s_branch .LBB6_1
.LBB6_4:
	s_inst_prefetch 0x2
	s_or_b32 exec_lo, exec_lo, s4
	s_xor_b32 s4, s5, -1
	s_and_saveexec_b32 s5, s4
	s_xor_b32 s4, exec_lo, s5
	s_cbranch_execz .LBB6_9
; %bb.5:
	s_mov_b32 s5, exec_lo
	v_cmpx_ne_u32_e32 16, v2
	s_cbranch_execz .LBB6_8
; %bb.6:
	v_lshrrev_b32_e64 v5, 5, s33
	s_mov_b32 s6, 0
	s_mov_b32 s7, 0
	v_add_nc_u32_e32 v5, 16, v5
	v_add_nc_u32_e32 v4, v5, v2
	v_sub_nc_u32_e32 v2, 16, v2
.LBB6_7:                                ; =>This Inner Loop Header: Depth=1
	v_add_nc_u32_e32 v5, s7, v4
	v_add_nc_u32_e32 v6, s7, v3
	s_add_i32 s7, s7, 4
	v_cmp_eq_u32_e32 vcc_lo, s7, v2
	buffer_load_dword v5, v5, s[0:3], 0 offen
	s_or_b32 s6, vcc_lo, s6
	s_waitcnt vmcnt(0)
	buffer_store_dword v5, v6, s[0:3], 0 offen
	s_andn2_b32 exec_lo, exec_lo, s6
	s_cbranch_execnz .LBB6_7
.LBB6_8:
	s_or_b32 exec_lo, exec_lo, s5
.LBB6_9:
	s_andn2_saveexec_b32 s4, s4
	s_cbranch_execz .LBB6_13
; %bb.10:
	v_lshrrev_b32_e64 v3, 5, s33
	s_mov_b32 s5, 0
	s_mov_b32 s6, 0
	v_add_nc_u32_e32 v2, v3, v1
	v_sub_nc_u32_e32 v1, 16, v1
.LBB6_11:                               ; =>This Inner Loop Header: Depth=1
	v_add_nc_u32_e32 v3, s6, v2
	v_add_nc_u32_e32 v4, s6, v0
	s_add_i32 s6, s6, 4
	v_cmp_eq_u32_e32 vcc_lo, s6, v1
	buffer_load_dword v3, v3, s[0:3], 0 offen
	s_or_b32 s5, vcc_lo, s5
	s_waitcnt vmcnt(0)
	buffer_store_dword v3, v4, s[0:3], 0 offen
	s_andn2_b32 exec_lo, exec_lo, s5
	s_cbranch_execnz .LBB6_11
; %bb.12:
	s_or_b32 exec_lo, exec_lo, s5
.LBB6_13:
	s_or_b32 exec_lo, exec_lo, s4
	s_clause 0x7
	buffer_load_dword v0, off, s[0:3], s33 offset:56
	buffer_load_dword v1, off, s[0:3], s33 offset:60
	;; [unrolled: 1-line block ×8, first 2 shown]
	v_mov_b32_e32 v8, 1
	v_mov_b32_e32 v11, 4
	;; [unrolled: 1-line block ×4, first 2 shown]
	s_mov_b64 s[4:5], src_private_base
	buffer_store_dword v8, off, s[0:3], s33 offset:64
	buffer_store_dword v9, off, s[0:3], s33 offset:68
	;; [unrolled: 1-line block ×3, first 2 shown]
	s_waitcnt vmcnt(7)
	v_cmp_ne_u32_e32 vcc_lo, 7, v0
	v_cndmask_b32_e64 v0, 0, 1, vcc_lo
	s_waitcnt vmcnt(6)
	v_cmp_ne_u32_e32 vcc_lo, 8, v1
	v_lshlrev_b16 v0, 2, v0
	v_cndmask_b32_e64 v1, 0, 1, vcc_lo
	s_waitcnt vmcnt(5)
	v_cmp_ne_u32_e32 vcc_lo, 6, v2
	v_lshlrev_b16 v1, 3, v1
	v_cndmask_b32_e64 v2, 0, 1, vcc_lo
	s_waitcnt vmcnt(4)
	v_cmp_ne_u32_e32 vcc_lo, 5, v3
	v_or_b32_e32 v0, v1, v0
	v_lshlrev_b16 v2, 1, v2
	v_cndmask_b32_e64 v3, 0, 1, vcc_lo
	s_waitcnt vmcnt(3)
	v_cmp_ne_u32_e32 vcc_lo, 3, v4
	v_or_b32_e32 v2, v3, v2
	v_cndmask_b32_e64 v4, 0, 1, vcc_lo
	s_waitcnt vmcnt(2)
	v_cmp_ne_u32_e32 vcc_lo, 4, v5
	v_and_b32_e32 v2, 3, v2
	v_lshlrev_b16 v4, 2, v4
	v_cndmask_b32_e64 v5, 0, 1, vcc_lo
	s_waitcnt vmcnt(1)
	v_cmp_ne_u32_e32 vcc_lo, 2, v6
	v_or_b32_e32 v0, v2, v0
	v_mov_b32_e32 v2, s5
	v_lshlrev_b16 v5, 3, v5
	v_cndmask_b32_e64 v6, 0, 1, vcc_lo
	s_waitcnt vmcnt(0)
	v_cmp_ne_u32_e32 vcc_lo, 1, v7
	v_lshlrev_b16 v0, 4, v0
	v_or_b32_e32 v1, v5, v4
	v_lshlrev_b16 v6, 1, v6
	v_cndmask_b32_e64 v7, 0, 1, vcc_lo
	v_mov_b32_e32 v4, 6
	v_mov_b32_e32 v5, 7
	v_or_b32_e32 v3, v7, v6
	v_mov_b32_e32 v6, 5
	buffer_store_dword v11, off, s[0:3], s33 offset:76
	buffer_store_dword v6, off, s[0:3], s33 offset:80
	;; [unrolled: 1-line block ×4, first 2 shown]
	v_and_b32_e32 v3, 3, v3
	v_lshrrev_b32_e64 v4, 5, s33
	v_mov_b32_e32 v7, 8
	v_or_b32_e32 v1, v3, v1
	v_lshrrev_b32_e64 v3, 5, s33
	v_add_nc_u32_e32 v4, 64, v4
	buffer_store_dword v7, off, s[0:3], s33 offset:92
	v_and_b32_e32 v1, 15, v1
	v_add_nc_u32_e32 v3, 32, v3
	buffer_store_dword v2, off, s[0:3], s33 offset:100
	buffer_store_dword v3, off, s[0:3], s33 offset:96
	buffer_store_dword v2, off, s[0:3], s33 offset:108
	buffer_store_dword v4, off, s[0:3], s33 offset:104
	v_or_b32_e32 v0, v1, v0
	v_mov_b32_e32 v1, 0
	v_cmp_ne_u16_sdwa s4, v0, v1 src0_sel:BYTE_0 src1_sel:DWORD
	s_and_saveexec_b32 s5, s4
	s_xor_b32 s37, exec_lo, s5
	s_cbranch_execz .LBB6_1532
; %bb.14:
	v_and_b32_e32 v0, 0x3ff, v31
	s_mov_b32 s40, exec_lo
	v_cmpx_eq_u32_e32 0, v0
	s_cbranch_execz .LBB6_1531
; %bb.15:
	s_load_dwordx2 s[6:7], s[8:9], 0x50
	v_mbcnt_lo_u32_b32 v32, -1, 0
	v_mov_b32_e32 v6, 0
	v_mov_b32_e32 v7, 0
	v_readfirstlane_b32 s4, v32
	v_cmp_eq_u32_e64 s4, s4, v32
	s_and_saveexec_b32 s5, s4
	s_cbranch_execz .LBB6_21
; %bb.16:
	v_mov_b32_e32 v0, 0
	s_mov_b32 s10, exec_lo
	s_waitcnt lgkmcnt(0)
	global_load_dwordx2 v[3:4], v0, s[6:7] offset:24 glc dlc
	s_waitcnt vmcnt(0)
	buffer_gl1_inv
	buffer_gl0_inv
	s_clause 0x1
	global_load_dwordx2 v[1:2], v0, s[6:7] offset:40
	global_load_dwordx2 v[5:6], v0, s[6:7]
	s_waitcnt vmcnt(1)
	v_and_b32_e32 v2, v2, v4
	v_and_b32_e32 v1, v1, v3
	v_mul_lo_u32 v2, v2, 24
	v_mul_hi_u32 v7, v1, 24
	v_mul_lo_u32 v1, v1, 24
	v_add_nc_u32_e32 v2, v7, v2
	s_waitcnt vmcnt(0)
	v_add_co_u32 v1, vcc_lo, v5, v1
	v_add_co_ci_u32_e32 v2, vcc_lo, v6, v2, vcc_lo
	global_load_dwordx2 v[1:2], v[1:2], off glc dlc
	s_waitcnt vmcnt(0)
	global_atomic_cmpswap_x2 v[6:7], v0, v[1:4], s[6:7] offset:24 glc
	s_waitcnt vmcnt(0)
	buffer_gl1_inv
	buffer_gl0_inv
	v_cmpx_ne_u64_e64 v[6:7], v[3:4]
	s_cbranch_execz .LBB6_20
; %bb.17:
	s_mov_b32 s11, 0
	.p2align	6
.LBB6_18:                               ; =>This Inner Loop Header: Depth=1
	s_sleep 1
	s_clause 0x1
	global_load_dwordx2 v[1:2], v0, s[6:7] offset:40
	global_load_dwordx2 v[8:9], v0, s[6:7]
	v_mov_b32_e32 v3, v6
	v_mov_b32_e32 v4, v7
	s_waitcnt vmcnt(1)
	v_and_b32_e32 v1, v1, v3
	v_and_b32_e32 v2, v2, v4
	s_waitcnt vmcnt(0)
	v_mad_u64_u32 v[5:6], null, v1, 24, v[8:9]
	v_mov_b32_e32 v1, v6
	v_mad_u64_u32 v[1:2], null, v2, 24, v[1:2]
	v_mov_b32_e32 v6, v1
	global_load_dwordx2 v[1:2], v[5:6], off glc dlc
	s_waitcnt vmcnt(0)
	global_atomic_cmpswap_x2 v[6:7], v0, v[1:4], s[6:7] offset:24 glc
	s_waitcnt vmcnt(0)
	buffer_gl1_inv
	buffer_gl0_inv
	v_cmp_eq_u64_e32 vcc_lo, v[6:7], v[3:4]
	s_or_b32 s11, vcc_lo, s11
	s_andn2_b32 exec_lo, exec_lo, s11
	s_cbranch_execnz .LBB6_18
; %bb.19:
	s_or_b32 exec_lo, exec_lo, s11
.LBB6_20:
	s_or_b32 exec_lo, exec_lo, s10
.LBB6_21:
	s_or_b32 exec_lo, exec_lo, s5
	v_mov_b32_e32 v5, 0
	v_readfirstlane_b32 s10, v6
	v_readfirstlane_b32 s11, v7
	s_mov_b32 s5, exec_lo
	s_waitcnt lgkmcnt(0)
	s_clause 0x1
	global_load_dwordx2 v[8:9], v5, s[6:7] offset:40
	global_load_dwordx4 v[0:3], v5, s[6:7]
	s_waitcnt vmcnt(1)
	v_readfirstlane_b32 s16, v8
	v_readfirstlane_b32 s17, v9
	s_and_b64 s[16:17], s[10:11], s[16:17]
	s_mul_i32 s15, s17, 24
	s_mul_hi_u32 s18, s16, 24
	s_mul_i32 s19, s16, 24
	s_add_i32 s18, s18, s15
	s_waitcnt vmcnt(0)
	v_add_co_u32 v8, vcc_lo, v0, s19
	v_add_co_ci_u32_e32 v9, vcc_lo, s18, v1, vcc_lo
	s_and_saveexec_b32 s15, s4
	s_cbranch_execz .LBB6_23
; %bb.22:
	v_mov_b32_e32 v4, s5
	v_mov_b32_e32 v6, 2
	v_mov_b32_e32 v7, 1
	global_store_dwordx4 v[8:9], v[4:7], off offset:8
.LBB6_23:
	s_or_b32 exec_lo, exec_lo, s15
	s_lshl_b64 s[16:17], s[16:17], 12
	v_lshlrev_b32_e32 v31, 6, v32
	v_add_co_u32 v2, vcc_lo, v2, s16
	v_add_co_ci_u32_e32 v3, vcc_lo, s17, v3, vcc_lo
	s_mov_b32 s16, 0
	v_add_co_u32 v10, vcc_lo, v2, v31
	s_mov_b32 s17, s16
	s_mov_b32 s18, s16
	;; [unrolled: 1-line block ×3, first 2 shown]
	v_mov_b32_e32 v4, 33
	v_mov_b32_e32 v6, v5
	;; [unrolled: 1-line block ×3, first 2 shown]
	v_readfirstlane_b32 s20, v2
	v_readfirstlane_b32 s21, v3
	v_mov_b32_e32 v12, s16
	v_add_co_ci_u32_e32 v11, vcc_lo, 0, v3, vcc_lo
	v_mov_b32_e32 v13, s17
	v_mov_b32_e32 v14, s18
	;; [unrolled: 1-line block ×3, first 2 shown]
	global_store_dwordx4 v31, v[4:7], s[20:21]
	global_store_dwordx4 v31, v[12:15], s[20:21] offset:16
	global_store_dwordx4 v31, v[12:15], s[20:21] offset:32
	;; [unrolled: 1-line block ×3, first 2 shown]
	s_and_saveexec_b32 s5, s4
	s_cbranch_execz .LBB6_30
; %bb.24:
	v_mov_b32_e32 v6, 0
	v_mov_b32_e32 v12, s10
	;; [unrolled: 1-line block ×3, first 2 shown]
	s_mov_b32 s15, exec_lo
	s_clause 0x1
	global_load_dwordx2 v[14:15], v6, s[6:7] offset:32 glc dlc
	global_load_dwordx2 v[2:3], v6, s[6:7] offset:40
	s_waitcnt vmcnt(0)
	v_and_b32_e32 v3, s11, v3
	v_and_b32_e32 v2, s10, v2
	v_mul_lo_u32 v3, v3, 24
	v_mul_hi_u32 v4, v2, 24
	v_mul_lo_u32 v2, v2, 24
	v_add_nc_u32_e32 v3, v4, v3
	v_add_co_u32 v4, vcc_lo, v0, v2
	v_add_co_ci_u32_e32 v5, vcc_lo, v1, v3, vcc_lo
	global_store_dwordx2 v[4:5], v[14:15], off
	s_waitcnt_vscnt null, 0x0
	global_atomic_cmpswap_x2 v[2:3], v6, v[12:15], s[6:7] offset:32 glc
	s_waitcnt vmcnt(0)
	v_cmpx_ne_u64_e64 v[2:3], v[14:15]
	s_cbranch_execz .LBB6_26
.LBB6_25:                               ; =>This Inner Loop Header: Depth=1
	v_mov_b32_e32 v0, s10
	v_mov_b32_e32 v1, s11
	s_sleep 1
	global_store_dwordx2 v[4:5], v[2:3], off
	s_waitcnt_vscnt null, 0x0
	global_atomic_cmpswap_x2 v[0:1], v6, v[0:3], s[6:7] offset:32 glc
	s_waitcnt vmcnt(0)
	v_cmp_eq_u64_e32 vcc_lo, v[0:1], v[2:3]
	v_mov_b32_e32 v3, v1
	v_mov_b32_e32 v2, v0
	s_or_b32 s16, vcc_lo, s16
	s_andn2_b32 exec_lo, exec_lo, s16
	s_cbranch_execnz .LBB6_25
.LBB6_26:
	s_or_b32 exec_lo, exec_lo, s15
	v_mov_b32_e32 v3, 0
	s_mov_b32 s16, exec_lo
	s_mov_b32 s15, exec_lo
	v_mbcnt_lo_u32_b32 v2, s16, 0
	global_load_dwordx2 v[0:1], v3, s[6:7] offset:16
	v_cmpx_eq_u32_e32 0, v2
	s_cbranch_execz .LBB6_28
; %bb.27:
	s_bcnt1_i32_b32 s16, s16
	v_mov_b32_e32 v2, s16
	s_waitcnt vmcnt(0)
	global_atomic_add_x2 v[0:1], v[2:3], off offset:8
.LBB6_28:
	s_or_b32 exec_lo, exec_lo, s15
	s_waitcnt vmcnt(0)
	global_load_dwordx2 v[2:3], v[0:1], off offset:16
	s_waitcnt vmcnt(0)
	v_cmp_eq_u64_e32 vcc_lo, 0, v[2:3]
	s_cbranch_vccnz .LBB6_30
; %bb.29:
	global_load_dword v0, v[0:1], off offset:24
	v_mov_b32_e32 v1, 0
	s_waitcnt vmcnt(0)
	v_and_b32_e32 v4, 0x7fffff, v0
	s_waitcnt_vscnt null, 0x0
	global_store_dwordx2 v[2:3], v[0:1], off
	v_readfirstlane_b32 m0, v4
	s_sendmsg sendmsg(MSG_INTERRUPT)
.LBB6_30:
	s_or_b32 exec_lo, exec_lo, s5
	s_branch .LBB6_34
	.p2align	6
.LBB6_31:                               ;   in Loop: Header=BB6_34 Depth=1
	s_or_b32 exec_lo, exec_lo, s5
	v_readfirstlane_b32 s5, v0
	s_cmp_eq_u32 s5, 0
	s_cbranch_scc1 .LBB6_33
; %bb.32:                               ;   in Loop: Header=BB6_34 Depth=1
	s_sleep 1
	s_cbranch_execnz .LBB6_34
	s_branch .LBB6_36
	.p2align	6
.LBB6_33:
	s_branch .LBB6_36
.LBB6_34:                               ; =>This Inner Loop Header: Depth=1
	v_mov_b32_e32 v0, 1
	s_and_saveexec_b32 s5, s4
	s_cbranch_execz .LBB6_31
; %bb.35:                               ;   in Loop: Header=BB6_34 Depth=1
	global_load_dword v0, v[8:9], off offset:20 glc dlc
	s_waitcnt vmcnt(0)
	buffer_gl1_inv
	buffer_gl0_inv
	v_and_b32_e32 v0, 1, v0
	s_branch .LBB6_31
.LBB6_36:
	global_load_dwordx2 v[4:5], v[10:11], off
	s_and_saveexec_b32 s5, s4
	s_cbranch_execz .LBB6_40
; %bb.37:
	v_mov_b32_e32 v8, 0
	s_clause 0x2
	global_load_dwordx2 v[2:3], v8, s[6:7] offset:40
	global_load_dwordx2 v[9:10], v8, s[6:7] offset:24 glc dlc
	global_load_dwordx2 v[6:7], v8, s[6:7]
	s_waitcnt vmcnt(2)
	v_add_co_u32 v11, vcc_lo, v2, 1
	v_add_co_ci_u32_e32 v12, vcc_lo, 0, v3, vcc_lo
	v_add_co_u32 v0, vcc_lo, v11, s10
	v_add_co_ci_u32_e32 v1, vcc_lo, s11, v12, vcc_lo
	v_cmp_eq_u64_e32 vcc_lo, 0, v[0:1]
	v_cndmask_b32_e32 v1, v1, v12, vcc_lo
	v_cndmask_b32_e32 v0, v0, v11, vcc_lo
	v_and_b32_e32 v3, v1, v3
	v_and_b32_e32 v2, v0, v2
	v_mul_lo_u32 v3, v3, 24
	v_mul_hi_u32 v11, v2, 24
	v_mul_lo_u32 v2, v2, 24
	v_add_nc_u32_e32 v3, v11, v3
	s_waitcnt vmcnt(0)
	v_add_co_u32 v6, vcc_lo, v6, v2
	v_mov_b32_e32 v2, v9
	v_add_co_ci_u32_e32 v7, vcc_lo, v7, v3, vcc_lo
	v_mov_b32_e32 v3, v10
	global_store_dwordx2 v[6:7], v[9:10], off
	s_waitcnt_vscnt null, 0x0
	global_atomic_cmpswap_x2 v[2:3], v8, v[0:3], s[6:7] offset:24 glc
	s_waitcnt vmcnt(0)
	v_cmp_ne_u64_e32 vcc_lo, v[2:3], v[9:10]
	s_and_b32 exec_lo, exec_lo, vcc_lo
	s_cbranch_execz .LBB6_40
; %bb.38:
	s_mov_b32 s4, 0
.LBB6_39:                               ; =>This Inner Loop Header: Depth=1
	s_sleep 1
	global_store_dwordx2 v[6:7], v[2:3], off
	s_waitcnt_vscnt null, 0x0
	global_atomic_cmpswap_x2 v[9:10], v8, v[0:3], s[6:7] offset:24 glc
	s_waitcnt vmcnt(0)
	v_cmp_eq_u64_e32 vcc_lo, v[9:10], v[2:3]
	v_mov_b32_e32 v2, v9
	v_mov_b32_e32 v3, v10
	s_or_b32 s4, vcc_lo, s4
	s_andn2_b32 exec_lo, exec_lo, s4
	s_cbranch_execnz .LBB6_39
.LBB6_40:
	s_or_b32 exec_lo, exec_lo, s5
	s_getpc_b64 s[10:11]
	s_add_u32 s10, s10, .str.5@rel32@lo+4
	s_addc_u32 s11, s11, .str.5@rel32@hi+12
	s_cmp_lg_u64 s[10:11], 0
	s_cselect_b32 s15, -1, 0
	s_and_b32 vcc_lo, exec_lo, s15
	s_cbranch_vccz .LBB6_119
; %bb.41:
	s_waitcnt vmcnt(0)
	v_and_b32_e32 v28, 2, v4
	v_mov_b32_e32 v7, 0
	v_and_b32_e32 v0, -3, v4
	v_mov_b32_e32 v1, v5
	v_mov_b32_e32 v8, 2
	;; [unrolled: 1-line block ×3, first 2 shown]
	s_mov_b64 s[16:17], 3
	s_branch .LBB6_43
.LBB6_42:                               ;   in Loop: Header=BB6_43 Depth=1
	s_or_b32 exec_lo, exec_lo, s5
	s_sub_u32 s16, s16, s18
	s_subb_u32 s17, s17, s19
	s_add_u32 s10, s10, s18
	s_addc_u32 s11, s11, s19
	s_cmp_lg_u64 s[16:17], 0
	s_cbranch_scc0 .LBB6_118
.LBB6_43:                               ; =>This Loop Header: Depth=1
                                        ;     Child Loop BB6_52 Depth 2
                                        ;     Child Loop BB6_48 Depth 2
	;; [unrolled: 1-line block ×11, first 2 shown]
	v_cmp_lt_u64_e64 s4, s[16:17], 56
	v_cmp_gt_u64_e64 s5, s[16:17], 7
                                        ; implicit-def: $vgpr2_vgpr3
                                        ; implicit-def: $sgpr24
	s_and_b32 s4, s4, exec_lo
	s_cselect_b32 s19, s17, 0
	s_cselect_b32 s18, s16, 56
	s_and_b32 vcc_lo, exec_lo, s5
	s_mov_b32 s4, -1
	s_cbranch_vccz .LBB6_50
; %bb.44:                               ;   in Loop: Header=BB6_43 Depth=1
	s_andn2_b32 vcc_lo, exec_lo, s4
	s_mov_b64 s[4:5], s[10:11]
	s_cbranch_vccz .LBB6_54
.LBB6_45:                               ;   in Loop: Header=BB6_43 Depth=1
	s_cmp_gt_u32 s24, 7
	s_cbranch_scc1 .LBB6_55
.LBB6_46:                               ;   in Loop: Header=BB6_43 Depth=1
	v_mov_b32_e32 v10, 0
	v_mov_b32_e32 v11, 0
	s_cmp_eq_u32 s24, 0
	s_cbranch_scc1 .LBB6_49
; %bb.47:                               ;   in Loop: Header=BB6_43 Depth=1
	s_mov_b64 s[20:21], 0
	s_mov_b64 s[22:23], 0
.LBB6_48:                               ;   Parent Loop BB6_43 Depth=1
                                        ; =>  This Inner Loop Header: Depth=2
	s_add_u32 s26, s4, s22
	s_addc_u32 s27, s5, s23
	s_add_u32 s22, s22, 1
	global_load_ubyte v6, v7, s[26:27]
	s_addc_u32 s23, s23, 0
	s_waitcnt vmcnt(0)
	v_and_b32_e32 v6, 0xffff, v6
	v_lshlrev_b64 v[12:13], s20, v[6:7]
	s_add_u32 s20, s20, 8
	s_addc_u32 s21, s21, 0
	s_cmp_lg_u32 s24, s22
	v_or_b32_e32 v10, v12, v10
	v_or_b32_e32 v11, v13, v11
	s_cbranch_scc1 .LBB6_48
.LBB6_49:                               ;   in Loop: Header=BB6_43 Depth=1
	s_mov_b32 s25, 0
	s_cbranch_execz .LBB6_56
	s_branch .LBB6_57
.LBB6_50:                               ;   in Loop: Header=BB6_43 Depth=1
	s_waitcnt vmcnt(0)
	v_mov_b32_e32 v2, 0
	v_mov_b32_e32 v3, 0
	s_cmp_eq_u64 s[16:17], 0
	s_mov_b64 s[4:5], 0
	s_cbranch_scc1 .LBB6_53
; %bb.51:                               ;   in Loop: Header=BB6_43 Depth=1
	v_mov_b32_e32 v2, 0
	v_mov_b32_e32 v3, 0
	s_lshl_b64 s[20:21], s[18:19], 3
	s_mov_b64 s[22:23], s[10:11]
.LBB6_52:                               ;   Parent Loop BB6_43 Depth=1
                                        ; =>  This Inner Loop Header: Depth=2
	global_load_ubyte v6, v7, s[22:23]
	s_waitcnt vmcnt(0)
	v_and_b32_e32 v6, 0xffff, v6
	v_lshlrev_b64 v[10:11], s4, v[6:7]
	s_add_u32 s4, s4, 8
	s_addc_u32 s5, s5, 0
	s_add_u32 s22, s22, 1
	s_addc_u32 s23, s23, 0
	s_cmp_lg_u32 s20, s4
	v_or_b32_e32 v2, v10, v2
	v_or_b32_e32 v3, v11, v3
	s_cbranch_scc1 .LBB6_52
.LBB6_53:                               ;   in Loop: Header=BB6_43 Depth=1
	s_mov_b32 s24, 0
	s_mov_b64 s[4:5], s[10:11]
	s_cbranch_execnz .LBB6_45
.LBB6_54:                               ;   in Loop: Header=BB6_43 Depth=1
	global_load_dwordx2 v[2:3], v7, s[10:11]
	s_add_i32 s24, s18, -8
	s_add_u32 s4, s10, 8
	s_addc_u32 s5, s11, 0
	s_cmp_gt_u32 s24, 7
	s_cbranch_scc0 .LBB6_46
.LBB6_55:                               ;   in Loop: Header=BB6_43 Depth=1
                                        ; implicit-def: $vgpr10_vgpr11
                                        ; implicit-def: $sgpr25
.LBB6_56:                               ;   in Loop: Header=BB6_43 Depth=1
	global_load_dwordx2 v[10:11], v7, s[4:5]
	s_add_i32 s25, s24, -8
	s_add_u32 s4, s4, 8
	s_addc_u32 s5, s5, 0
.LBB6_57:                               ;   in Loop: Header=BB6_43 Depth=1
	s_cmp_gt_u32 s25, 7
	s_cbranch_scc1 .LBB6_62
; %bb.58:                               ;   in Loop: Header=BB6_43 Depth=1
	v_mov_b32_e32 v12, 0
	v_mov_b32_e32 v13, 0
	s_cmp_eq_u32 s25, 0
	s_cbranch_scc1 .LBB6_61
; %bb.59:                               ;   in Loop: Header=BB6_43 Depth=1
	s_mov_b64 s[20:21], 0
	s_mov_b64 s[22:23], 0
.LBB6_60:                               ;   Parent Loop BB6_43 Depth=1
                                        ; =>  This Inner Loop Header: Depth=2
	s_add_u32 s26, s4, s22
	s_addc_u32 s27, s5, s23
	s_add_u32 s22, s22, 1
	global_load_ubyte v6, v7, s[26:27]
	s_addc_u32 s23, s23, 0
	s_waitcnt vmcnt(0)
	v_and_b32_e32 v6, 0xffff, v6
	v_lshlrev_b64 v[14:15], s20, v[6:7]
	s_add_u32 s20, s20, 8
	s_addc_u32 s21, s21, 0
	s_cmp_lg_u32 s25, s22
	v_or_b32_e32 v12, v14, v12
	v_or_b32_e32 v13, v15, v13
	s_cbranch_scc1 .LBB6_60
.LBB6_61:                               ;   in Loop: Header=BB6_43 Depth=1
	s_mov_b32 s24, 0
	s_cbranch_execz .LBB6_63
	s_branch .LBB6_64
.LBB6_62:                               ;   in Loop: Header=BB6_43 Depth=1
                                        ; implicit-def: $sgpr24
.LBB6_63:                               ;   in Loop: Header=BB6_43 Depth=1
	global_load_dwordx2 v[12:13], v7, s[4:5]
	s_add_i32 s24, s25, -8
	s_add_u32 s4, s4, 8
	s_addc_u32 s5, s5, 0
.LBB6_64:                               ;   in Loop: Header=BB6_43 Depth=1
	s_cmp_gt_u32 s24, 7
	s_cbranch_scc1 .LBB6_69
; %bb.65:                               ;   in Loop: Header=BB6_43 Depth=1
	v_mov_b32_e32 v14, 0
	v_mov_b32_e32 v15, 0
	s_cmp_eq_u32 s24, 0
	s_cbranch_scc1 .LBB6_68
; %bb.66:                               ;   in Loop: Header=BB6_43 Depth=1
	s_mov_b64 s[20:21], 0
	s_mov_b64 s[22:23], 0
.LBB6_67:                               ;   Parent Loop BB6_43 Depth=1
                                        ; =>  This Inner Loop Header: Depth=2
	s_add_u32 s26, s4, s22
	s_addc_u32 s27, s5, s23
	s_add_u32 s22, s22, 1
	global_load_ubyte v6, v7, s[26:27]
	s_addc_u32 s23, s23, 0
	s_waitcnt vmcnt(0)
	v_and_b32_e32 v6, 0xffff, v6
	v_lshlrev_b64 v[16:17], s20, v[6:7]
	s_add_u32 s20, s20, 8
	s_addc_u32 s21, s21, 0
	s_cmp_lg_u32 s24, s22
	v_or_b32_e32 v14, v16, v14
	v_or_b32_e32 v15, v17, v15
	s_cbranch_scc1 .LBB6_67
.LBB6_68:                               ;   in Loop: Header=BB6_43 Depth=1
	s_mov_b32 s25, 0
	s_cbranch_execz .LBB6_70
	s_branch .LBB6_71
.LBB6_69:                               ;   in Loop: Header=BB6_43 Depth=1
                                        ; implicit-def: $vgpr14_vgpr15
                                        ; implicit-def: $sgpr25
.LBB6_70:                               ;   in Loop: Header=BB6_43 Depth=1
	global_load_dwordx2 v[14:15], v7, s[4:5]
	s_add_i32 s25, s24, -8
	s_add_u32 s4, s4, 8
	s_addc_u32 s5, s5, 0
.LBB6_71:                               ;   in Loop: Header=BB6_43 Depth=1
	s_cmp_gt_u32 s25, 7
	s_cbranch_scc1 .LBB6_76
; %bb.72:                               ;   in Loop: Header=BB6_43 Depth=1
	v_mov_b32_e32 v16, 0
	v_mov_b32_e32 v17, 0
	s_cmp_eq_u32 s25, 0
	s_cbranch_scc1 .LBB6_75
; %bb.73:                               ;   in Loop: Header=BB6_43 Depth=1
	s_mov_b64 s[20:21], 0
	s_mov_b64 s[22:23], 0
.LBB6_74:                               ;   Parent Loop BB6_43 Depth=1
                                        ; =>  This Inner Loop Header: Depth=2
	s_add_u32 s26, s4, s22
	s_addc_u32 s27, s5, s23
	s_add_u32 s22, s22, 1
	global_load_ubyte v6, v7, s[26:27]
	s_addc_u32 s23, s23, 0
	s_waitcnt vmcnt(0)
	v_and_b32_e32 v6, 0xffff, v6
	v_lshlrev_b64 v[18:19], s20, v[6:7]
	s_add_u32 s20, s20, 8
	s_addc_u32 s21, s21, 0
	s_cmp_lg_u32 s25, s22
	v_or_b32_e32 v16, v18, v16
	v_or_b32_e32 v17, v19, v17
	s_cbranch_scc1 .LBB6_74
.LBB6_75:                               ;   in Loop: Header=BB6_43 Depth=1
	s_mov_b32 s24, 0
	s_cbranch_execz .LBB6_77
	s_branch .LBB6_78
.LBB6_76:                               ;   in Loop: Header=BB6_43 Depth=1
                                        ; implicit-def: $sgpr24
.LBB6_77:                               ;   in Loop: Header=BB6_43 Depth=1
	global_load_dwordx2 v[16:17], v7, s[4:5]
	s_add_i32 s24, s25, -8
	s_add_u32 s4, s4, 8
	s_addc_u32 s5, s5, 0
.LBB6_78:                               ;   in Loop: Header=BB6_43 Depth=1
	s_cmp_gt_u32 s24, 7
	s_cbranch_scc1 .LBB6_83
; %bb.79:                               ;   in Loop: Header=BB6_43 Depth=1
	v_mov_b32_e32 v18, 0
	v_mov_b32_e32 v19, 0
	s_cmp_eq_u32 s24, 0
	s_cbranch_scc1 .LBB6_82
; %bb.80:                               ;   in Loop: Header=BB6_43 Depth=1
	s_mov_b64 s[20:21], 0
	s_mov_b64 s[22:23], 0
.LBB6_81:                               ;   Parent Loop BB6_43 Depth=1
                                        ; =>  This Inner Loop Header: Depth=2
	s_add_u32 s26, s4, s22
	s_addc_u32 s27, s5, s23
	s_add_u32 s22, s22, 1
	global_load_ubyte v6, v7, s[26:27]
	s_addc_u32 s23, s23, 0
	s_waitcnt vmcnt(0)
	v_and_b32_e32 v6, 0xffff, v6
	v_lshlrev_b64 v[20:21], s20, v[6:7]
	s_add_u32 s20, s20, 8
	s_addc_u32 s21, s21, 0
	s_cmp_lg_u32 s24, s22
	v_or_b32_e32 v18, v20, v18
	v_or_b32_e32 v19, v21, v19
	s_cbranch_scc1 .LBB6_81
.LBB6_82:                               ;   in Loop: Header=BB6_43 Depth=1
	s_mov_b32 s25, 0
	s_cbranch_execz .LBB6_84
	s_branch .LBB6_85
.LBB6_83:                               ;   in Loop: Header=BB6_43 Depth=1
                                        ; implicit-def: $vgpr18_vgpr19
                                        ; implicit-def: $sgpr25
.LBB6_84:                               ;   in Loop: Header=BB6_43 Depth=1
	global_load_dwordx2 v[18:19], v7, s[4:5]
	s_add_i32 s25, s24, -8
	s_add_u32 s4, s4, 8
	s_addc_u32 s5, s5, 0
.LBB6_85:                               ;   in Loop: Header=BB6_43 Depth=1
	s_cmp_gt_u32 s25, 7
	s_cbranch_scc1 .LBB6_90
; %bb.86:                               ;   in Loop: Header=BB6_43 Depth=1
	v_mov_b32_e32 v20, 0
	v_mov_b32_e32 v21, 0
	s_cmp_eq_u32 s25, 0
	s_cbranch_scc1 .LBB6_89
; %bb.87:                               ;   in Loop: Header=BB6_43 Depth=1
	s_mov_b64 s[20:21], 0
	s_mov_b64 s[22:23], s[4:5]
.LBB6_88:                               ;   Parent Loop BB6_43 Depth=1
                                        ; =>  This Inner Loop Header: Depth=2
	global_load_ubyte v6, v7, s[22:23]
	s_add_i32 s25, s25, -1
	s_waitcnt vmcnt(0)
	v_and_b32_e32 v6, 0xffff, v6
	v_lshlrev_b64 v[22:23], s20, v[6:7]
	s_add_u32 s20, s20, 8
	s_addc_u32 s21, s21, 0
	s_add_u32 s22, s22, 1
	s_addc_u32 s23, s23, 0
	s_cmp_lg_u32 s25, 0
	v_or_b32_e32 v20, v22, v20
	v_or_b32_e32 v21, v23, v21
	s_cbranch_scc1 .LBB6_88
.LBB6_89:                               ;   in Loop: Header=BB6_43 Depth=1
	s_cbranch_execz .LBB6_91
	s_branch .LBB6_92
.LBB6_90:                               ;   in Loop: Header=BB6_43 Depth=1
.LBB6_91:                               ;   in Loop: Header=BB6_43 Depth=1
	global_load_dwordx2 v[20:21], v7, s[4:5]
.LBB6_92:                               ;   in Loop: Header=BB6_43 Depth=1
	v_readfirstlane_b32 s4, v32
	v_mov_b32_e32 v26, 0
	v_mov_b32_e32 v27, 0
	v_cmp_eq_u32_e64 s4, s4, v32
	s_and_saveexec_b32 s5, s4
	s_cbranch_execz .LBB6_98
; %bb.93:                               ;   in Loop: Header=BB6_43 Depth=1
	global_load_dwordx2 v[24:25], v7, s[6:7] offset:24 glc dlc
	s_waitcnt vmcnt(0)
	buffer_gl1_inv
	buffer_gl0_inv
	s_clause 0x1
	global_load_dwordx2 v[22:23], v7, s[6:7] offset:40
	global_load_dwordx2 v[26:27], v7, s[6:7]
	s_mov_b32 s20, exec_lo
	s_waitcnt vmcnt(1)
	v_and_b32_e32 v6, v23, v25
	v_and_b32_e32 v22, v22, v24
	v_mul_lo_u32 v6, v6, 24
	v_mul_hi_u32 v23, v22, 24
	v_mul_lo_u32 v22, v22, 24
	v_add_nc_u32_e32 v6, v23, v6
	s_waitcnt vmcnt(0)
	v_add_co_u32 v22, vcc_lo, v26, v22
	v_add_co_ci_u32_e32 v23, vcc_lo, v27, v6, vcc_lo
	global_load_dwordx2 v[22:23], v[22:23], off glc dlc
	s_waitcnt vmcnt(0)
	global_atomic_cmpswap_x2 v[26:27], v7, v[22:25], s[6:7] offset:24 glc
	s_waitcnt vmcnt(0)
	buffer_gl1_inv
	buffer_gl0_inv
	v_cmpx_ne_u64_e64 v[26:27], v[24:25]
	s_cbranch_execz .LBB6_97
; %bb.94:                               ;   in Loop: Header=BB6_43 Depth=1
	s_mov_b32 s21, 0
	.p2align	6
.LBB6_95:                               ;   Parent Loop BB6_43 Depth=1
                                        ; =>  This Inner Loop Header: Depth=2
	s_sleep 1
	s_clause 0x1
	global_load_dwordx2 v[22:23], v7, s[6:7] offset:40
	global_load_dwordx2 v[29:30], v7, s[6:7]
	v_mov_b32_e32 v24, v26
	v_mov_b32_e32 v25, v27
	s_waitcnt vmcnt(1)
	v_and_b32_e32 v6, v22, v24
	v_and_b32_e32 v22, v23, v25
	s_waitcnt vmcnt(0)
	v_mad_u64_u32 v[26:27], null, v6, 24, v[29:30]
	v_mov_b32_e32 v6, v27
	v_mad_u64_u32 v[22:23], null, v22, 24, v[6:7]
	v_mov_b32_e32 v27, v22
	global_load_dwordx2 v[22:23], v[26:27], off glc dlc
	s_waitcnt vmcnt(0)
	global_atomic_cmpswap_x2 v[26:27], v7, v[22:25], s[6:7] offset:24 glc
	s_waitcnt vmcnt(0)
	buffer_gl1_inv
	buffer_gl0_inv
	v_cmp_eq_u64_e32 vcc_lo, v[26:27], v[24:25]
	s_or_b32 s21, vcc_lo, s21
	s_andn2_b32 exec_lo, exec_lo, s21
	s_cbranch_execnz .LBB6_95
; %bb.96:                               ;   in Loop: Header=BB6_43 Depth=1
	s_or_b32 exec_lo, exec_lo, s21
.LBB6_97:                               ;   in Loop: Header=BB6_43 Depth=1
	s_or_b32 exec_lo, exec_lo, s20
.LBB6_98:                               ;   in Loop: Header=BB6_43 Depth=1
	s_or_b32 exec_lo, exec_lo, s5
	s_clause 0x1
	global_load_dwordx2 v[29:30], v7, s[6:7] offset:40
	global_load_dwordx4 v[22:25], v7, s[6:7]
	v_readfirstlane_b32 s20, v26
	v_readfirstlane_b32 s21, v27
	s_mov_b32 s5, exec_lo
	s_waitcnt vmcnt(1)
	v_readfirstlane_b32 s22, v29
	v_readfirstlane_b32 s23, v30
	s_and_b64 s[22:23], s[20:21], s[22:23]
	s_mul_i32 s24, s23, 24
	s_mul_hi_u32 s25, s22, 24
	s_mul_i32 s26, s22, 24
	s_add_i32 s25, s25, s24
	s_waitcnt vmcnt(0)
	v_add_co_u32 v26, vcc_lo, v22, s26
	v_add_co_ci_u32_e32 v27, vcc_lo, s25, v23, vcc_lo
	s_and_saveexec_b32 s24, s4
	s_cbranch_execz .LBB6_100
; %bb.99:                               ;   in Loop: Header=BB6_43 Depth=1
	v_mov_b32_e32 v6, s5
	global_store_dwordx4 v[26:27], v[6:9], off offset:8
.LBB6_100:                              ;   in Loop: Header=BB6_43 Depth=1
	s_or_b32 exec_lo, exec_lo, s24
	s_lshl_b64 s[22:23], s[22:23], 12
	v_cmp_gt_u64_e64 vcc_lo, s[16:17], 56
	v_or_b32_e32 v29, v0, v28
	v_add_co_u32 v24, s5, v24, s22
	v_add_co_ci_u32_e64 v25, s5, s23, v25, s5
	s_lshl_b32 s5, s18, 2
	v_or_b32_e32 v6, 0, v1
	v_cndmask_b32_e32 v0, v29, v0, vcc_lo
	s_add_i32 s5, s5, 28
	v_readfirstlane_b32 s22, v24
	s_and_b32 s5, s5, 0x1e0
	v_cndmask_b32_e32 v1, v6, v1, vcc_lo
	v_readfirstlane_b32 s23, v25
	v_and_or_b32 v0, 0xffffff1f, v0, s5
	global_store_dwordx4 v31, v[0:3], s[22:23]
	global_store_dwordx4 v31, v[10:13], s[22:23] offset:16
	global_store_dwordx4 v31, v[14:17], s[22:23] offset:32
	;; [unrolled: 1-line block ×3, first 2 shown]
	s_and_saveexec_b32 s5, s4
	s_cbranch_execz .LBB6_108
; %bb.101:                              ;   in Loop: Header=BB6_43 Depth=1
	s_clause 0x1
	global_load_dwordx2 v[14:15], v7, s[6:7] offset:32 glc dlc
	global_load_dwordx2 v[0:1], v7, s[6:7] offset:40
	v_mov_b32_e32 v12, s20
	v_mov_b32_e32 v13, s21
	s_waitcnt vmcnt(0)
	v_readfirstlane_b32 s22, v0
	v_readfirstlane_b32 s23, v1
	s_and_b64 s[22:23], s[22:23], s[20:21]
	s_mul_i32 s23, s23, 24
	s_mul_hi_u32 s24, s22, 24
	s_mul_i32 s22, s22, 24
	s_add_i32 s24, s24, s23
	v_add_co_u32 v10, vcc_lo, v22, s22
	v_add_co_ci_u32_e32 v11, vcc_lo, s24, v23, vcc_lo
	s_mov_b32 s22, exec_lo
	global_store_dwordx2 v[10:11], v[14:15], off
	s_waitcnt_vscnt null, 0x0
	global_atomic_cmpswap_x2 v[2:3], v7, v[12:15], s[6:7] offset:32 glc
	s_waitcnt vmcnt(0)
	v_cmpx_ne_u64_e64 v[2:3], v[14:15]
	s_cbranch_execz .LBB6_104
; %bb.102:                              ;   in Loop: Header=BB6_43 Depth=1
	s_mov_b32 s23, 0
.LBB6_103:                              ;   Parent Loop BB6_43 Depth=1
                                        ; =>  This Inner Loop Header: Depth=2
	v_mov_b32_e32 v0, s20
	v_mov_b32_e32 v1, s21
	s_sleep 1
	global_store_dwordx2 v[10:11], v[2:3], off
	s_waitcnt_vscnt null, 0x0
	global_atomic_cmpswap_x2 v[0:1], v7, v[0:3], s[6:7] offset:32 glc
	s_waitcnt vmcnt(0)
	v_cmp_eq_u64_e32 vcc_lo, v[0:1], v[2:3]
	v_mov_b32_e32 v3, v1
	v_mov_b32_e32 v2, v0
	s_or_b32 s23, vcc_lo, s23
	s_andn2_b32 exec_lo, exec_lo, s23
	s_cbranch_execnz .LBB6_103
.LBB6_104:                              ;   in Loop: Header=BB6_43 Depth=1
	s_or_b32 exec_lo, exec_lo, s22
	global_load_dwordx2 v[0:1], v7, s[6:7] offset:16
	s_mov_b32 s23, exec_lo
	s_mov_b32 s22, exec_lo
	v_mbcnt_lo_u32_b32 v2, s23, 0
	v_cmpx_eq_u32_e32 0, v2
	s_cbranch_execz .LBB6_106
; %bb.105:                              ;   in Loop: Header=BB6_43 Depth=1
	s_bcnt1_i32_b32 s23, s23
	v_mov_b32_e32 v6, s23
	s_waitcnt vmcnt(0)
	global_atomic_add_x2 v[0:1], v[6:7], off offset:8
.LBB6_106:                              ;   in Loop: Header=BB6_43 Depth=1
	s_or_b32 exec_lo, exec_lo, s22
	s_waitcnt vmcnt(0)
	global_load_dwordx2 v[2:3], v[0:1], off offset:16
	s_waitcnt vmcnt(0)
	v_cmp_eq_u64_e32 vcc_lo, 0, v[2:3]
	s_cbranch_vccnz .LBB6_108
; %bb.107:                              ;   in Loop: Header=BB6_43 Depth=1
	global_load_dword v6, v[0:1], off offset:24
	s_waitcnt vmcnt(0)
	v_and_b32_e32 v0, 0x7fffff, v6
	s_waitcnt_vscnt null, 0x0
	global_store_dwordx2 v[2:3], v[6:7], off
	v_readfirstlane_b32 m0, v0
	s_sendmsg sendmsg(MSG_INTERRUPT)
.LBB6_108:                              ;   in Loop: Header=BB6_43 Depth=1
	s_or_b32 exec_lo, exec_lo, s5
	v_add_co_u32 v0, vcc_lo, v24, v31
	v_add_co_ci_u32_e32 v1, vcc_lo, 0, v25, vcc_lo
	s_branch .LBB6_112
	.p2align	6
.LBB6_109:                              ;   in Loop: Header=BB6_112 Depth=2
	s_or_b32 exec_lo, exec_lo, s5
	v_readfirstlane_b32 s5, v2
	s_cmp_eq_u32 s5, 0
	s_cbranch_scc1 .LBB6_111
; %bb.110:                              ;   in Loop: Header=BB6_112 Depth=2
	s_sleep 1
	s_cbranch_execnz .LBB6_112
	s_branch .LBB6_114
	.p2align	6
.LBB6_111:                              ;   in Loop: Header=BB6_43 Depth=1
	s_branch .LBB6_114
.LBB6_112:                              ;   Parent Loop BB6_43 Depth=1
                                        ; =>  This Inner Loop Header: Depth=2
	v_mov_b32_e32 v2, 1
	s_and_saveexec_b32 s5, s4
	s_cbranch_execz .LBB6_109
; %bb.113:                              ;   in Loop: Header=BB6_112 Depth=2
	global_load_dword v2, v[26:27], off offset:20 glc dlc
	s_waitcnt vmcnt(0)
	buffer_gl1_inv
	buffer_gl0_inv
	v_and_b32_e32 v2, 1, v2
	s_branch .LBB6_109
.LBB6_114:                              ;   in Loop: Header=BB6_43 Depth=1
	global_load_dwordx4 v[0:3], v[0:1], off
	s_and_saveexec_b32 s5, s4
	s_cbranch_execz .LBB6_42
; %bb.115:                              ;   in Loop: Header=BB6_43 Depth=1
	s_clause 0x2
	global_load_dwordx2 v[2:3], v7, s[6:7] offset:40
	global_load_dwordx2 v[14:15], v7, s[6:7] offset:24 glc dlc
	global_load_dwordx2 v[12:13], v7, s[6:7]
	s_waitcnt vmcnt(2)
	v_add_co_u32 v6, vcc_lo, v2, 1
	v_add_co_ci_u32_e32 v16, vcc_lo, 0, v3, vcc_lo
	v_add_co_u32 v10, vcc_lo, v6, s20
	v_add_co_ci_u32_e32 v11, vcc_lo, s21, v16, vcc_lo
	v_cmp_eq_u64_e32 vcc_lo, 0, v[10:11]
	v_cndmask_b32_e32 v11, v11, v16, vcc_lo
	v_cndmask_b32_e32 v10, v10, v6, vcc_lo
	v_and_b32_e32 v3, v11, v3
	v_and_b32_e32 v2, v10, v2
	v_mul_lo_u32 v3, v3, 24
	v_mul_hi_u32 v6, v2, 24
	v_mul_lo_u32 v2, v2, 24
	v_add_nc_u32_e32 v3, v6, v3
	s_waitcnt vmcnt(0)
	v_add_co_u32 v2, vcc_lo, v12, v2
	v_mov_b32_e32 v12, v14
	v_add_co_ci_u32_e32 v3, vcc_lo, v13, v3, vcc_lo
	v_mov_b32_e32 v13, v15
	global_store_dwordx2 v[2:3], v[14:15], off
	s_waitcnt_vscnt null, 0x0
	global_atomic_cmpswap_x2 v[12:13], v7, v[10:13], s[6:7] offset:24 glc
	s_waitcnt vmcnt(0)
	v_cmp_ne_u64_e32 vcc_lo, v[12:13], v[14:15]
	s_and_b32 exec_lo, exec_lo, vcc_lo
	s_cbranch_execz .LBB6_42
; %bb.116:                              ;   in Loop: Header=BB6_43 Depth=1
	s_mov_b32 s4, 0
.LBB6_117:                              ;   Parent Loop BB6_43 Depth=1
                                        ; =>  This Inner Loop Header: Depth=2
	s_sleep 1
	global_store_dwordx2 v[2:3], v[12:13], off
	s_waitcnt_vscnt null, 0x0
	global_atomic_cmpswap_x2 v[14:15], v7, v[10:13], s[6:7] offset:24 glc
	s_waitcnt vmcnt(0)
	v_cmp_eq_u64_e32 vcc_lo, v[14:15], v[12:13]
	v_mov_b32_e32 v12, v14
	v_mov_b32_e32 v13, v15
	s_or_b32 s4, vcc_lo, s4
	s_andn2_b32 exec_lo, exec_lo, s4
	s_cbranch_execnz .LBB6_117
	s_branch .LBB6_42
.LBB6_118:
	s_branch .LBB6_147
.LBB6_119:
                                        ; implicit-def: $vgpr0_vgpr1
	s_cbranch_execz .LBB6_147
; %bb.120:
	v_readfirstlane_b32 s4, v32
	v_mov_b32_e32 v7, 0
	v_mov_b32_e32 v8, 0
	v_cmp_eq_u32_e64 s4, s4, v32
	s_and_saveexec_b32 s5, s4
	s_cbranch_execz .LBB6_126
; %bb.121:
	s_waitcnt vmcnt(0)
	v_mov_b32_e32 v0, 0
	s_mov_b32 s10, exec_lo
	global_load_dwordx2 v[9:10], v0, s[6:7] offset:24 glc dlc
	s_waitcnt vmcnt(0)
	buffer_gl1_inv
	buffer_gl0_inv
	s_clause 0x1
	global_load_dwordx2 v[1:2], v0, s[6:7] offset:40
	global_load_dwordx2 v[6:7], v0, s[6:7]
	s_waitcnt vmcnt(1)
	v_and_b32_e32 v2, v2, v10
	v_and_b32_e32 v1, v1, v9
	v_mul_lo_u32 v2, v2, 24
	v_mul_hi_u32 v3, v1, 24
	v_mul_lo_u32 v1, v1, 24
	v_add_nc_u32_e32 v2, v3, v2
	s_waitcnt vmcnt(0)
	v_add_co_u32 v1, vcc_lo, v6, v1
	v_add_co_ci_u32_e32 v2, vcc_lo, v7, v2, vcc_lo
	global_load_dwordx2 v[7:8], v[1:2], off glc dlc
	s_waitcnt vmcnt(0)
	global_atomic_cmpswap_x2 v[7:8], v0, v[7:10], s[6:7] offset:24 glc
	s_waitcnt vmcnt(0)
	buffer_gl1_inv
	buffer_gl0_inv
	v_cmpx_ne_u64_e64 v[7:8], v[9:10]
	s_cbranch_execz .LBB6_125
; %bb.122:
	s_mov_b32 s11, 0
	.p2align	6
.LBB6_123:                              ; =>This Inner Loop Header: Depth=1
	s_sleep 1
	s_clause 0x1
	global_load_dwordx2 v[1:2], v0, s[6:7] offset:40
	global_load_dwordx2 v[11:12], v0, s[6:7]
	v_mov_b32_e32 v10, v8
	v_mov_b32_e32 v9, v7
	s_waitcnt vmcnt(1)
	v_and_b32_e32 v1, v1, v9
	v_and_b32_e32 v2, v2, v10
	s_waitcnt vmcnt(0)
	v_mad_u64_u32 v[6:7], null, v1, 24, v[11:12]
	v_mov_b32_e32 v1, v7
	v_mad_u64_u32 v[1:2], null, v2, 24, v[1:2]
	v_mov_b32_e32 v7, v1
	global_load_dwordx2 v[7:8], v[6:7], off glc dlc
	s_waitcnt vmcnt(0)
	global_atomic_cmpswap_x2 v[7:8], v0, v[7:10], s[6:7] offset:24 glc
	s_waitcnt vmcnt(0)
	buffer_gl1_inv
	buffer_gl0_inv
	v_cmp_eq_u64_e32 vcc_lo, v[7:8], v[9:10]
	s_or_b32 s11, vcc_lo, s11
	s_andn2_b32 exec_lo, exec_lo, s11
	s_cbranch_execnz .LBB6_123
; %bb.124:
	s_or_b32 exec_lo, exec_lo, s11
.LBB6_125:
	s_or_b32 exec_lo, exec_lo, s10
.LBB6_126:
	s_or_b32 exec_lo, exec_lo, s5
	v_mov_b32_e32 v6, 0
	v_readfirstlane_b32 s10, v7
	v_readfirstlane_b32 s11, v8
	s_mov_b32 s5, exec_lo
	s_clause 0x1
	global_load_dwordx2 v[9:10], v6, s[6:7] offset:40
	global_load_dwordx4 v[0:3], v6, s[6:7]
	s_waitcnt vmcnt(1)
	v_readfirstlane_b32 s16, v9
	v_readfirstlane_b32 s17, v10
	s_and_b64 s[16:17], s[10:11], s[16:17]
	s_mul_i32 s18, s17, 24
	s_mul_hi_u32 s19, s16, 24
	s_mul_i32 s20, s16, 24
	s_add_i32 s19, s19, s18
	s_waitcnt vmcnt(0)
	v_add_co_u32 v8, vcc_lo, v0, s20
	v_add_co_ci_u32_e32 v9, vcc_lo, s19, v1, vcc_lo
	s_and_saveexec_b32 s18, s4
	s_cbranch_execz .LBB6_128
; %bb.127:
	v_mov_b32_e32 v10, s5
	v_mov_b32_e32 v11, v6
	v_mov_b32_e32 v12, 2
	v_mov_b32_e32 v13, 1
	global_store_dwordx4 v[8:9], v[10:13], off offset:8
.LBB6_128:
	s_or_b32 exec_lo, exec_lo, s18
	s_lshl_b64 s[16:17], s[16:17], 12
	v_and_or_b32 v4, 0xffffff1f, v4, 32
	v_add_co_u32 v2, vcc_lo, v2, s16
	v_add_co_ci_u32_e32 v3, vcc_lo, s17, v3, vcc_lo
	s_mov_b32 s16, 0
	v_add_co_u32 v10, vcc_lo, v2, v31
	s_mov_b32 s17, s16
	s_mov_b32 s18, s16
	;; [unrolled: 1-line block ×3, first 2 shown]
	v_mov_b32_e32 v7, v6
	v_readfirstlane_b32 s20, v2
	v_readfirstlane_b32 s21, v3
	v_mov_b32_e32 v12, s16
	v_add_co_ci_u32_e32 v11, vcc_lo, 0, v3, vcc_lo
	v_mov_b32_e32 v13, s17
	v_mov_b32_e32 v14, s18
	;; [unrolled: 1-line block ×3, first 2 shown]
	global_store_dwordx4 v31, v[4:7], s[20:21]
	global_store_dwordx4 v31, v[12:15], s[20:21] offset:16
	global_store_dwordx4 v31, v[12:15], s[20:21] offset:32
	;; [unrolled: 1-line block ×3, first 2 shown]
	s_and_saveexec_b32 s5, s4
	s_cbranch_execz .LBB6_136
; %bb.129:
	v_mov_b32_e32 v6, 0
	v_mov_b32_e32 v12, s10
	;; [unrolled: 1-line block ×3, first 2 shown]
	s_clause 0x1
	global_load_dwordx2 v[14:15], v6, s[6:7] offset:32 glc dlc
	global_load_dwordx2 v[2:3], v6, s[6:7] offset:40
	s_waitcnt vmcnt(0)
	v_readfirstlane_b32 s16, v2
	v_readfirstlane_b32 s17, v3
	s_and_b64 s[16:17], s[16:17], s[10:11]
	s_mul_i32 s17, s17, 24
	s_mul_hi_u32 s18, s16, 24
	s_mul_i32 s16, s16, 24
	s_add_i32 s18, s18, s17
	v_add_co_u32 v4, vcc_lo, v0, s16
	v_add_co_ci_u32_e32 v5, vcc_lo, s18, v1, vcc_lo
	s_mov_b32 s16, exec_lo
	global_store_dwordx2 v[4:5], v[14:15], off
	s_waitcnt_vscnt null, 0x0
	global_atomic_cmpswap_x2 v[2:3], v6, v[12:15], s[6:7] offset:32 glc
	s_waitcnt vmcnt(0)
	v_cmpx_ne_u64_e64 v[2:3], v[14:15]
	s_cbranch_execz .LBB6_132
; %bb.130:
	s_mov_b32 s17, 0
.LBB6_131:                              ; =>This Inner Loop Header: Depth=1
	v_mov_b32_e32 v0, s10
	v_mov_b32_e32 v1, s11
	s_sleep 1
	global_store_dwordx2 v[4:5], v[2:3], off
	s_waitcnt_vscnt null, 0x0
	global_atomic_cmpswap_x2 v[0:1], v6, v[0:3], s[6:7] offset:32 glc
	s_waitcnt vmcnt(0)
	v_cmp_eq_u64_e32 vcc_lo, v[0:1], v[2:3]
	v_mov_b32_e32 v3, v1
	v_mov_b32_e32 v2, v0
	s_or_b32 s17, vcc_lo, s17
	s_andn2_b32 exec_lo, exec_lo, s17
	s_cbranch_execnz .LBB6_131
.LBB6_132:
	s_or_b32 exec_lo, exec_lo, s16
	v_mov_b32_e32 v3, 0
	s_mov_b32 s17, exec_lo
	s_mov_b32 s16, exec_lo
	v_mbcnt_lo_u32_b32 v2, s17, 0
	global_load_dwordx2 v[0:1], v3, s[6:7] offset:16
	v_cmpx_eq_u32_e32 0, v2
	s_cbranch_execz .LBB6_134
; %bb.133:
	s_bcnt1_i32_b32 s17, s17
	v_mov_b32_e32 v2, s17
	s_waitcnt vmcnt(0)
	global_atomic_add_x2 v[0:1], v[2:3], off offset:8
.LBB6_134:
	s_or_b32 exec_lo, exec_lo, s16
	s_waitcnt vmcnt(0)
	global_load_dwordx2 v[2:3], v[0:1], off offset:16
	s_waitcnt vmcnt(0)
	v_cmp_eq_u64_e32 vcc_lo, 0, v[2:3]
	s_cbranch_vccnz .LBB6_136
; %bb.135:
	global_load_dword v0, v[0:1], off offset:24
	v_mov_b32_e32 v1, 0
	s_waitcnt vmcnt(0)
	v_and_b32_e32 v4, 0x7fffff, v0
	s_waitcnt_vscnt null, 0x0
	global_store_dwordx2 v[2:3], v[0:1], off
	v_readfirstlane_b32 m0, v4
	s_sendmsg sendmsg(MSG_INTERRUPT)
.LBB6_136:
	s_or_b32 exec_lo, exec_lo, s5
	s_branch .LBB6_140
	.p2align	6
.LBB6_137:                              ;   in Loop: Header=BB6_140 Depth=1
	s_or_b32 exec_lo, exec_lo, s5
	v_readfirstlane_b32 s5, v0
	s_cmp_eq_u32 s5, 0
	s_cbranch_scc1 .LBB6_139
; %bb.138:                              ;   in Loop: Header=BB6_140 Depth=1
	s_sleep 1
	s_cbranch_execnz .LBB6_140
	s_branch .LBB6_142
	.p2align	6
.LBB6_139:
	s_branch .LBB6_142
.LBB6_140:                              ; =>This Inner Loop Header: Depth=1
	v_mov_b32_e32 v0, 1
	s_and_saveexec_b32 s5, s4
	s_cbranch_execz .LBB6_137
; %bb.141:                              ;   in Loop: Header=BB6_140 Depth=1
	global_load_dword v0, v[8:9], off offset:20 glc dlc
	s_waitcnt vmcnt(0)
	buffer_gl1_inv
	buffer_gl0_inv
	v_and_b32_e32 v0, 1, v0
	s_branch .LBB6_137
.LBB6_142:
	global_load_dwordx2 v[0:1], v[10:11], off
	s_and_saveexec_b32 s5, s4
	s_cbranch_execz .LBB6_146
; %bb.143:
	v_mov_b32_e32 v8, 0
	s_clause 0x2
	global_load_dwordx2 v[4:5], v8, s[6:7] offset:40
	global_load_dwordx2 v[9:10], v8, s[6:7] offset:24 glc dlc
	global_load_dwordx2 v[6:7], v8, s[6:7]
	s_waitcnt vmcnt(2)
	v_add_co_u32 v11, vcc_lo, v4, 1
	v_add_co_ci_u32_e32 v12, vcc_lo, 0, v5, vcc_lo
	v_add_co_u32 v2, vcc_lo, v11, s10
	v_add_co_ci_u32_e32 v3, vcc_lo, s11, v12, vcc_lo
	v_cmp_eq_u64_e32 vcc_lo, 0, v[2:3]
	v_cndmask_b32_e32 v3, v3, v12, vcc_lo
	v_cndmask_b32_e32 v2, v2, v11, vcc_lo
	v_and_b32_e32 v5, v3, v5
	v_and_b32_e32 v4, v2, v4
	v_mul_lo_u32 v5, v5, 24
	v_mul_hi_u32 v11, v4, 24
	v_mul_lo_u32 v4, v4, 24
	v_add_nc_u32_e32 v5, v11, v5
	s_waitcnt vmcnt(0)
	v_add_co_u32 v6, vcc_lo, v6, v4
	v_mov_b32_e32 v4, v9
	v_add_co_ci_u32_e32 v7, vcc_lo, v7, v5, vcc_lo
	v_mov_b32_e32 v5, v10
	global_store_dwordx2 v[6:7], v[9:10], off
	s_waitcnt_vscnt null, 0x0
	global_atomic_cmpswap_x2 v[4:5], v8, v[2:5], s[6:7] offset:24 glc
	s_waitcnt vmcnt(0)
	v_cmp_ne_u64_e32 vcc_lo, v[4:5], v[9:10]
	s_and_b32 exec_lo, exec_lo, vcc_lo
	s_cbranch_execz .LBB6_146
; %bb.144:
	s_mov_b32 s4, 0
.LBB6_145:                              ; =>This Inner Loop Header: Depth=1
	s_sleep 1
	global_store_dwordx2 v[6:7], v[4:5], off
	s_waitcnt_vscnt null, 0x0
	global_atomic_cmpswap_x2 v[9:10], v8, v[2:5], s[6:7] offset:24 glc
	s_waitcnt vmcnt(0)
	v_cmp_eq_u64_e32 vcc_lo, v[9:10], v[4:5]
	v_mov_b32_e32 v4, v9
	v_mov_b32_e32 v5, v10
	s_or_b32 s4, vcc_lo, s4
	s_andn2_b32 exec_lo, exec_lo, s4
	s_cbranch_execnz .LBB6_145
.LBB6_146:
	s_or_b32 exec_lo, exec_lo, s5
.LBB6_147:
	s_getpc_b64 s[10:11]
	s_add_u32 s10, s10, __PRETTY_FUNCTION__._ZL17merge_interleavedRN8migraphx4test12test_managerE@rel32@lo+4
	s_addc_u32 s11, s11, __PRETTY_FUNCTION__._ZL17merge_interleavedRN8migraphx4test12test_managerE@rel32@hi+12
	s_cmp_lg_u64 s[10:11], 0
	s_cbranch_scc0 .LBB6_226
; %bb.148:
	s_waitcnt vmcnt(0)
	v_and_b32_e32 v6, -3, v0
	v_mov_b32_e32 v7, v1
	v_mov_b32_e32 v3, 0
	;; [unrolled: 1-line block ×4, first 2 shown]
	s_mov_b64 s[16:17], 55
	s_branch .LBB6_150
.LBB6_149:                              ;   in Loop: Header=BB6_150 Depth=1
	s_or_b32 exec_lo, exec_lo, s5
	s_sub_u32 s16, s16, s18
	s_subb_u32 s17, s17, s19
	s_add_u32 s10, s10, s18
	s_addc_u32 s11, s11, s19
	s_cmp_lg_u64 s[16:17], 0
	s_cbranch_scc0 .LBB6_225
.LBB6_150:                              ; =>This Loop Header: Depth=1
                                        ;     Child Loop BB6_159 Depth 2
                                        ;     Child Loop BB6_155 Depth 2
	;; [unrolled: 1-line block ×11, first 2 shown]
	v_cmp_lt_u64_e64 s4, s[16:17], 56
	v_cmp_gt_u64_e64 s5, s[16:17], 7
                                        ; implicit-def: $sgpr24
	s_and_b32 s4, s4, exec_lo
	s_cselect_b32 s19, s17, 0
	s_cselect_b32 s18, s16, 56
	s_and_b32 vcc_lo, exec_lo, s5
	s_mov_b32 s4, -1
	s_cbranch_vccz .LBB6_157
; %bb.151:                              ;   in Loop: Header=BB6_150 Depth=1
	s_andn2_b32 vcc_lo, exec_lo, s4
	s_mov_b64 s[4:5], s[10:11]
	s_cbranch_vccz .LBB6_161
.LBB6_152:                              ;   in Loop: Header=BB6_150 Depth=1
	s_cmp_gt_u32 s24, 7
	s_cbranch_scc1 .LBB6_162
.LBB6_153:                              ;   in Loop: Header=BB6_150 Depth=1
	v_mov_b32_e32 v10, 0
	v_mov_b32_e32 v11, 0
	s_cmp_eq_u32 s24, 0
	s_cbranch_scc1 .LBB6_156
; %bb.154:                              ;   in Loop: Header=BB6_150 Depth=1
	s_mov_b64 s[20:21], 0
	s_mov_b64 s[22:23], 0
.LBB6_155:                              ;   Parent Loop BB6_150 Depth=1
                                        ; =>  This Inner Loop Header: Depth=2
	s_add_u32 s26, s4, s22
	s_addc_u32 s27, s5, s23
	s_add_u32 s22, s22, 1
	global_load_ubyte v2, v3, s[26:27]
	s_addc_u32 s23, s23, 0
	s_waitcnt vmcnt(0)
	v_and_b32_e32 v2, 0xffff, v2
	v_lshlrev_b64 v[12:13], s20, v[2:3]
	s_add_u32 s20, s20, 8
	s_addc_u32 s21, s21, 0
	s_cmp_lg_u32 s24, s22
	v_or_b32_e32 v10, v12, v10
	v_or_b32_e32 v11, v13, v11
	s_cbranch_scc1 .LBB6_155
.LBB6_156:                              ;   in Loop: Header=BB6_150 Depth=1
	s_mov_b32 s25, 0
	s_cbranch_execz .LBB6_163
	s_branch .LBB6_164
.LBB6_157:                              ;   in Loop: Header=BB6_150 Depth=1
	s_waitcnt vmcnt(0)
	v_mov_b32_e32 v8, 0
	v_mov_b32_e32 v9, 0
	s_cmp_eq_u64 s[16:17], 0
	s_mov_b64 s[4:5], 0
	s_cbranch_scc1 .LBB6_160
; %bb.158:                              ;   in Loop: Header=BB6_150 Depth=1
	v_mov_b32_e32 v8, 0
	v_mov_b32_e32 v9, 0
	s_lshl_b64 s[20:21], s[18:19], 3
	s_mov_b64 s[22:23], s[10:11]
.LBB6_159:                              ;   Parent Loop BB6_150 Depth=1
                                        ; =>  This Inner Loop Header: Depth=2
	global_load_ubyte v2, v3, s[22:23]
	s_waitcnt vmcnt(0)
	v_and_b32_e32 v2, 0xffff, v2
	v_lshlrev_b64 v[10:11], s4, v[2:3]
	s_add_u32 s4, s4, 8
	s_addc_u32 s5, s5, 0
	s_add_u32 s22, s22, 1
	s_addc_u32 s23, s23, 0
	s_cmp_lg_u32 s20, s4
	v_or_b32_e32 v8, v10, v8
	v_or_b32_e32 v9, v11, v9
	s_cbranch_scc1 .LBB6_159
.LBB6_160:                              ;   in Loop: Header=BB6_150 Depth=1
	s_mov_b32 s24, 0
	s_mov_b64 s[4:5], s[10:11]
	s_cbranch_execnz .LBB6_152
.LBB6_161:                              ;   in Loop: Header=BB6_150 Depth=1
	global_load_dwordx2 v[8:9], v3, s[10:11]
	s_add_i32 s24, s18, -8
	s_add_u32 s4, s10, 8
	s_addc_u32 s5, s11, 0
	s_cmp_gt_u32 s24, 7
	s_cbranch_scc0 .LBB6_153
.LBB6_162:                              ;   in Loop: Header=BB6_150 Depth=1
                                        ; implicit-def: $vgpr10_vgpr11
                                        ; implicit-def: $sgpr25
.LBB6_163:                              ;   in Loop: Header=BB6_150 Depth=1
	global_load_dwordx2 v[10:11], v3, s[4:5]
	s_add_i32 s25, s24, -8
	s_add_u32 s4, s4, 8
	s_addc_u32 s5, s5, 0
.LBB6_164:                              ;   in Loop: Header=BB6_150 Depth=1
	s_cmp_gt_u32 s25, 7
	s_cbranch_scc1 .LBB6_169
; %bb.165:                              ;   in Loop: Header=BB6_150 Depth=1
	v_mov_b32_e32 v12, 0
	v_mov_b32_e32 v13, 0
	s_cmp_eq_u32 s25, 0
	s_cbranch_scc1 .LBB6_168
; %bb.166:                              ;   in Loop: Header=BB6_150 Depth=1
	s_mov_b64 s[20:21], 0
	s_mov_b64 s[22:23], 0
.LBB6_167:                              ;   Parent Loop BB6_150 Depth=1
                                        ; =>  This Inner Loop Header: Depth=2
	s_add_u32 s26, s4, s22
	s_addc_u32 s27, s5, s23
	s_add_u32 s22, s22, 1
	global_load_ubyte v2, v3, s[26:27]
	s_addc_u32 s23, s23, 0
	s_waitcnt vmcnt(0)
	v_and_b32_e32 v2, 0xffff, v2
	v_lshlrev_b64 v[14:15], s20, v[2:3]
	s_add_u32 s20, s20, 8
	s_addc_u32 s21, s21, 0
	s_cmp_lg_u32 s25, s22
	v_or_b32_e32 v12, v14, v12
	v_or_b32_e32 v13, v15, v13
	s_cbranch_scc1 .LBB6_167
.LBB6_168:                              ;   in Loop: Header=BB6_150 Depth=1
	s_mov_b32 s24, 0
	s_cbranch_execz .LBB6_170
	s_branch .LBB6_171
.LBB6_169:                              ;   in Loop: Header=BB6_150 Depth=1
                                        ; implicit-def: $sgpr24
.LBB6_170:                              ;   in Loop: Header=BB6_150 Depth=1
	global_load_dwordx2 v[12:13], v3, s[4:5]
	s_add_i32 s24, s25, -8
	s_add_u32 s4, s4, 8
	s_addc_u32 s5, s5, 0
.LBB6_171:                              ;   in Loop: Header=BB6_150 Depth=1
	s_cmp_gt_u32 s24, 7
	s_cbranch_scc1 .LBB6_176
; %bb.172:                              ;   in Loop: Header=BB6_150 Depth=1
	v_mov_b32_e32 v14, 0
	v_mov_b32_e32 v15, 0
	s_cmp_eq_u32 s24, 0
	s_cbranch_scc1 .LBB6_175
; %bb.173:                              ;   in Loop: Header=BB6_150 Depth=1
	s_mov_b64 s[20:21], 0
	s_mov_b64 s[22:23], 0
.LBB6_174:                              ;   Parent Loop BB6_150 Depth=1
                                        ; =>  This Inner Loop Header: Depth=2
	s_add_u32 s26, s4, s22
	s_addc_u32 s27, s5, s23
	s_add_u32 s22, s22, 1
	global_load_ubyte v2, v3, s[26:27]
	s_addc_u32 s23, s23, 0
	s_waitcnt vmcnt(0)
	v_and_b32_e32 v2, 0xffff, v2
	v_lshlrev_b64 v[16:17], s20, v[2:3]
	s_add_u32 s20, s20, 8
	s_addc_u32 s21, s21, 0
	s_cmp_lg_u32 s24, s22
	v_or_b32_e32 v14, v16, v14
	v_or_b32_e32 v15, v17, v15
	s_cbranch_scc1 .LBB6_174
.LBB6_175:                              ;   in Loop: Header=BB6_150 Depth=1
	s_mov_b32 s25, 0
	s_cbranch_execz .LBB6_177
	s_branch .LBB6_178
.LBB6_176:                              ;   in Loop: Header=BB6_150 Depth=1
                                        ; implicit-def: $vgpr14_vgpr15
                                        ; implicit-def: $sgpr25
.LBB6_177:                              ;   in Loop: Header=BB6_150 Depth=1
	global_load_dwordx2 v[14:15], v3, s[4:5]
	s_add_i32 s25, s24, -8
	s_add_u32 s4, s4, 8
	s_addc_u32 s5, s5, 0
.LBB6_178:                              ;   in Loop: Header=BB6_150 Depth=1
	s_cmp_gt_u32 s25, 7
	s_cbranch_scc1 .LBB6_183
; %bb.179:                              ;   in Loop: Header=BB6_150 Depth=1
	v_mov_b32_e32 v16, 0
	v_mov_b32_e32 v17, 0
	s_cmp_eq_u32 s25, 0
	s_cbranch_scc1 .LBB6_182
; %bb.180:                              ;   in Loop: Header=BB6_150 Depth=1
	s_mov_b64 s[20:21], 0
	s_mov_b64 s[22:23], 0
.LBB6_181:                              ;   Parent Loop BB6_150 Depth=1
                                        ; =>  This Inner Loop Header: Depth=2
	s_add_u32 s26, s4, s22
	s_addc_u32 s27, s5, s23
	s_add_u32 s22, s22, 1
	global_load_ubyte v2, v3, s[26:27]
	s_addc_u32 s23, s23, 0
	s_waitcnt vmcnt(0)
	v_and_b32_e32 v2, 0xffff, v2
	v_lshlrev_b64 v[18:19], s20, v[2:3]
	s_add_u32 s20, s20, 8
	s_addc_u32 s21, s21, 0
	s_cmp_lg_u32 s25, s22
	v_or_b32_e32 v16, v18, v16
	v_or_b32_e32 v17, v19, v17
	s_cbranch_scc1 .LBB6_181
.LBB6_182:                              ;   in Loop: Header=BB6_150 Depth=1
	s_mov_b32 s24, 0
	s_cbranch_execz .LBB6_184
	s_branch .LBB6_185
.LBB6_183:                              ;   in Loop: Header=BB6_150 Depth=1
                                        ; implicit-def: $sgpr24
.LBB6_184:                              ;   in Loop: Header=BB6_150 Depth=1
	global_load_dwordx2 v[16:17], v3, s[4:5]
	s_add_i32 s24, s25, -8
	s_add_u32 s4, s4, 8
	s_addc_u32 s5, s5, 0
.LBB6_185:                              ;   in Loop: Header=BB6_150 Depth=1
	s_cmp_gt_u32 s24, 7
	s_cbranch_scc1 .LBB6_190
; %bb.186:                              ;   in Loop: Header=BB6_150 Depth=1
	v_mov_b32_e32 v18, 0
	v_mov_b32_e32 v19, 0
	s_cmp_eq_u32 s24, 0
	s_cbranch_scc1 .LBB6_189
; %bb.187:                              ;   in Loop: Header=BB6_150 Depth=1
	s_mov_b64 s[20:21], 0
	s_mov_b64 s[22:23], 0
.LBB6_188:                              ;   Parent Loop BB6_150 Depth=1
                                        ; =>  This Inner Loop Header: Depth=2
	s_add_u32 s26, s4, s22
	s_addc_u32 s27, s5, s23
	s_add_u32 s22, s22, 1
	global_load_ubyte v2, v3, s[26:27]
	s_addc_u32 s23, s23, 0
	s_waitcnt vmcnt(0)
	v_and_b32_e32 v2, 0xffff, v2
	v_lshlrev_b64 v[20:21], s20, v[2:3]
	s_add_u32 s20, s20, 8
	s_addc_u32 s21, s21, 0
	s_cmp_lg_u32 s24, s22
	v_or_b32_e32 v18, v20, v18
	v_or_b32_e32 v19, v21, v19
	s_cbranch_scc1 .LBB6_188
.LBB6_189:                              ;   in Loop: Header=BB6_150 Depth=1
	s_mov_b32 s25, 0
	s_cbranch_execz .LBB6_191
	s_branch .LBB6_192
.LBB6_190:                              ;   in Loop: Header=BB6_150 Depth=1
                                        ; implicit-def: $vgpr18_vgpr19
                                        ; implicit-def: $sgpr25
.LBB6_191:                              ;   in Loop: Header=BB6_150 Depth=1
	global_load_dwordx2 v[18:19], v3, s[4:5]
	s_add_i32 s25, s24, -8
	s_add_u32 s4, s4, 8
	s_addc_u32 s5, s5, 0
.LBB6_192:                              ;   in Loop: Header=BB6_150 Depth=1
	s_cmp_gt_u32 s25, 7
	s_cbranch_scc1 .LBB6_197
; %bb.193:                              ;   in Loop: Header=BB6_150 Depth=1
	v_mov_b32_e32 v20, 0
	v_mov_b32_e32 v21, 0
	s_cmp_eq_u32 s25, 0
	s_cbranch_scc1 .LBB6_196
; %bb.194:                              ;   in Loop: Header=BB6_150 Depth=1
	s_mov_b64 s[20:21], 0
	s_mov_b64 s[22:23], s[4:5]
.LBB6_195:                              ;   Parent Loop BB6_150 Depth=1
                                        ; =>  This Inner Loop Header: Depth=2
	global_load_ubyte v2, v3, s[22:23]
	s_add_i32 s25, s25, -1
	s_waitcnt vmcnt(0)
	v_and_b32_e32 v2, 0xffff, v2
	v_lshlrev_b64 v[22:23], s20, v[2:3]
	s_add_u32 s20, s20, 8
	s_addc_u32 s21, s21, 0
	s_add_u32 s22, s22, 1
	s_addc_u32 s23, s23, 0
	s_cmp_lg_u32 s25, 0
	v_or_b32_e32 v20, v22, v20
	v_or_b32_e32 v21, v23, v21
	s_cbranch_scc1 .LBB6_195
.LBB6_196:                              ;   in Loop: Header=BB6_150 Depth=1
	s_cbranch_execz .LBB6_198
	s_branch .LBB6_199
.LBB6_197:                              ;   in Loop: Header=BB6_150 Depth=1
.LBB6_198:                              ;   in Loop: Header=BB6_150 Depth=1
	global_load_dwordx2 v[20:21], v3, s[4:5]
.LBB6_199:                              ;   in Loop: Header=BB6_150 Depth=1
	v_readfirstlane_b32 s4, v32
	v_mov_b32_e32 v26, 0
	v_mov_b32_e32 v27, 0
	v_cmp_eq_u32_e64 s4, s4, v32
	s_and_saveexec_b32 s5, s4
	s_cbranch_execz .LBB6_205
; %bb.200:                              ;   in Loop: Header=BB6_150 Depth=1
	global_load_dwordx2 v[24:25], v3, s[6:7] offset:24 glc dlc
	s_waitcnt vmcnt(0)
	buffer_gl1_inv
	buffer_gl0_inv
	s_clause 0x1
	global_load_dwordx2 v[22:23], v3, s[6:7] offset:40
	global_load_dwordx2 v[26:27], v3, s[6:7]
	s_mov_b32 s20, exec_lo
	s_waitcnt vmcnt(1)
	v_and_b32_e32 v2, v23, v25
	v_and_b32_e32 v22, v22, v24
	v_mul_lo_u32 v2, v2, 24
	v_mul_hi_u32 v23, v22, 24
	v_mul_lo_u32 v22, v22, 24
	v_add_nc_u32_e32 v2, v23, v2
	s_waitcnt vmcnt(0)
	v_add_co_u32 v22, vcc_lo, v26, v22
	v_add_co_ci_u32_e32 v23, vcc_lo, v27, v2, vcc_lo
	global_load_dwordx2 v[22:23], v[22:23], off glc dlc
	s_waitcnt vmcnt(0)
	global_atomic_cmpswap_x2 v[26:27], v3, v[22:25], s[6:7] offset:24 glc
	s_waitcnt vmcnt(0)
	buffer_gl1_inv
	buffer_gl0_inv
	v_cmpx_ne_u64_e64 v[26:27], v[24:25]
	s_cbranch_execz .LBB6_204
; %bb.201:                              ;   in Loop: Header=BB6_150 Depth=1
	s_mov_b32 s21, 0
	.p2align	6
.LBB6_202:                              ;   Parent Loop BB6_150 Depth=1
                                        ; =>  This Inner Loop Header: Depth=2
	s_sleep 1
	s_clause 0x1
	global_load_dwordx2 v[22:23], v3, s[6:7] offset:40
	global_load_dwordx2 v[28:29], v3, s[6:7]
	v_mov_b32_e32 v24, v26
	v_mov_b32_e32 v25, v27
	s_waitcnt vmcnt(1)
	v_and_b32_e32 v2, v22, v24
	v_and_b32_e32 v22, v23, v25
	s_waitcnt vmcnt(0)
	v_mad_u64_u32 v[26:27], null, v2, 24, v[28:29]
	v_mov_b32_e32 v2, v27
	v_mad_u64_u32 v[22:23], null, v22, 24, v[2:3]
	v_mov_b32_e32 v27, v22
	global_load_dwordx2 v[22:23], v[26:27], off glc dlc
	s_waitcnt vmcnt(0)
	global_atomic_cmpswap_x2 v[26:27], v3, v[22:25], s[6:7] offset:24 glc
	s_waitcnt vmcnt(0)
	buffer_gl1_inv
	buffer_gl0_inv
	v_cmp_eq_u64_e32 vcc_lo, v[26:27], v[24:25]
	s_or_b32 s21, vcc_lo, s21
	s_andn2_b32 exec_lo, exec_lo, s21
	s_cbranch_execnz .LBB6_202
; %bb.203:                              ;   in Loop: Header=BB6_150 Depth=1
	s_or_b32 exec_lo, exec_lo, s21
.LBB6_204:                              ;   in Loop: Header=BB6_150 Depth=1
	s_or_b32 exec_lo, exec_lo, s20
.LBB6_205:                              ;   in Loop: Header=BB6_150 Depth=1
	s_or_b32 exec_lo, exec_lo, s5
	s_clause 0x1
	global_load_dwordx2 v[28:29], v3, s[6:7] offset:40
	global_load_dwordx4 v[22:25], v3, s[6:7]
	v_readfirstlane_b32 s20, v26
	v_readfirstlane_b32 s21, v27
	s_mov_b32 s5, exec_lo
	s_waitcnt vmcnt(1)
	v_readfirstlane_b32 s22, v28
	v_readfirstlane_b32 s23, v29
	s_and_b64 s[22:23], s[20:21], s[22:23]
	s_mul_i32 s24, s23, 24
	s_mul_hi_u32 s25, s22, 24
	s_mul_i32 s26, s22, 24
	s_add_i32 s25, s25, s24
	s_waitcnt vmcnt(0)
	v_add_co_u32 v26, vcc_lo, v22, s26
	v_add_co_ci_u32_e32 v27, vcc_lo, s25, v23, vcc_lo
	s_and_saveexec_b32 s24, s4
	s_cbranch_execz .LBB6_207
; %bb.206:                              ;   in Loop: Header=BB6_150 Depth=1
	v_mov_b32_e32 v2, s5
	global_store_dwordx4 v[26:27], v[2:5], off offset:8
.LBB6_207:                              ;   in Loop: Header=BB6_150 Depth=1
	s_or_b32 exec_lo, exec_lo, s24
	s_lshl_b64 s[22:23], s[22:23], 12
	v_or_b32_e32 v2, 2, v6
	v_add_co_u32 v24, vcc_lo, v24, s22
	v_add_co_ci_u32_e32 v25, vcc_lo, s23, v25, vcc_lo
	v_cmp_gt_u64_e64 vcc_lo, s[16:17], 56
	s_lshl_b32 s5, s18, 2
	v_readfirstlane_b32 s22, v24
	s_add_i32 s5, s5, 28
	v_readfirstlane_b32 s23, v25
	s_and_b32 s5, s5, 0x1e0
	v_cndmask_b32_e32 v2, v2, v6, vcc_lo
	v_and_or_b32 v6, 0xffffff1f, v2, s5
	global_store_dwordx4 v31, v[10:13], s[22:23] offset:16
	global_store_dwordx4 v31, v[6:9], s[22:23]
	global_store_dwordx4 v31, v[14:17], s[22:23] offset:32
	global_store_dwordx4 v31, v[18:21], s[22:23] offset:48
	s_and_saveexec_b32 s5, s4
	s_cbranch_execz .LBB6_215
; %bb.208:                              ;   in Loop: Header=BB6_150 Depth=1
	s_clause 0x1
	global_load_dwordx2 v[14:15], v3, s[6:7] offset:32 glc dlc
	global_load_dwordx2 v[6:7], v3, s[6:7] offset:40
	v_mov_b32_e32 v12, s20
	v_mov_b32_e32 v13, s21
	s_waitcnt vmcnt(0)
	v_readfirstlane_b32 s22, v6
	v_readfirstlane_b32 s23, v7
	s_and_b64 s[22:23], s[22:23], s[20:21]
	s_mul_i32 s23, s23, 24
	s_mul_hi_u32 s24, s22, 24
	s_mul_i32 s22, s22, 24
	s_add_i32 s24, s24, s23
	v_add_co_u32 v10, vcc_lo, v22, s22
	v_add_co_ci_u32_e32 v11, vcc_lo, s24, v23, vcc_lo
	s_mov_b32 s22, exec_lo
	global_store_dwordx2 v[10:11], v[14:15], off
	s_waitcnt_vscnt null, 0x0
	global_atomic_cmpswap_x2 v[8:9], v3, v[12:15], s[6:7] offset:32 glc
	s_waitcnt vmcnt(0)
	v_cmpx_ne_u64_e64 v[8:9], v[14:15]
	s_cbranch_execz .LBB6_211
; %bb.209:                              ;   in Loop: Header=BB6_150 Depth=1
	s_mov_b32 s23, 0
.LBB6_210:                              ;   Parent Loop BB6_150 Depth=1
                                        ; =>  This Inner Loop Header: Depth=2
	v_mov_b32_e32 v6, s20
	v_mov_b32_e32 v7, s21
	s_sleep 1
	global_store_dwordx2 v[10:11], v[8:9], off
	s_waitcnt_vscnt null, 0x0
	global_atomic_cmpswap_x2 v[6:7], v3, v[6:9], s[6:7] offset:32 glc
	s_waitcnt vmcnt(0)
	v_cmp_eq_u64_e32 vcc_lo, v[6:7], v[8:9]
	v_mov_b32_e32 v9, v7
	v_mov_b32_e32 v8, v6
	s_or_b32 s23, vcc_lo, s23
	s_andn2_b32 exec_lo, exec_lo, s23
	s_cbranch_execnz .LBB6_210
.LBB6_211:                              ;   in Loop: Header=BB6_150 Depth=1
	s_or_b32 exec_lo, exec_lo, s22
	global_load_dwordx2 v[6:7], v3, s[6:7] offset:16
	s_mov_b32 s23, exec_lo
	s_mov_b32 s22, exec_lo
	v_mbcnt_lo_u32_b32 v2, s23, 0
	v_cmpx_eq_u32_e32 0, v2
	s_cbranch_execz .LBB6_213
; %bb.212:                              ;   in Loop: Header=BB6_150 Depth=1
	s_bcnt1_i32_b32 s23, s23
	v_mov_b32_e32 v2, s23
	s_waitcnt vmcnt(0)
	global_atomic_add_x2 v[6:7], v[2:3], off offset:8
.LBB6_213:                              ;   in Loop: Header=BB6_150 Depth=1
	s_or_b32 exec_lo, exec_lo, s22
	s_waitcnt vmcnt(0)
	global_load_dwordx2 v[8:9], v[6:7], off offset:16
	s_waitcnt vmcnt(0)
	v_cmp_eq_u64_e32 vcc_lo, 0, v[8:9]
	s_cbranch_vccnz .LBB6_215
; %bb.214:                              ;   in Loop: Header=BB6_150 Depth=1
	global_load_dword v2, v[6:7], off offset:24
	s_waitcnt vmcnt(0)
	v_and_b32_e32 v6, 0x7fffff, v2
	s_waitcnt_vscnt null, 0x0
	global_store_dwordx2 v[8:9], v[2:3], off
	v_readfirstlane_b32 m0, v6
	s_sendmsg sendmsg(MSG_INTERRUPT)
.LBB6_215:                              ;   in Loop: Header=BB6_150 Depth=1
	s_or_b32 exec_lo, exec_lo, s5
	v_add_co_u32 v6, vcc_lo, v24, v31
	v_add_co_ci_u32_e32 v7, vcc_lo, 0, v25, vcc_lo
	s_branch .LBB6_219
	.p2align	6
.LBB6_216:                              ;   in Loop: Header=BB6_219 Depth=2
	s_or_b32 exec_lo, exec_lo, s5
	v_readfirstlane_b32 s5, v2
	s_cmp_eq_u32 s5, 0
	s_cbranch_scc1 .LBB6_218
; %bb.217:                              ;   in Loop: Header=BB6_219 Depth=2
	s_sleep 1
	s_cbranch_execnz .LBB6_219
	s_branch .LBB6_221
	.p2align	6
.LBB6_218:                              ;   in Loop: Header=BB6_150 Depth=1
	s_branch .LBB6_221
.LBB6_219:                              ;   Parent Loop BB6_150 Depth=1
                                        ; =>  This Inner Loop Header: Depth=2
	v_mov_b32_e32 v2, 1
	s_and_saveexec_b32 s5, s4
	s_cbranch_execz .LBB6_216
; %bb.220:                              ;   in Loop: Header=BB6_219 Depth=2
	global_load_dword v2, v[26:27], off offset:20 glc dlc
	s_waitcnt vmcnt(0)
	buffer_gl1_inv
	buffer_gl0_inv
	v_and_b32_e32 v2, 1, v2
	s_branch .LBB6_216
.LBB6_221:                              ;   in Loop: Header=BB6_150 Depth=1
	global_load_dwordx4 v[6:9], v[6:7], off
	s_and_saveexec_b32 s5, s4
	s_cbranch_execz .LBB6_149
; %bb.222:                              ;   in Loop: Header=BB6_150 Depth=1
	s_clause 0x2
	global_load_dwordx2 v[10:11], v3, s[6:7] offset:40
	global_load_dwordx2 v[14:15], v3, s[6:7] offset:24 glc dlc
	global_load_dwordx2 v[12:13], v3, s[6:7]
	s_waitcnt vmcnt(2)
	v_add_co_u32 v2, vcc_lo, v10, 1
	v_add_co_ci_u32_e32 v16, vcc_lo, 0, v11, vcc_lo
	v_add_co_u32 v8, vcc_lo, v2, s20
	v_add_co_ci_u32_e32 v9, vcc_lo, s21, v16, vcc_lo
	v_cmp_eq_u64_e32 vcc_lo, 0, v[8:9]
	v_cndmask_b32_e32 v9, v9, v16, vcc_lo
	v_cndmask_b32_e32 v8, v8, v2, vcc_lo
	v_and_b32_e32 v2, v9, v11
	v_and_b32_e32 v10, v8, v10
	v_mul_lo_u32 v2, v2, 24
	v_mul_hi_u32 v11, v10, 24
	v_mul_lo_u32 v10, v10, 24
	v_add_nc_u32_e32 v2, v11, v2
	s_waitcnt vmcnt(0)
	v_add_co_u32 v12, vcc_lo, v12, v10
	v_mov_b32_e32 v10, v14
	v_mov_b32_e32 v11, v15
	v_add_co_ci_u32_e32 v13, vcc_lo, v13, v2, vcc_lo
	global_store_dwordx2 v[12:13], v[14:15], off
	s_waitcnt_vscnt null, 0x0
	global_atomic_cmpswap_x2 v[10:11], v3, v[8:11], s[6:7] offset:24 glc
	s_waitcnt vmcnt(0)
	v_cmp_ne_u64_e32 vcc_lo, v[10:11], v[14:15]
	s_and_b32 exec_lo, exec_lo, vcc_lo
	s_cbranch_execz .LBB6_149
; %bb.223:                              ;   in Loop: Header=BB6_150 Depth=1
	s_mov_b32 s4, 0
.LBB6_224:                              ;   Parent Loop BB6_150 Depth=1
                                        ; =>  This Inner Loop Header: Depth=2
	s_sleep 1
	global_store_dwordx2 v[12:13], v[10:11], off
	s_waitcnt_vscnt null, 0x0
	global_atomic_cmpswap_x2 v[14:15], v3, v[8:11], s[6:7] offset:24 glc
	s_waitcnt vmcnt(0)
	v_cmp_eq_u64_e32 vcc_lo, v[14:15], v[10:11]
	v_mov_b32_e32 v10, v14
	v_mov_b32_e32 v11, v15
	s_or_b32 s4, vcc_lo, s4
	s_andn2_b32 exec_lo, exec_lo, s4
	s_cbranch_execnz .LBB6_224
	s_branch .LBB6_149
.LBB6_225:
	s_branch .LBB6_254
.LBB6_226:
	s_cbranch_execz .LBB6_254
; %bb.227:
	v_readfirstlane_b32 s4, v32
	s_waitcnt vmcnt(0)
	v_mov_b32_e32 v8, 0
	v_mov_b32_e32 v9, 0
	v_cmp_eq_u32_e64 s4, s4, v32
	s_and_saveexec_b32 s5, s4
	s_cbranch_execz .LBB6_233
; %bb.228:
	v_mov_b32_e32 v2, 0
	s_mov_b32 s10, exec_lo
	global_load_dwordx2 v[5:6], v2, s[6:7] offset:24 glc dlc
	s_waitcnt vmcnt(0)
	buffer_gl1_inv
	buffer_gl0_inv
	s_clause 0x1
	global_load_dwordx2 v[3:4], v2, s[6:7] offset:40
	global_load_dwordx2 v[7:8], v2, s[6:7]
	s_waitcnt vmcnt(1)
	v_and_b32_e32 v4, v4, v6
	v_and_b32_e32 v3, v3, v5
	v_mul_lo_u32 v4, v4, 24
	v_mul_hi_u32 v9, v3, 24
	v_mul_lo_u32 v3, v3, 24
	v_add_nc_u32_e32 v4, v9, v4
	s_waitcnt vmcnt(0)
	v_add_co_u32 v3, vcc_lo, v7, v3
	v_add_co_ci_u32_e32 v4, vcc_lo, v8, v4, vcc_lo
	global_load_dwordx2 v[3:4], v[3:4], off glc dlc
	s_waitcnt vmcnt(0)
	global_atomic_cmpswap_x2 v[8:9], v2, v[3:6], s[6:7] offset:24 glc
	s_waitcnt vmcnt(0)
	buffer_gl1_inv
	buffer_gl0_inv
	v_cmpx_ne_u64_e64 v[8:9], v[5:6]
	s_cbranch_execz .LBB6_232
; %bb.229:
	s_mov_b32 s11, 0
	.p2align	6
.LBB6_230:                              ; =>This Inner Loop Header: Depth=1
	s_sleep 1
	s_clause 0x1
	global_load_dwordx2 v[3:4], v2, s[6:7] offset:40
	global_load_dwordx2 v[10:11], v2, s[6:7]
	v_mov_b32_e32 v5, v8
	v_mov_b32_e32 v6, v9
	s_waitcnt vmcnt(1)
	v_and_b32_e32 v3, v3, v5
	v_and_b32_e32 v4, v4, v6
	s_waitcnt vmcnt(0)
	v_mad_u64_u32 v[7:8], null, v3, 24, v[10:11]
	v_mov_b32_e32 v3, v8
	v_mad_u64_u32 v[3:4], null, v4, 24, v[3:4]
	v_mov_b32_e32 v8, v3
	global_load_dwordx2 v[3:4], v[7:8], off glc dlc
	s_waitcnt vmcnt(0)
	global_atomic_cmpswap_x2 v[8:9], v2, v[3:6], s[6:7] offset:24 glc
	s_waitcnt vmcnt(0)
	buffer_gl1_inv
	buffer_gl0_inv
	v_cmp_eq_u64_e32 vcc_lo, v[8:9], v[5:6]
	s_or_b32 s11, vcc_lo, s11
	s_andn2_b32 exec_lo, exec_lo, s11
	s_cbranch_execnz .LBB6_230
; %bb.231:
	s_or_b32 exec_lo, exec_lo, s11
.LBB6_232:
	s_or_b32 exec_lo, exec_lo, s10
.LBB6_233:
	s_or_b32 exec_lo, exec_lo, s5
	v_mov_b32_e32 v2, 0
	v_readfirstlane_b32 s10, v8
	v_readfirstlane_b32 s11, v9
	s_mov_b32 s5, exec_lo
	s_clause 0x1
	global_load_dwordx2 v[10:11], v2, s[6:7] offset:40
	global_load_dwordx4 v[4:7], v2, s[6:7]
	s_waitcnt vmcnt(1)
	v_readfirstlane_b32 s16, v10
	v_readfirstlane_b32 s17, v11
	s_and_b64 s[16:17], s[10:11], s[16:17]
	s_mul_i32 s18, s17, 24
	s_mul_hi_u32 s19, s16, 24
	s_mul_i32 s20, s16, 24
	s_add_i32 s19, s19, s18
	s_waitcnt vmcnt(0)
	v_add_co_u32 v8, vcc_lo, v4, s20
	v_add_co_ci_u32_e32 v9, vcc_lo, s19, v5, vcc_lo
	s_and_saveexec_b32 s18, s4
	s_cbranch_execz .LBB6_235
; %bb.234:
	v_mov_b32_e32 v10, s5
	v_mov_b32_e32 v11, v2
	;; [unrolled: 1-line block ×4, first 2 shown]
	global_store_dwordx4 v[8:9], v[10:13], off offset:8
.LBB6_235:
	s_or_b32 exec_lo, exec_lo, s18
	s_lshl_b64 s[16:17], s[16:17], 12
	v_and_or_b32 v0, 0xffffff1d, v0, 34
	v_add_co_u32 v6, vcc_lo, v6, s16
	v_add_co_ci_u32_e32 v7, vcc_lo, s17, v7, vcc_lo
	s_mov_b32 s16, 0
	v_mov_b32_e32 v3, v2
	s_mov_b32 s17, s16
	s_mov_b32 s18, s16
	;; [unrolled: 1-line block ×3, first 2 shown]
	v_readfirstlane_b32 s20, v6
	v_readfirstlane_b32 s21, v7
	v_mov_b32_e32 v10, s16
	v_mov_b32_e32 v11, s17
	;; [unrolled: 1-line block ×4, first 2 shown]
	global_store_dwordx4 v31, v[0:3], s[20:21]
	global_store_dwordx4 v31, v[10:13], s[20:21] offset:16
	global_store_dwordx4 v31, v[10:13], s[20:21] offset:32
	;; [unrolled: 1-line block ×3, first 2 shown]
	s_and_saveexec_b32 s5, s4
	s_cbranch_execz .LBB6_243
; %bb.236:
	v_mov_b32_e32 v6, 0
	v_mov_b32_e32 v10, s10
	;; [unrolled: 1-line block ×3, first 2 shown]
	s_clause 0x1
	global_load_dwordx2 v[12:13], v6, s[6:7] offset:32 glc dlc
	global_load_dwordx2 v[0:1], v6, s[6:7] offset:40
	s_waitcnt vmcnt(0)
	v_readfirstlane_b32 s16, v0
	v_readfirstlane_b32 s17, v1
	s_and_b64 s[16:17], s[16:17], s[10:11]
	s_mul_i32 s17, s17, 24
	s_mul_hi_u32 s18, s16, 24
	s_mul_i32 s16, s16, 24
	s_add_i32 s18, s18, s17
	v_add_co_u32 v4, vcc_lo, v4, s16
	v_add_co_ci_u32_e32 v5, vcc_lo, s18, v5, vcc_lo
	s_mov_b32 s16, exec_lo
	global_store_dwordx2 v[4:5], v[12:13], off
	s_waitcnt_vscnt null, 0x0
	global_atomic_cmpswap_x2 v[2:3], v6, v[10:13], s[6:7] offset:32 glc
	s_waitcnt vmcnt(0)
	v_cmpx_ne_u64_e64 v[2:3], v[12:13]
	s_cbranch_execz .LBB6_239
; %bb.237:
	s_mov_b32 s17, 0
.LBB6_238:                              ; =>This Inner Loop Header: Depth=1
	v_mov_b32_e32 v0, s10
	v_mov_b32_e32 v1, s11
	s_sleep 1
	global_store_dwordx2 v[4:5], v[2:3], off
	s_waitcnt_vscnt null, 0x0
	global_atomic_cmpswap_x2 v[0:1], v6, v[0:3], s[6:7] offset:32 glc
	s_waitcnt vmcnt(0)
	v_cmp_eq_u64_e32 vcc_lo, v[0:1], v[2:3]
	v_mov_b32_e32 v3, v1
	v_mov_b32_e32 v2, v0
	s_or_b32 s17, vcc_lo, s17
	s_andn2_b32 exec_lo, exec_lo, s17
	s_cbranch_execnz .LBB6_238
.LBB6_239:
	s_or_b32 exec_lo, exec_lo, s16
	v_mov_b32_e32 v3, 0
	s_mov_b32 s17, exec_lo
	s_mov_b32 s16, exec_lo
	v_mbcnt_lo_u32_b32 v2, s17, 0
	global_load_dwordx2 v[0:1], v3, s[6:7] offset:16
	v_cmpx_eq_u32_e32 0, v2
	s_cbranch_execz .LBB6_241
; %bb.240:
	s_bcnt1_i32_b32 s17, s17
	v_mov_b32_e32 v2, s17
	s_waitcnt vmcnt(0)
	global_atomic_add_x2 v[0:1], v[2:3], off offset:8
.LBB6_241:
	s_or_b32 exec_lo, exec_lo, s16
	s_waitcnt vmcnt(0)
	global_load_dwordx2 v[2:3], v[0:1], off offset:16
	s_waitcnt vmcnt(0)
	v_cmp_eq_u64_e32 vcc_lo, 0, v[2:3]
	s_cbranch_vccnz .LBB6_243
; %bb.242:
	global_load_dword v0, v[0:1], off offset:24
	v_mov_b32_e32 v1, 0
	s_waitcnt vmcnt(0)
	v_and_b32_e32 v4, 0x7fffff, v0
	s_waitcnt_vscnt null, 0x0
	global_store_dwordx2 v[2:3], v[0:1], off
	v_readfirstlane_b32 m0, v4
	s_sendmsg sendmsg(MSG_INTERRUPT)
.LBB6_243:
	s_or_b32 exec_lo, exec_lo, s5
	s_branch .LBB6_247
	.p2align	6
.LBB6_244:                              ;   in Loop: Header=BB6_247 Depth=1
	s_or_b32 exec_lo, exec_lo, s5
	v_readfirstlane_b32 s5, v0
	s_cmp_eq_u32 s5, 0
	s_cbranch_scc1 .LBB6_246
; %bb.245:                              ;   in Loop: Header=BB6_247 Depth=1
	s_sleep 1
	s_cbranch_execnz .LBB6_247
	s_branch .LBB6_249
	.p2align	6
.LBB6_246:
	s_branch .LBB6_249
.LBB6_247:                              ; =>This Inner Loop Header: Depth=1
	v_mov_b32_e32 v0, 1
	s_and_saveexec_b32 s5, s4
	s_cbranch_execz .LBB6_244
; %bb.248:                              ;   in Loop: Header=BB6_247 Depth=1
	global_load_dword v0, v[8:9], off offset:20 glc dlc
	s_waitcnt vmcnt(0)
	buffer_gl1_inv
	buffer_gl0_inv
	v_and_b32_e32 v0, 1, v0
	s_branch .LBB6_244
.LBB6_249:
	s_and_saveexec_b32 s5, s4
	s_cbranch_execz .LBB6_253
; %bb.250:
	v_mov_b32_e32 v6, 0
	s_clause 0x2
	global_load_dwordx2 v[2:3], v6, s[6:7] offset:40
	global_load_dwordx2 v[7:8], v6, s[6:7] offset:24 glc dlc
	global_load_dwordx2 v[4:5], v6, s[6:7]
	s_waitcnt vmcnt(2)
	v_add_co_u32 v9, vcc_lo, v2, 1
	v_add_co_ci_u32_e32 v10, vcc_lo, 0, v3, vcc_lo
	v_add_co_u32 v0, vcc_lo, v9, s10
	v_add_co_ci_u32_e32 v1, vcc_lo, s11, v10, vcc_lo
	v_cmp_eq_u64_e32 vcc_lo, 0, v[0:1]
	v_cndmask_b32_e32 v1, v1, v10, vcc_lo
	v_cndmask_b32_e32 v0, v0, v9, vcc_lo
	v_and_b32_e32 v3, v1, v3
	v_and_b32_e32 v2, v0, v2
	v_mul_lo_u32 v3, v3, 24
	v_mul_hi_u32 v9, v2, 24
	v_mul_lo_u32 v2, v2, 24
	v_add_nc_u32_e32 v3, v9, v3
	s_waitcnt vmcnt(0)
	v_add_co_u32 v4, vcc_lo, v4, v2
	v_mov_b32_e32 v2, v7
	v_add_co_ci_u32_e32 v5, vcc_lo, v5, v3, vcc_lo
	v_mov_b32_e32 v3, v8
	global_store_dwordx2 v[4:5], v[7:8], off
	s_waitcnt_vscnt null, 0x0
	global_atomic_cmpswap_x2 v[2:3], v6, v[0:3], s[6:7] offset:24 glc
	s_waitcnt vmcnt(0)
	v_cmp_ne_u64_e32 vcc_lo, v[2:3], v[7:8]
	s_and_b32 exec_lo, exec_lo, vcc_lo
	s_cbranch_execz .LBB6_253
; %bb.251:
	s_mov_b32 s4, 0
.LBB6_252:                              ; =>This Inner Loop Header: Depth=1
	s_sleep 1
	global_store_dwordx2 v[4:5], v[2:3], off
	s_waitcnt_vscnt null, 0x0
	global_atomic_cmpswap_x2 v[7:8], v6, v[0:3], s[6:7] offset:24 glc
	s_waitcnt vmcnt(0)
	v_cmp_eq_u64_e32 vcc_lo, v[7:8], v[2:3]
	v_mov_b32_e32 v2, v7
	v_mov_b32_e32 v3, v8
	s_or_b32 s4, vcc_lo, s4
	s_andn2_b32 exec_lo, exec_lo, s4
	s_cbranch_execnz .LBB6_252
.LBB6_253:
	s_or_b32 exec_lo, exec_lo, s5
.LBB6_254:
	v_readfirstlane_b32 s4, v32
	s_waitcnt vmcnt(0)
	v_mov_b32_e32 v6, 0
	v_mov_b32_e32 v7, 0
	v_cmp_eq_u32_e64 s4, s4, v32
	s_and_saveexec_b32 s5, s4
	s_cbranch_execz .LBB6_260
; %bb.255:
	v_mov_b32_e32 v0, 0
	s_mov_b32 s10, exec_lo
	global_load_dwordx2 v[3:4], v0, s[6:7] offset:24 glc dlc
	s_waitcnt vmcnt(0)
	buffer_gl1_inv
	buffer_gl0_inv
	s_clause 0x1
	global_load_dwordx2 v[1:2], v0, s[6:7] offset:40
	global_load_dwordx2 v[5:6], v0, s[6:7]
	s_waitcnt vmcnt(1)
	v_and_b32_e32 v2, v2, v4
	v_and_b32_e32 v1, v1, v3
	v_mul_lo_u32 v2, v2, 24
	v_mul_hi_u32 v7, v1, 24
	v_mul_lo_u32 v1, v1, 24
	v_add_nc_u32_e32 v2, v7, v2
	s_waitcnt vmcnt(0)
	v_add_co_u32 v1, vcc_lo, v5, v1
	v_add_co_ci_u32_e32 v2, vcc_lo, v6, v2, vcc_lo
	global_load_dwordx2 v[1:2], v[1:2], off glc dlc
	s_waitcnt vmcnt(0)
	global_atomic_cmpswap_x2 v[6:7], v0, v[1:4], s[6:7] offset:24 glc
	s_waitcnt vmcnt(0)
	buffer_gl1_inv
	buffer_gl0_inv
	v_cmpx_ne_u64_e64 v[6:7], v[3:4]
	s_cbranch_execz .LBB6_259
; %bb.256:
	s_mov_b32 s11, 0
	.p2align	6
.LBB6_257:                              ; =>This Inner Loop Header: Depth=1
	s_sleep 1
	s_clause 0x1
	global_load_dwordx2 v[1:2], v0, s[6:7] offset:40
	global_load_dwordx2 v[8:9], v0, s[6:7]
	v_mov_b32_e32 v3, v6
	v_mov_b32_e32 v4, v7
	s_waitcnt vmcnt(1)
	v_and_b32_e32 v1, v1, v3
	v_and_b32_e32 v2, v2, v4
	s_waitcnt vmcnt(0)
	v_mad_u64_u32 v[5:6], null, v1, 24, v[8:9]
	v_mov_b32_e32 v1, v6
	v_mad_u64_u32 v[1:2], null, v2, 24, v[1:2]
	v_mov_b32_e32 v6, v1
	global_load_dwordx2 v[1:2], v[5:6], off glc dlc
	s_waitcnt vmcnt(0)
	global_atomic_cmpswap_x2 v[6:7], v0, v[1:4], s[6:7] offset:24 glc
	s_waitcnt vmcnt(0)
	buffer_gl1_inv
	buffer_gl0_inv
	v_cmp_eq_u64_e32 vcc_lo, v[6:7], v[3:4]
	s_or_b32 s11, vcc_lo, s11
	s_andn2_b32 exec_lo, exec_lo, s11
	s_cbranch_execnz .LBB6_257
; %bb.258:
	s_or_b32 exec_lo, exec_lo, s11
.LBB6_259:
	s_or_b32 exec_lo, exec_lo, s10
.LBB6_260:
	s_or_b32 exec_lo, exec_lo, s5
	v_mov_b32_e32 v5, 0
	v_readfirstlane_b32 s10, v6
	v_readfirstlane_b32 s11, v7
	s_mov_b32 s5, exec_lo
	s_clause 0x1
	global_load_dwordx2 v[8:9], v5, s[6:7] offset:40
	global_load_dwordx4 v[0:3], v5, s[6:7]
	s_waitcnt vmcnt(1)
	v_readfirstlane_b32 s16, v8
	v_readfirstlane_b32 s17, v9
	s_and_b64 s[16:17], s[10:11], s[16:17]
	s_mul_i32 s18, s17, 24
	s_mul_hi_u32 s19, s16, 24
	s_mul_i32 s20, s16, 24
	s_add_i32 s19, s19, s18
	s_waitcnt vmcnt(0)
	v_add_co_u32 v8, vcc_lo, v0, s20
	v_add_co_ci_u32_e32 v9, vcc_lo, s19, v1, vcc_lo
	s_and_saveexec_b32 s18, s4
	s_cbranch_execz .LBB6_262
; %bb.261:
	v_mov_b32_e32 v4, s5
	v_mov_b32_e32 v6, 2
	;; [unrolled: 1-line block ×3, first 2 shown]
	global_store_dwordx4 v[8:9], v[4:7], off offset:8
.LBB6_262:
	s_or_b32 exec_lo, exec_lo, s18
	s_lshl_b64 s[16:17], s[16:17], 12
	v_mov_b32_e32 v4, 33
	v_add_co_u32 v2, vcc_lo, v2, s16
	v_add_co_ci_u32_e32 v3, vcc_lo, s17, v3, vcc_lo
	s_mov_b32 s16, 0
	v_add_co_u32 v10, vcc_lo, v2, v31
	s_mov_b32 s17, s16
	s_mov_b32 s18, s16
	;; [unrolled: 1-line block ×3, first 2 shown]
	v_mov_b32_e32 v6, v5
	v_mov_b32_e32 v7, v5
	v_readfirstlane_b32 s20, v2
	v_readfirstlane_b32 s21, v3
	v_mov_b32_e32 v12, s16
	v_add_co_ci_u32_e32 v11, vcc_lo, 0, v3, vcc_lo
	v_mov_b32_e32 v13, s17
	v_mov_b32_e32 v14, s18
	;; [unrolled: 1-line block ×3, first 2 shown]
	global_store_dwordx4 v31, v[4:7], s[20:21]
	global_store_dwordx4 v31, v[12:15], s[20:21] offset:16
	global_store_dwordx4 v31, v[12:15], s[20:21] offset:32
	;; [unrolled: 1-line block ×3, first 2 shown]
	s_and_saveexec_b32 s5, s4
	s_cbranch_execz .LBB6_270
; %bb.263:
	v_mov_b32_e32 v6, 0
	v_mov_b32_e32 v12, s10
	;; [unrolled: 1-line block ×3, first 2 shown]
	s_clause 0x1
	global_load_dwordx2 v[14:15], v6, s[6:7] offset:32 glc dlc
	global_load_dwordx2 v[2:3], v6, s[6:7] offset:40
	s_waitcnt vmcnt(0)
	v_readfirstlane_b32 s16, v2
	v_readfirstlane_b32 s17, v3
	s_and_b64 s[16:17], s[16:17], s[10:11]
	s_mul_i32 s17, s17, 24
	s_mul_hi_u32 s18, s16, 24
	s_mul_i32 s16, s16, 24
	s_add_i32 s18, s18, s17
	v_add_co_u32 v4, vcc_lo, v0, s16
	v_add_co_ci_u32_e32 v5, vcc_lo, s18, v1, vcc_lo
	s_mov_b32 s16, exec_lo
	global_store_dwordx2 v[4:5], v[14:15], off
	s_waitcnt_vscnt null, 0x0
	global_atomic_cmpswap_x2 v[2:3], v6, v[12:15], s[6:7] offset:32 glc
	s_waitcnt vmcnt(0)
	v_cmpx_ne_u64_e64 v[2:3], v[14:15]
	s_cbranch_execz .LBB6_266
; %bb.264:
	s_mov_b32 s17, 0
.LBB6_265:                              ; =>This Inner Loop Header: Depth=1
	v_mov_b32_e32 v0, s10
	v_mov_b32_e32 v1, s11
	s_sleep 1
	global_store_dwordx2 v[4:5], v[2:3], off
	s_waitcnt_vscnt null, 0x0
	global_atomic_cmpswap_x2 v[0:1], v6, v[0:3], s[6:7] offset:32 glc
	s_waitcnt vmcnt(0)
	v_cmp_eq_u64_e32 vcc_lo, v[0:1], v[2:3]
	v_mov_b32_e32 v3, v1
	v_mov_b32_e32 v2, v0
	s_or_b32 s17, vcc_lo, s17
	s_andn2_b32 exec_lo, exec_lo, s17
	s_cbranch_execnz .LBB6_265
.LBB6_266:
	s_or_b32 exec_lo, exec_lo, s16
	v_mov_b32_e32 v3, 0
	s_mov_b32 s17, exec_lo
	s_mov_b32 s16, exec_lo
	v_mbcnt_lo_u32_b32 v2, s17, 0
	global_load_dwordx2 v[0:1], v3, s[6:7] offset:16
	v_cmpx_eq_u32_e32 0, v2
	s_cbranch_execz .LBB6_268
; %bb.267:
	s_bcnt1_i32_b32 s17, s17
	v_mov_b32_e32 v2, s17
	s_waitcnt vmcnt(0)
	global_atomic_add_x2 v[0:1], v[2:3], off offset:8
.LBB6_268:
	s_or_b32 exec_lo, exec_lo, s16
	s_waitcnt vmcnt(0)
	global_load_dwordx2 v[2:3], v[0:1], off offset:16
	s_waitcnt vmcnt(0)
	v_cmp_eq_u64_e32 vcc_lo, 0, v[2:3]
	s_cbranch_vccnz .LBB6_270
; %bb.269:
	global_load_dword v0, v[0:1], off offset:24
	v_mov_b32_e32 v1, 0
	s_waitcnt vmcnt(0)
	v_and_b32_e32 v4, 0x7fffff, v0
	s_waitcnt_vscnt null, 0x0
	global_store_dwordx2 v[2:3], v[0:1], off
	v_readfirstlane_b32 m0, v4
	s_sendmsg sendmsg(MSG_INTERRUPT)
.LBB6_270:
	s_or_b32 exec_lo, exec_lo, s5
	s_branch .LBB6_274
	.p2align	6
.LBB6_271:                              ;   in Loop: Header=BB6_274 Depth=1
	s_or_b32 exec_lo, exec_lo, s5
	v_readfirstlane_b32 s5, v0
	s_cmp_eq_u32 s5, 0
	s_cbranch_scc1 .LBB6_273
; %bb.272:                              ;   in Loop: Header=BB6_274 Depth=1
	s_sleep 1
	s_cbranch_execnz .LBB6_274
	s_branch .LBB6_276
	.p2align	6
.LBB6_273:
	s_branch .LBB6_276
.LBB6_274:                              ; =>This Inner Loop Header: Depth=1
	v_mov_b32_e32 v0, 1
	s_and_saveexec_b32 s5, s4
	s_cbranch_execz .LBB6_271
; %bb.275:                              ;   in Loop: Header=BB6_274 Depth=1
	global_load_dword v0, v[8:9], off offset:20 glc dlc
	s_waitcnt vmcnt(0)
	buffer_gl1_inv
	buffer_gl0_inv
	v_and_b32_e32 v0, 1, v0
	s_branch .LBB6_271
.LBB6_276:
	global_load_dwordx2 v[0:1], v[10:11], off
	s_and_saveexec_b32 s5, s4
	s_cbranch_execz .LBB6_280
; %bb.277:
	v_mov_b32_e32 v8, 0
	s_clause 0x2
	global_load_dwordx2 v[4:5], v8, s[6:7] offset:40
	global_load_dwordx2 v[9:10], v8, s[6:7] offset:24 glc dlc
	global_load_dwordx2 v[6:7], v8, s[6:7]
	s_waitcnt vmcnt(2)
	v_add_co_u32 v11, vcc_lo, v4, 1
	v_add_co_ci_u32_e32 v12, vcc_lo, 0, v5, vcc_lo
	v_add_co_u32 v2, vcc_lo, v11, s10
	v_add_co_ci_u32_e32 v3, vcc_lo, s11, v12, vcc_lo
	v_cmp_eq_u64_e32 vcc_lo, 0, v[2:3]
	v_cndmask_b32_e32 v3, v3, v12, vcc_lo
	v_cndmask_b32_e32 v2, v2, v11, vcc_lo
	v_and_b32_e32 v5, v3, v5
	v_and_b32_e32 v4, v2, v4
	v_mul_lo_u32 v5, v5, 24
	v_mul_hi_u32 v11, v4, 24
	v_mul_lo_u32 v4, v4, 24
	v_add_nc_u32_e32 v5, v11, v5
	s_waitcnt vmcnt(0)
	v_add_co_u32 v6, vcc_lo, v6, v4
	v_mov_b32_e32 v4, v9
	v_add_co_ci_u32_e32 v7, vcc_lo, v7, v5, vcc_lo
	v_mov_b32_e32 v5, v10
	global_store_dwordx2 v[6:7], v[9:10], off
	s_waitcnt_vscnt null, 0x0
	global_atomic_cmpswap_x2 v[4:5], v8, v[2:5], s[6:7] offset:24 glc
	s_waitcnt vmcnt(0)
	v_cmp_ne_u64_e32 vcc_lo, v[4:5], v[9:10]
	s_and_b32 exec_lo, exec_lo, vcc_lo
	s_cbranch_execz .LBB6_280
; %bb.278:
	s_mov_b32 s4, 0
.LBB6_279:                              ; =>This Inner Loop Header: Depth=1
	s_sleep 1
	global_store_dwordx2 v[6:7], v[4:5], off
	s_waitcnt_vscnt null, 0x0
	global_atomic_cmpswap_x2 v[9:10], v8, v[2:5], s[6:7] offset:24 glc
	s_waitcnt vmcnt(0)
	v_cmp_eq_u64_e32 vcc_lo, v[9:10], v[4:5]
	v_mov_b32_e32 v4, v9
	v_mov_b32_e32 v5, v10
	s_or_b32 s4, vcc_lo, s4
	s_andn2_b32 exec_lo, exec_lo, s4
	s_cbranch_execnz .LBB6_279
.LBB6_280:
	s_or_b32 exec_lo, exec_lo, s5
	s_getpc_b64 s[10:11]
	s_add_u32 s10, s10, .str.6@rel32@lo+4
	s_addc_u32 s11, s11, .str.6@rel32@hi+12
	s_cmp_lg_u64 s[10:11], 0
	s_cselect_b32 s24, -1, 0
	s_and_b32 vcc_lo, exec_lo, s24
	s_cbranch_vccz .LBB6_359
; %bb.281:
	s_waitcnt vmcnt(0)
	v_and_b32_e32 v33, 2, v0
	v_mov_b32_e32 v6, 0
	v_and_b32_e32 v2, -3, v0
	v_mov_b32_e32 v3, v1
	v_mov_b32_e32 v7, 2
	;; [unrolled: 1-line block ×3, first 2 shown]
	s_mov_b64 s[16:17], 3
	s_branch .LBB6_283
.LBB6_282:                              ;   in Loop: Header=BB6_283 Depth=1
	s_or_b32 exec_lo, exec_lo, s5
	s_sub_u32 s16, s16, s18
	s_subb_u32 s17, s17, s19
	s_add_u32 s10, s10, s18
	s_addc_u32 s11, s11, s19
	s_cmp_lg_u64 s[16:17], 0
	s_cbranch_scc0 .LBB6_358
.LBB6_283:                              ; =>This Loop Header: Depth=1
                                        ;     Child Loop BB6_292 Depth 2
                                        ;     Child Loop BB6_288 Depth 2
                                        ;     Child Loop BB6_300 Depth 2
                                        ;     Child Loop BB6_307 Depth 2
                                        ;     Child Loop BB6_314 Depth 2
                                        ;     Child Loop BB6_321 Depth 2
                                        ;     Child Loop BB6_328 Depth 2
                                        ;     Child Loop BB6_335 Depth 2
                                        ;     Child Loop BB6_343 Depth 2
                                        ;     Child Loop BB6_352 Depth 2
                                        ;     Child Loop BB6_357 Depth 2
	v_cmp_lt_u64_e64 s4, s[16:17], 56
	v_cmp_gt_u64_e64 s5, s[16:17], 7
                                        ; implicit-def: $vgpr11_vgpr12
                                        ; implicit-def: $sgpr25
	s_and_b32 s4, s4, exec_lo
	s_cselect_b32 s19, s17, 0
	s_cselect_b32 s18, s16, 56
	s_and_b32 vcc_lo, exec_lo, s5
	s_mov_b32 s4, -1
	s_cbranch_vccz .LBB6_290
; %bb.284:                              ;   in Loop: Header=BB6_283 Depth=1
	s_andn2_b32 vcc_lo, exec_lo, s4
	s_mov_b64 s[4:5], s[10:11]
	s_cbranch_vccz .LBB6_294
.LBB6_285:                              ;   in Loop: Header=BB6_283 Depth=1
	s_cmp_gt_u32 s25, 7
	s_cbranch_scc1 .LBB6_295
.LBB6_286:                              ;   in Loop: Header=BB6_283 Depth=1
	v_mov_b32_e32 v13, 0
	v_mov_b32_e32 v14, 0
	s_cmp_eq_u32 s25, 0
	s_cbranch_scc1 .LBB6_289
; %bb.287:                              ;   in Loop: Header=BB6_283 Depth=1
	s_mov_b64 s[20:21], 0
	s_mov_b64 s[22:23], 0
.LBB6_288:                              ;   Parent Loop BB6_283 Depth=1
                                        ; =>  This Inner Loop Header: Depth=2
	s_add_u32 s26, s4, s22
	s_addc_u32 s27, s5, s23
	s_add_u32 s22, s22, 1
	global_load_ubyte v4, v6, s[26:27]
	s_addc_u32 s23, s23, 0
	s_waitcnt vmcnt(0)
	v_and_b32_e32 v5, 0xffff, v4
	v_lshlrev_b64 v[4:5], s20, v[5:6]
	s_add_u32 s20, s20, 8
	s_addc_u32 s21, s21, 0
	s_cmp_lg_u32 s25, s22
	v_or_b32_e32 v13, v4, v13
	v_or_b32_e32 v14, v5, v14
	s_cbranch_scc1 .LBB6_288
.LBB6_289:                              ;   in Loop: Header=BB6_283 Depth=1
	s_mov_b32 s26, 0
	s_cbranch_execz .LBB6_296
	s_branch .LBB6_297
.LBB6_290:                              ;   in Loop: Header=BB6_283 Depth=1
	v_mov_b32_e32 v11, 0
	v_mov_b32_e32 v12, 0
	s_cmp_eq_u64 s[16:17], 0
	s_mov_b64 s[4:5], 0
	s_cbranch_scc1 .LBB6_293
; %bb.291:                              ;   in Loop: Header=BB6_283 Depth=1
	v_mov_b32_e32 v11, 0
	v_mov_b32_e32 v12, 0
	s_lshl_b64 s[20:21], s[18:19], 3
	s_mov_b64 s[22:23], s[10:11]
.LBB6_292:                              ;   Parent Loop BB6_283 Depth=1
                                        ; =>  This Inner Loop Header: Depth=2
	global_load_ubyte v4, v6, s[22:23]
	s_waitcnt vmcnt(0)
	v_and_b32_e32 v5, 0xffff, v4
	v_lshlrev_b64 v[4:5], s4, v[5:6]
	s_add_u32 s4, s4, 8
	s_addc_u32 s5, s5, 0
	s_add_u32 s22, s22, 1
	s_addc_u32 s23, s23, 0
	s_cmp_lg_u32 s20, s4
	v_or_b32_e32 v11, v4, v11
	v_or_b32_e32 v12, v5, v12
	s_cbranch_scc1 .LBB6_292
.LBB6_293:                              ;   in Loop: Header=BB6_283 Depth=1
	s_mov_b32 s25, 0
	s_mov_b64 s[4:5], s[10:11]
	s_cbranch_execnz .LBB6_285
.LBB6_294:                              ;   in Loop: Header=BB6_283 Depth=1
	global_load_dwordx2 v[11:12], v6, s[10:11]
	s_add_i32 s25, s18, -8
	s_add_u32 s4, s10, 8
	s_addc_u32 s5, s11, 0
	s_cmp_gt_u32 s25, 7
	s_cbranch_scc0 .LBB6_286
.LBB6_295:                              ;   in Loop: Header=BB6_283 Depth=1
                                        ; implicit-def: $vgpr13_vgpr14
                                        ; implicit-def: $sgpr26
.LBB6_296:                              ;   in Loop: Header=BB6_283 Depth=1
	global_load_dwordx2 v[13:14], v6, s[4:5]
	s_add_i32 s26, s25, -8
	s_add_u32 s4, s4, 8
	s_addc_u32 s5, s5, 0
.LBB6_297:                              ;   in Loop: Header=BB6_283 Depth=1
	s_cmp_gt_u32 s26, 7
	s_cbranch_scc1 .LBB6_302
; %bb.298:                              ;   in Loop: Header=BB6_283 Depth=1
	v_mov_b32_e32 v15, 0
	v_mov_b32_e32 v16, 0
	s_cmp_eq_u32 s26, 0
	s_cbranch_scc1 .LBB6_301
; %bb.299:                              ;   in Loop: Header=BB6_283 Depth=1
	s_mov_b64 s[20:21], 0
	s_mov_b64 s[22:23], 0
.LBB6_300:                              ;   Parent Loop BB6_283 Depth=1
                                        ; =>  This Inner Loop Header: Depth=2
	s_add_u32 s28, s4, s22
	s_addc_u32 s29, s5, s23
	s_add_u32 s22, s22, 1
	global_load_ubyte v4, v6, s[28:29]
	s_addc_u32 s23, s23, 0
	s_waitcnt vmcnt(0)
	v_and_b32_e32 v5, 0xffff, v4
	v_lshlrev_b64 v[4:5], s20, v[5:6]
	s_add_u32 s20, s20, 8
	s_addc_u32 s21, s21, 0
	s_cmp_lg_u32 s26, s22
	v_or_b32_e32 v15, v4, v15
	v_or_b32_e32 v16, v5, v16
	s_cbranch_scc1 .LBB6_300
.LBB6_301:                              ;   in Loop: Header=BB6_283 Depth=1
	s_mov_b32 s25, 0
	s_cbranch_execz .LBB6_303
	s_branch .LBB6_304
.LBB6_302:                              ;   in Loop: Header=BB6_283 Depth=1
                                        ; implicit-def: $sgpr25
.LBB6_303:                              ;   in Loop: Header=BB6_283 Depth=1
	global_load_dwordx2 v[15:16], v6, s[4:5]
	s_add_i32 s25, s26, -8
	s_add_u32 s4, s4, 8
	s_addc_u32 s5, s5, 0
.LBB6_304:                              ;   in Loop: Header=BB6_283 Depth=1
	s_cmp_gt_u32 s25, 7
	s_cbranch_scc1 .LBB6_309
; %bb.305:                              ;   in Loop: Header=BB6_283 Depth=1
	v_mov_b32_e32 v17, 0
	v_mov_b32_e32 v18, 0
	s_cmp_eq_u32 s25, 0
	s_cbranch_scc1 .LBB6_308
; %bb.306:                              ;   in Loop: Header=BB6_283 Depth=1
	s_mov_b64 s[20:21], 0
	s_mov_b64 s[22:23], 0
.LBB6_307:                              ;   Parent Loop BB6_283 Depth=1
                                        ; =>  This Inner Loop Header: Depth=2
	s_add_u32 s26, s4, s22
	s_addc_u32 s27, s5, s23
	s_add_u32 s22, s22, 1
	global_load_ubyte v4, v6, s[26:27]
	s_addc_u32 s23, s23, 0
	s_waitcnt vmcnt(0)
	v_and_b32_e32 v5, 0xffff, v4
	v_lshlrev_b64 v[4:5], s20, v[5:6]
	s_add_u32 s20, s20, 8
	s_addc_u32 s21, s21, 0
	s_cmp_lg_u32 s25, s22
	v_or_b32_e32 v17, v4, v17
	v_or_b32_e32 v18, v5, v18
	s_cbranch_scc1 .LBB6_307
.LBB6_308:                              ;   in Loop: Header=BB6_283 Depth=1
	s_mov_b32 s26, 0
	s_cbranch_execz .LBB6_310
	s_branch .LBB6_311
.LBB6_309:                              ;   in Loop: Header=BB6_283 Depth=1
                                        ; implicit-def: $vgpr17_vgpr18
                                        ; implicit-def: $sgpr26
.LBB6_310:                              ;   in Loop: Header=BB6_283 Depth=1
	global_load_dwordx2 v[17:18], v6, s[4:5]
	s_add_i32 s26, s25, -8
	s_add_u32 s4, s4, 8
	s_addc_u32 s5, s5, 0
.LBB6_311:                              ;   in Loop: Header=BB6_283 Depth=1
	s_cmp_gt_u32 s26, 7
	s_cbranch_scc1 .LBB6_316
; %bb.312:                              ;   in Loop: Header=BB6_283 Depth=1
	v_mov_b32_e32 v19, 0
	v_mov_b32_e32 v20, 0
	s_cmp_eq_u32 s26, 0
	s_cbranch_scc1 .LBB6_315
; %bb.313:                              ;   in Loop: Header=BB6_283 Depth=1
	s_mov_b64 s[20:21], 0
	s_mov_b64 s[22:23], 0
.LBB6_314:                              ;   Parent Loop BB6_283 Depth=1
                                        ; =>  This Inner Loop Header: Depth=2
	s_add_u32 s28, s4, s22
	s_addc_u32 s29, s5, s23
	s_add_u32 s22, s22, 1
	global_load_ubyte v4, v6, s[28:29]
	s_addc_u32 s23, s23, 0
	s_waitcnt vmcnt(0)
	v_and_b32_e32 v5, 0xffff, v4
	v_lshlrev_b64 v[4:5], s20, v[5:6]
	s_add_u32 s20, s20, 8
	s_addc_u32 s21, s21, 0
	s_cmp_lg_u32 s26, s22
	v_or_b32_e32 v19, v4, v19
	v_or_b32_e32 v20, v5, v20
	s_cbranch_scc1 .LBB6_314
.LBB6_315:                              ;   in Loop: Header=BB6_283 Depth=1
	s_mov_b32 s25, 0
	s_cbranch_execz .LBB6_317
	s_branch .LBB6_318
.LBB6_316:                              ;   in Loop: Header=BB6_283 Depth=1
                                        ; implicit-def: $sgpr25
.LBB6_317:                              ;   in Loop: Header=BB6_283 Depth=1
	global_load_dwordx2 v[19:20], v6, s[4:5]
	s_add_i32 s25, s26, -8
	s_add_u32 s4, s4, 8
	s_addc_u32 s5, s5, 0
.LBB6_318:                              ;   in Loop: Header=BB6_283 Depth=1
	s_cmp_gt_u32 s25, 7
	s_cbranch_scc1 .LBB6_323
; %bb.319:                              ;   in Loop: Header=BB6_283 Depth=1
	v_mov_b32_e32 v21, 0
	v_mov_b32_e32 v22, 0
	s_cmp_eq_u32 s25, 0
	s_cbranch_scc1 .LBB6_322
; %bb.320:                              ;   in Loop: Header=BB6_283 Depth=1
	s_mov_b64 s[20:21], 0
	s_mov_b64 s[22:23], 0
.LBB6_321:                              ;   Parent Loop BB6_283 Depth=1
                                        ; =>  This Inner Loop Header: Depth=2
	s_add_u32 s26, s4, s22
	s_addc_u32 s27, s5, s23
	s_add_u32 s22, s22, 1
	global_load_ubyte v4, v6, s[26:27]
	s_addc_u32 s23, s23, 0
	s_waitcnt vmcnt(0)
	v_and_b32_e32 v5, 0xffff, v4
	v_lshlrev_b64 v[4:5], s20, v[5:6]
	s_add_u32 s20, s20, 8
	s_addc_u32 s21, s21, 0
	s_cmp_lg_u32 s25, s22
	v_or_b32_e32 v21, v4, v21
	v_or_b32_e32 v22, v5, v22
	s_cbranch_scc1 .LBB6_321
.LBB6_322:                              ;   in Loop: Header=BB6_283 Depth=1
	s_mov_b32 s26, 0
	s_cbranch_execz .LBB6_324
	s_branch .LBB6_325
.LBB6_323:                              ;   in Loop: Header=BB6_283 Depth=1
                                        ; implicit-def: $vgpr21_vgpr22
                                        ; implicit-def: $sgpr26
.LBB6_324:                              ;   in Loop: Header=BB6_283 Depth=1
	global_load_dwordx2 v[21:22], v6, s[4:5]
	s_add_i32 s26, s25, -8
	s_add_u32 s4, s4, 8
	s_addc_u32 s5, s5, 0
.LBB6_325:                              ;   in Loop: Header=BB6_283 Depth=1
	s_cmp_gt_u32 s26, 7
	s_cbranch_scc1 .LBB6_330
; %bb.326:                              ;   in Loop: Header=BB6_283 Depth=1
	v_mov_b32_e32 v23, 0
	v_mov_b32_e32 v24, 0
	s_cmp_eq_u32 s26, 0
	s_cbranch_scc1 .LBB6_329
; %bb.327:                              ;   in Loop: Header=BB6_283 Depth=1
	s_mov_b64 s[20:21], 0
	s_mov_b64 s[22:23], s[4:5]
.LBB6_328:                              ;   Parent Loop BB6_283 Depth=1
                                        ; =>  This Inner Loop Header: Depth=2
	global_load_ubyte v4, v6, s[22:23]
	s_add_i32 s26, s26, -1
	s_waitcnt vmcnt(0)
	v_and_b32_e32 v5, 0xffff, v4
	v_lshlrev_b64 v[4:5], s20, v[5:6]
	s_add_u32 s20, s20, 8
	s_addc_u32 s21, s21, 0
	s_add_u32 s22, s22, 1
	s_addc_u32 s23, s23, 0
	s_cmp_lg_u32 s26, 0
	v_or_b32_e32 v23, v4, v23
	v_or_b32_e32 v24, v5, v24
	s_cbranch_scc1 .LBB6_328
.LBB6_329:                              ;   in Loop: Header=BB6_283 Depth=1
	s_cbranch_execz .LBB6_331
	s_branch .LBB6_332
.LBB6_330:                              ;   in Loop: Header=BB6_283 Depth=1
.LBB6_331:                              ;   in Loop: Header=BB6_283 Depth=1
	global_load_dwordx2 v[23:24], v6, s[4:5]
.LBB6_332:                              ;   in Loop: Header=BB6_283 Depth=1
	v_readfirstlane_b32 s4, v32
	s_waitcnt vmcnt(0)
	v_mov_b32_e32 v4, 0
	v_mov_b32_e32 v5, 0
	v_cmp_eq_u32_e64 s4, s4, v32
	s_and_saveexec_b32 s5, s4
	s_cbranch_execz .LBB6_338
; %bb.333:                              ;   in Loop: Header=BB6_283 Depth=1
	global_load_dwordx2 v[27:28], v6, s[6:7] offset:24 glc dlc
	s_waitcnt vmcnt(0)
	buffer_gl1_inv
	buffer_gl0_inv
	s_clause 0x1
	global_load_dwordx2 v[4:5], v6, s[6:7] offset:40
	global_load_dwordx2 v[9:10], v6, s[6:7]
	s_mov_b32 s20, exec_lo
	s_waitcnt vmcnt(1)
	v_and_b32_e32 v5, v5, v28
	v_and_b32_e32 v4, v4, v27
	v_mul_lo_u32 v5, v5, 24
	v_mul_hi_u32 v25, v4, 24
	v_mul_lo_u32 v4, v4, 24
	v_add_nc_u32_e32 v5, v25, v5
	s_waitcnt vmcnt(0)
	v_add_co_u32 v4, vcc_lo, v9, v4
	v_add_co_ci_u32_e32 v5, vcc_lo, v10, v5, vcc_lo
	global_load_dwordx2 v[25:26], v[4:5], off glc dlc
	s_waitcnt vmcnt(0)
	global_atomic_cmpswap_x2 v[4:5], v6, v[25:28], s[6:7] offset:24 glc
	s_waitcnt vmcnt(0)
	buffer_gl1_inv
	buffer_gl0_inv
	v_cmpx_ne_u64_e64 v[4:5], v[27:28]
	s_cbranch_execz .LBB6_337
; %bb.334:                              ;   in Loop: Header=BB6_283 Depth=1
	s_mov_b32 s21, 0
	.p2align	6
.LBB6_335:                              ;   Parent Loop BB6_283 Depth=1
                                        ; =>  This Inner Loop Header: Depth=2
	s_sleep 1
	s_clause 0x1
	global_load_dwordx2 v[9:10], v6, s[6:7] offset:40
	global_load_dwordx2 v[25:26], v6, s[6:7]
	v_mov_b32_e32 v28, v5
	v_mov_b32_e32 v27, v4
	s_waitcnt vmcnt(1)
	v_and_b32_e32 v4, v9, v27
	v_and_b32_e32 v9, v10, v28
	s_waitcnt vmcnt(0)
	v_mad_u64_u32 v[4:5], null, v4, 24, v[25:26]
	v_mad_u64_u32 v[9:10], null, v9, 24, v[5:6]
	v_mov_b32_e32 v5, v9
	global_load_dwordx2 v[25:26], v[4:5], off glc dlc
	s_waitcnt vmcnt(0)
	global_atomic_cmpswap_x2 v[4:5], v6, v[25:28], s[6:7] offset:24 glc
	s_waitcnt vmcnt(0)
	buffer_gl1_inv
	buffer_gl0_inv
	v_cmp_eq_u64_e32 vcc_lo, v[4:5], v[27:28]
	s_or_b32 s21, vcc_lo, s21
	s_andn2_b32 exec_lo, exec_lo, s21
	s_cbranch_execnz .LBB6_335
; %bb.336:                              ;   in Loop: Header=BB6_283 Depth=1
	s_or_b32 exec_lo, exec_lo, s21
.LBB6_337:                              ;   in Loop: Header=BB6_283 Depth=1
	s_or_b32 exec_lo, exec_lo, s20
.LBB6_338:                              ;   in Loop: Header=BB6_283 Depth=1
	s_or_b32 exec_lo, exec_lo, s5
	s_clause 0x1
	global_load_dwordx2 v[9:10], v6, s[6:7] offset:40
	global_load_dwordx4 v[25:28], v6, s[6:7]
	v_readfirstlane_b32 s20, v4
	v_readfirstlane_b32 s21, v5
	s_mov_b32 s5, exec_lo
	s_waitcnt vmcnt(1)
	v_readfirstlane_b32 s22, v9
	v_readfirstlane_b32 s23, v10
	s_and_b64 s[22:23], s[20:21], s[22:23]
	s_mul_i32 s25, s23, 24
	s_mul_hi_u32 s26, s22, 24
	s_mul_i32 s27, s22, 24
	s_add_i32 s26, s26, s25
	s_waitcnt vmcnt(0)
	v_add_co_u32 v29, vcc_lo, v25, s27
	v_add_co_ci_u32_e32 v30, vcc_lo, s26, v26, vcc_lo
	s_and_saveexec_b32 s25, s4
	s_cbranch_execz .LBB6_340
; %bb.339:                              ;   in Loop: Header=BB6_283 Depth=1
	v_mov_b32_e32 v5, s5
	global_store_dwordx4 v[29:30], v[5:8], off offset:8
.LBB6_340:                              ;   in Loop: Header=BB6_283 Depth=1
	s_or_b32 exec_lo, exec_lo, s25
	s_lshl_b64 s[22:23], s[22:23], 12
	v_cmp_gt_u64_e64 vcc_lo, s[16:17], 56
	v_or_b32_e32 v5, v2, v33
	v_add_co_u32 v27, s5, v27, s22
	v_add_co_ci_u32_e64 v28, s5, s23, v28, s5
	s_lshl_b32 s5, s18, 2
	v_or_b32_e32 v4, 0, v3
	v_cndmask_b32_e32 v2, v5, v2, vcc_lo
	s_add_i32 s5, s5, 28
	v_readfirstlane_b32 s22, v27
	s_and_b32 s5, s5, 0x1e0
	v_cndmask_b32_e32 v10, v4, v3, vcc_lo
	v_readfirstlane_b32 s23, v28
	v_and_or_b32 v9, 0xffffff1f, v2, s5
	global_store_dwordx4 v31, v[9:12], s[22:23]
	global_store_dwordx4 v31, v[13:16], s[22:23] offset:16
	global_store_dwordx4 v31, v[17:20], s[22:23] offset:32
	;; [unrolled: 1-line block ×3, first 2 shown]
	s_and_saveexec_b32 s5, s4
	s_cbranch_execz .LBB6_348
; %bb.341:                              ;   in Loop: Header=BB6_283 Depth=1
	s_clause 0x1
	global_load_dwordx2 v[13:14], v6, s[6:7] offset:32 glc dlc
	global_load_dwordx2 v[2:3], v6, s[6:7] offset:40
	v_mov_b32_e32 v11, s20
	v_mov_b32_e32 v12, s21
	s_waitcnt vmcnt(0)
	v_readfirstlane_b32 s22, v2
	v_readfirstlane_b32 s23, v3
	s_and_b64 s[22:23], s[22:23], s[20:21]
	s_mul_i32 s23, s23, 24
	s_mul_hi_u32 s25, s22, 24
	s_mul_i32 s22, s22, 24
	s_add_i32 s25, s25, s23
	v_add_co_u32 v9, vcc_lo, v25, s22
	v_add_co_ci_u32_e32 v10, vcc_lo, s25, v26, vcc_lo
	s_mov_b32 s22, exec_lo
	global_store_dwordx2 v[9:10], v[13:14], off
	s_waitcnt_vscnt null, 0x0
	global_atomic_cmpswap_x2 v[4:5], v6, v[11:14], s[6:7] offset:32 glc
	s_waitcnt vmcnt(0)
	v_cmpx_ne_u64_e64 v[4:5], v[13:14]
	s_cbranch_execz .LBB6_344
; %bb.342:                              ;   in Loop: Header=BB6_283 Depth=1
	s_mov_b32 s23, 0
.LBB6_343:                              ;   Parent Loop BB6_283 Depth=1
                                        ; =>  This Inner Loop Header: Depth=2
	v_mov_b32_e32 v2, s20
	v_mov_b32_e32 v3, s21
	s_sleep 1
	global_store_dwordx2 v[9:10], v[4:5], off
	s_waitcnt_vscnt null, 0x0
	global_atomic_cmpswap_x2 v[2:3], v6, v[2:5], s[6:7] offset:32 glc
	s_waitcnt vmcnt(0)
	v_cmp_eq_u64_e32 vcc_lo, v[2:3], v[4:5]
	v_mov_b32_e32 v5, v3
	v_mov_b32_e32 v4, v2
	s_or_b32 s23, vcc_lo, s23
	s_andn2_b32 exec_lo, exec_lo, s23
	s_cbranch_execnz .LBB6_343
.LBB6_344:                              ;   in Loop: Header=BB6_283 Depth=1
	s_or_b32 exec_lo, exec_lo, s22
	global_load_dwordx2 v[2:3], v6, s[6:7] offset:16
	s_mov_b32 s23, exec_lo
	s_mov_b32 s22, exec_lo
	v_mbcnt_lo_u32_b32 v4, s23, 0
	v_cmpx_eq_u32_e32 0, v4
	s_cbranch_execz .LBB6_346
; %bb.345:                              ;   in Loop: Header=BB6_283 Depth=1
	s_bcnt1_i32_b32 s23, s23
	v_mov_b32_e32 v5, s23
	s_waitcnt vmcnt(0)
	global_atomic_add_x2 v[2:3], v[5:6], off offset:8
.LBB6_346:                              ;   in Loop: Header=BB6_283 Depth=1
	s_or_b32 exec_lo, exec_lo, s22
	s_waitcnt vmcnt(0)
	global_load_dwordx2 v[9:10], v[2:3], off offset:16
	s_waitcnt vmcnt(0)
	v_cmp_eq_u64_e32 vcc_lo, 0, v[9:10]
	s_cbranch_vccnz .LBB6_348
; %bb.347:                              ;   in Loop: Header=BB6_283 Depth=1
	global_load_dword v5, v[2:3], off offset:24
	s_waitcnt vmcnt(0)
	v_and_b32_e32 v2, 0x7fffff, v5
	s_waitcnt_vscnt null, 0x0
	global_store_dwordx2 v[9:10], v[5:6], off
	v_readfirstlane_b32 m0, v2
	s_sendmsg sendmsg(MSG_INTERRUPT)
.LBB6_348:                              ;   in Loop: Header=BB6_283 Depth=1
	s_or_b32 exec_lo, exec_lo, s5
	v_add_co_u32 v2, vcc_lo, v27, v31
	v_add_co_ci_u32_e32 v3, vcc_lo, 0, v28, vcc_lo
	s_branch .LBB6_352
	.p2align	6
.LBB6_349:                              ;   in Loop: Header=BB6_352 Depth=2
	s_or_b32 exec_lo, exec_lo, s5
	v_readfirstlane_b32 s5, v4
	s_cmp_eq_u32 s5, 0
	s_cbranch_scc1 .LBB6_351
; %bb.350:                              ;   in Loop: Header=BB6_352 Depth=2
	s_sleep 1
	s_cbranch_execnz .LBB6_352
	s_branch .LBB6_354
	.p2align	6
.LBB6_351:                              ;   in Loop: Header=BB6_283 Depth=1
	s_branch .LBB6_354
.LBB6_352:                              ;   Parent Loop BB6_283 Depth=1
                                        ; =>  This Inner Loop Header: Depth=2
	v_mov_b32_e32 v4, 1
	s_and_saveexec_b32 s5, s4
	s_cbranch_execz .LBB6_349
; %bb.353:                              ;   in Loop: Header=BB6_352 Depth=2
	global_load_dword v4, v[29:30], off offset:20 glc dlc
	s_waitcnt vmcnt(0)
	buffer_gl1_inv
	buffer_gl0_inv
	v_and_b32_e32 v4, 1, v4
	s_branch .LBB6_349
.LBB6_354:                              ;   in Loop: Header=BB6_283 Depth=1
	global_load_dwordx4 v[2:5], v[2:3], off
	s_and_saveexec_b32 s5, s4
	s_cbranch_execz .LBB6_282
; %bb.355:                              ;   in Loop: Header=BB6_283 Depth=1
	s_clause 0x2
	global_load_dwordx2 v[4:5], v6, s[6:7] offset:40
	global_load_dwordx2 v[13:14], v6, s[6:7] offset:24 glc dlc
	global_load_dwordx2 v[11:12], v6, s[6:7]
	s_waitcnt vmcnt(2)
	v_add_co_u32 v15, vcc_lo, v4, 1
	v_add_co_ci_u32_e32 v16, vcc_lo, 0, v5, vcc_lo
	v_add_co_u32 v9, vcc_lo, v15, s20
	v_add_co_ci_u32_e32 v10, vcc_lo, s21, v16, vcc_lo
	v_cmp_eq_u64_e32 vcc_lo, 0, v[9:10]
	v_cndmask_b32_e32 v10, v10, v16, vcc_lo
	v_cndmask_b32_e32 v9, v9, v15, vcc_lo
	v_and_b32_e32 v5, v10, v5
	v_and_b32_e32 v4, v9, v4
	v_mul_lo_u32 v5, v5, 24
	v_mul_hi_u32 v15, v4, 24
	v_mul_lo_u32 v4, v4, 24
	v_add_nc_u32_e32 v5, v15, v5
	s_waitcnt vmcnt(0)
	v_add_co_u32 v4, vcc_lo, v11, v4
	v_mov_b32_e32 v11, v13
	v_add_co_ci_u32_e32 v5, vcc_lo, v12, v5, vcc_lo
	v_mov_b32_e32 v12, v14
	global_store_dwordx2 v[4:5], v[13:14], off
	s_waitcnt_vscnt null, 0x0
	global_atomic_cmpswap_x2 v[11:12], v6, v[9:12], s[6:7] offset:24 glc
	s_waitcnt vmcnt(0)
	v_cmp_ne_u64_e32 vcc_lo, v[11:12], v[13:14]
	s_and_b32 exec_lo, exec_lo, vcc_lo
	s_cbranch_execz .LBB6_282
; %bb.356:                              ;   in Loop: Header=BB6_283 Depth=1
	s_mov_b32 s4, 0
.LBB6_357:                              ;   Parent Loop BB6_283 Depth=1
                                        ; =>  This Inner Loop Header: Depth=2
	s_sleep 1
	global_store_dwordx2 v[4:5], v[11:12], off
	s_waitcnt_vscnt null, 0x0
	global_atomic_cmpswap_x2 v[13:14], v6, v[9:12], s[6:7] offset:24 glc
	s_waitcnt vmcnt(0)
	v_cmp_eq_u64_e32 vcc_lo, v[13:14], v[11:12]
	v_mov_b32_e32 v11, v13
	v_mov_b32_e32 v12, v14
	s_or_b32 s4, vcc_lo, s4
	s_andn2_b32 exec_lo, exec_lo, s4
	s_cbranch_execnz .LBB6_357
	s_branch .LBB6_282
.LBB6_358:
	s_branch .LBB6_387
.LBB6_359:
                                        ; implicit-def: $vgpr2_vgpr3
	s_cbranch_execz .LBB6_387
; %bb.360:
	v_readfirstlane_b32 s4, v32
	v_mov_b32_e32 v8, 0
	v_mov_b32_e32 v9, 0
	v_cmp_eq_u32_e64 s4, s4, v32
	s_and_saveexec_b32 s5, s4
	s_cbranch_execz .LBB6_366
; %bb.361:
	s_waitcnt vmcnt(0)
	v_mov_b32_e32 v2, 0
	s_mov_b32 s10, exec_lo
	global_load_dwordx2 v[5:6], v2, s[6:7] offset:24 glc dlc
	s_waitcnt vmcnt(0)
	buffer_gl1_inv
	buffer_gl0_inv
	s_clause 0x1
	global_load_dwordx2 v[3:4], v2, s[6:7] offset:40
	global_load_dwordx2 v[7:8], v2, s[6:7]
	s_waitcnt vmcnt(1)
	v_and_b32_e32 v4, v4, v6
	v_and_b32_e32 v3, v3, v5
	v_mul_lo_u32 v4, v4, 24
	v_mul_hi_u32 v9, v3, 24
	v_mul_lo_u32 v3, v3, 24
	v_add_nc_u32_e32 v4, v9, v4
	s_waitcnt vmcnt(0)
	v_add_co_u32 v3, vcc_lo, v7, v3
	v_add_co_ci_u32_e32 v4, vcc_lo, v8, v4, vcc_lo
	global_load_dwordx2 v[3:4], v[3:4], off glc dlc
	s_waitcnt vmcnt(0)
	global_atomic_cmpswap_x2 v[8:9], v2, v[3:6], s[6:7] offset:24 glc
	s_waitcnt vmcnt(0)
	buffer_gl1_inv
	buffer_gl0_inv
	v_cmpx_ne_u64_e64 v[8:9], v[5:6]
	s_cbranch_execz .LBB6_365
; %bb.362:
	s_mov_b32 s11, 0
	.p2align	6
.LBB6_363:                              ; =>This Inner Loop Header: Depth=1
	s_sleep 1
	s_clause 0x1
	global_load_dwordx2 v[3:4], v2, s[6:7] offset:40
	global_load_dwordx2 v[10:11], v2, s[6:7]
	v_mov_b32_e32 v5, v8
	v_mov_b32_e32 v6, v9
	s_waitcnt vmcnt(1)
	v_and_b32_e32 v3, v3, v5
	v_and_b32_e32 v4, v4, v6
	s_waitcnt vmcnt(0)
	v_mad_u64_u32 v[7:8], null, v3, 24, v[10:11]
	v_mov_b32_e32 v3, v8
	v_mad_u64_u32 v[3:4], null, v4, 24, v[3:4]
	v_mov_b32_e32 v8, v3
	global_load_dwordx2 v[3:4], v[7:8], off glc dlc
	s_waitcnt vmcnt(0)
	global_atomic_cmpswap_x2 v[8:9], v2, v[3:6], s[6:7] offset:24 glc
	s_waitcnt vmcnt(0)
	buffer_gl1_inv
	buffer_gl0_inv
	v_cmp_eq_u64_e32 vcc_lo, v[8:9], v[5:6]
	s_or_b32 s11, vcc_lo, s11
	s_andn2_b32 exec_lo, exec_lo, s11
	s_cbranch_execnz .LBB6_363
; %bb.364:
	s_or_b32 exec_lo, exec_lo, s11
.LBB6_365:
	s_or_b32 exec_lo, exec_lo, s10
.LBB6_366:
	s_or_b32 exec_lo, exec_lo, s5
	s_waitcnt vmcnt(0)
	v_mov_b32_e32 v2, 0
	v_readfirstlane_b32 s10, v8
	v_readfirstlane_b32 s11, v9
	s_mov_b32 s5, exec_lo
	s_clause 0x1
	global_load_dwordx2 v[10:11], v2, s[6:7] offset:40
	global_load_dwordx4 v[4:7], v2, s[6:7]
	s_waitcnt vmcnt(1)
	v_readfirstlane_b32 s16, v10
	v_readfirstlane_b32 s17, v11
	s_and_b64 s[16:17], s[10:11], s[16:17]
	s_mul_i32 s18, s17, 24
	s_mul_hi_u32 s19, s16, 24
	s_mul_i32 s20, s16, 24
	s_add_i32 s19, s19, s18
	s_waitcnt vmcnt(0)
	v_add_co_u32 v8, vcc_lo, v4, s20
	v_add_co_ci_u32_e32 v9, vcc_lo, s19, v5, vcc_lo
	s_and_saveexec_b32 s18, s4
	s_cbranch_execz .LBB6_368
; %bb.367:
	v_mov_b32_e32 v10, s5
	v_mov_b32_e32 v11, v2
	;; [unrolled: 1-line block ×4, first 2 shown]
	global_store_dwordx4 v[8:9], v[10:13], off offset:8
.LBB6_368:
	s_or_b32 exec_lo, exec_lo, s18
	s_lshl_b64 s[16:17], s[16:17], 12
	v_and_or_b32 v0, 0xffffff1f, v0, 32
	v_add_co_u32 v6, vcc_lo, v6, s16
	v_add_co_ci_u32_e32 v7, vcc_lo, s17, v7, vcc_lo
	s_mov_b32 s16, 0
	v_readfirstlane_b32 s20, v6
	v_add_co_u32 v6, vcc_lo, v6, v31
	s_mov_b32 s17, s16
	s_mov_b32 s18, s16
	;; [unrolled: 1-line block ×3, first 2 shown]
	v_mov_b32_e32 v3, v2
	v_readfirstlane_b32 s21, v7
	v_mov_b32_e32 v10, s16
	v_add_co_ci_u32_e32 v7, vcc_lo, 0, v7, vcc_lo
	v_mov_b32_e32 v11, s17
	v_mov_b32_e32 v12, s18
	;; [unrolled: 1-line block ×3, first 2 shown]
	global_store_dwordx4 v31, v[0:3], s[20:21]
	global_store_dwordx4 v31, v[10:13], s[20:21] offset:16
	global_store_dwordx4 v31, v[10:13], s[20:21] offset:32
	;; [unrolled: 1-line block ×3, first 2 shown]
	s_and_saveexec_b32 s5, s4
	s_cbranch_execz .LBB6_376
; %bb.369:
	v_mov_b32_e32 v10, 0
	v_mov_b32_e32 v11, s10
	v_mov_b32_e32 v12, s11
	s_clause 0x1
	global_load_dwordx2 v[13:14], v10, s[6:7] offset:32 glc dlc
	global_load_dwordx2 v[0:1], v10, s[6:7] offset:40
	s_waitcnt vmcnt(0)
	v_readfirstlane_b32 s16, v0
	v_readfirstlane_b32 s17, v1
	s_and_b64 s[16:17], s[16:17], s[10:11]
	s_mul_i32 s17, s17, 24
	s_mul_hi_u32 s18, s16, 24
	s_mul_i32 s16, s16, 24
	s_add_i32 s18, s18, s17
	v_add_co_u32 v4, vcc_lo, v4, s16
	v_add_co_ci_u32_e32 v5, vcc_lo, s18, v5, vcc_lo
	s_mov_b32 s16, exec_lo
	global_store_dwordx2 v[4:5], v[13:14], off
	s_waitcnt_vscnt null, 0x0
	global_atomic_cmpswap_x2 v[2:3], v10, v[11:14], s[6:7] offset:32 glc
	s_waitcnt vmcnt(0)
	v_cmpx_ne_u64_e64 v[2:3], v[13:14]
	s_cbranch_execz .LBB6_372
; %bb.370:
	s_mov_b32 s17, 0
.LBB6_371:                              ; =>This Inner Loop Header: Depth=1
	v_mov_b32_e32 v0, s10
	v_mov_b32_e32 v1, s11
	s_sleep 1
	global_store_dwordx2 v[4:5], v[2:3], off
	s_waitcnt_vscnt null, 0x0
	global_atomic_cmpswap_x2 v[0:1], v10, v[0:3], s[6:7] offset:32 glc
	s_waitcnt vmcnt(0)
	v_cmp_eq_u64_e32 vcc_lo, v[0:1], v[2:3]
	v_mov_b32_e32 v3, v1
	v_mov_b32_e32 v2, v0
	s_or_b32 s17, vcc_lo, s17
	s_andn2_b32 exec_lo, exec_lo, s17
	s_cbranch_execnz .LBB6_371
.LBB6_372:
	s_or_b32 exec_lo, exec_lo, s16
	v_mov_b32_e32 v3, 0
	s_mov_b32 s17, exec_lo
	s_mov_b32 s16, exec_lo
	v_mbcnt_lo_u32_b32 v2, s17, 0
	global_load_dwordx2 v[0:1], v3, s[6:7] offset:16
	v_cmpx_eq_u32_e32 0, v2
	s_cbranch_execz .LBB6_374
; %bb.373:
	s_bcnt1_i32_b32 s17, s17
	v_mov_b32_e32 v2, s17
	s_waitcnt vmcnt(0)
	global_atomic_add_x2 v[0:1], v[2:3], off offset:8
.LBB6_374:
	s_or_b32 exec_lo, exec_lo, s16
	s_waitcnt vmcnt(0)
	global_load_dwordx2 v[2:3], v[0:1], off offset:16
	s_waitcnt vmcnt(0)
	v_cmp_eq_u64_e32 vcc_lo, 0, v[2:3]
	s_cbranch_vccnz .LBB6_376
; %bb.375:
	global_load_dword v0, v[0:1], off offset:24
	v_mov_b32_e32 v1, 0
	s_waitcnt vmcnt(0)
	v_and_b32_e32 v4, 0x7fffff, v0
	s_waitcnt_vscnt null, 0x0
	global_store_dwordx2 v[2:3], v[0:1], off
	v_readfirstlane_b32 m0, v4
	s_sendmsg sendmsg(MSG_INTERRUPT)
.LBB6_376:
	s_or_b32 exec_lo, exec_lo, s5
	s_branch .LBB6_380
	.p2align	6
.LBB6_377:                              ;   in Loop: Header=BB6_380 Depth=1
	s_or_b32 exec_lo, exec_lo, s5
	v_readfirstlane_b32 s5, v0
	s_cmp_eq_u32 s5, 0
	s_cbranch_scc1 .LBB6_379
; %bb.378:                              ;   in Loop: Header=BB6_380 Depth=1
	s_sleep 1
	s_cbranch_execnz .LBB6_380
	s_branch .LBB6_382
	.p2align	6
.LBB6_379:
	s_branch .LBB6_382
.LBB6_380:                              ; =>This Inner Loop Header: Depth=1
	v_mov_b32_e32 v0, 1
	s_and_saveexec_b32 s5, s4
	s_cbranch_execz .LBB6_377
; %bb.381:                              ;   in Loop: Header=BB6_380 Depth=1
	global_load_dword v0, v[8:9], off offset:20 glc dlc
	s_waitcnt vmcnt(0)
	buffer_gl1_inv
	buffer_gl0_inv
	v_and_b32_e32 v0, 1, v0
	s_branch .LBB6_377
.LBB6_382:
	global_load_dwordx2 v[2:3], v[6:7], off
	s_and_saveexec_b32 s5, s4
	s_cbranch_execz .LBB6_386
; %bb.383:
	v_mov_b32_e32 v8, 0
	s_clause 0x2
	global_load_dwordx2 v[0:1], v8, s[6:7] offset:40
	global_load_dwordx2 v[9:10], v8, s[6:7] offset:24 glc dlc
	global_load_dwordx2 v[6:7], v8, s[6:7]
	s_waitcnt vmcnt(2)
	v_add_co_u32 v11, vcc_lo, v0, 1
	v_add_co_ci_u32_e32 v12, vcc_lo, 0, v1, vcc_lo
	v_add_co_u32 v4, vcc_lo, v11, s10
	v_add_co_ci_u32_e32 v5, vcc_lo, s11, v12, vcc_lo
	v_cmp_eq_u64_e32 vcc_lo, 0, v[4:5]
	v_cndmask_b32_e32 v5, v5, v12, vcc_lo
	v_cndmask_b32_e32 v4, v4, v11, vcc_lo
	v_and_b32_e32 v1, v5, v1
	v_and_b32_e32 v0, v4, v0
	v_mul_lo_u32 v1, v1, 24
	v_mul_hi_u32 v11, v0, 24
	v_mul_lo_u32 v0, v0, 24
	v_add_nc_u32_e32 v1, v11, v1
	s_waitcnt vmcnt(0)
	v_add_co_u32 v0, vcc_lo, v6, v0
	v_mov_b32_e32 v6, v9
	v_add_co_ci_u32_e32 v1, vcc_lo, v7, v1, vcc_lo
	v_mov_b32_e32 v7, v10
	global_store_dwordx2 v[0:1], v[9:10], off
	s_waitcnt_vscnt null, 0x0
	global_atomic_cmpswap_x2 v[6:7], v8, v[4:7], s[6:7] offset:24 glc
	s_waitcnt vmcnt(0)
	v_cmp_ne_u64_e32 vcc_lo, v[6:7], v[9:10]
	s_and_b32 exec_lo, exec_lo, vcc_lo
	s_cbranch_execz .LBB6_386
; %bb.384:
	s_mov_b32 s4, 0
.LBB6_385:                              ; =>This Inner Loop Header: Depth=1
	s_sleep 1
	global_store_dwordx2 v[0:1], v[6:7], off
	s_waitcnt_vscnt null, 0x0
	global_atomic_cmpswap_x2 v[9:10], v8, v[4:7], s[6:7] offset:24 glc
	s_waitcnt vmcnt(0)
	v_cmp_eq_u64_e32 vcc_lo, v[9:10], v[6:7]
	v_mov_b32_e32 v6, v9
	v_mov_b32_e32 v7, v10
	s_or_b32 s4, vcc_lo, s4
	s_andn2_b32 exec_lo, exec_lo, s4
	s_cbranch_execnz .LBB6_385
.LBB6_386:
	s_or_b32 exec_lo, exec_lo, s5
.LBB6_387:
	v_readfirstlane_b32 s4, v32
	s_waitcnt vmcnt(0)
	v_mov_b32_e32 v0, 0
	v_mov_b32_e32 v1, 0
	v_cmp_eq_u32_e64 s4, s4, v32
	s_and_saveexec_b32 s5, s4
	s_cbranch_execz .LBB6_393
; %bb.388:
	v_mov_b32_e32 v4, 0
	s_mov_b32 s10, exec_lo
	global_load_dwordx2 v[7:8], v4, s[6:7] offset:24 glc dlc
	s_waitcnt vmcnt(0)
	buffer_gl1_inv
	buffer_gl0_inv
	s_clause 0x1
	global_load_dwordx2 v[0:1], v4, s[6:7] offset:40
	global_load_dwordx2 v[5:6], v4, s[6:7]
	s_waitcnt vmcnt(1)
	v_and_b32_e32 v1, v1, v8
	v_and_b32_e32 v0, v0, v7
	v_mul_lo_u32 v1, v1, 24
	v_mul_hi_u32 v9, v0, 24
	v_mul_lo_u32 v0, v0, 24
	v_add_nc_u32_e32 v1, v9, v1
	s_waitcnt vmcnt(0)
	v_add_co_u32 v0, vcc_lo, v5, v0
	v_add_co_ci_u32_e32 v1, vcc_lo, v6, v1, vcc_lo
	global_load_dwordx2 v[5:6], v[0:1], off glc dlc
	s_waitcnt vmcnt(0)
	global_atomic_cmpswap_x2 v[0:1], v4, v[5:8], s[6:7] offset:24 glc
	s_waitcnt vmcnt(0)
	buffer_gl1_inv
	buffer_gl0_inv
	v_cmpx_ne_u64_e64 v[0:1], v[7:8]
	s_cbranch_execz .LBB6_392
; %bb.389:
	s_mov_b32 s11, 0
	.p2align	6
.LBB6_390:                              ; =>This Inner Loop Header: Depth=1
	s_sleep 1
	s_clause 0x1
	global_load_dwordx2 v[5:6], v4, s[6:7] offset:40
	global_load_dwordx2 v[9:10], v4, s[6:7]
	v_mov_b32_e32 v8, v1
	v_mov_b32_e32 v7, v0
	s_waitcnt vmcnt(1)
	v_and_b32_e32 v0, v5, v7
	v_and_b32_e32 v5, v6, v8
	s_waitcnt vmcnt(0)
	v_mad_u64_u32 v[0:1], null, v0, 24, v[9:10]
	v_mad_u64_u32 v[5:6], null, v5, 24, v[1:2]
	v_mov_b32_e32 v1, v5
	global_load_dwordx2 v[5:6], v[0:1], off glc dlc
	s_waitcnt vmcnt(0)
	global_atomic_cmpswap_x2 v[0:1], v4, v[5:8], s[6:7] offset:24 glc
	s_waitcnt vmcnt(0)
	buffer_gl1_inv
	buffer_gl0_inv
	v_cmp_eq_u64_e32 vcc_lo, v[0:1], v[7:8]
	s_or_b32 s11, vcc_lo, s11
	s_andn2_b32 exec_lo, exec_lo, s11
	s_cbranch_execnz .LBB6_390
; %bb.391:
	s_or_b32 exec_lo, exec_lo, s11
.LBB6_392:
	s_or_b32 exec_lo, exec_lo, s10
.LBB6_393:
	s_or_b32 exec_lo, exec_lo, s5
	v_mov_b32_e32 v5, 0
	v_readfirstlane_b32 s10, v0
	v_readfirstlane_b32 s11, v1
	s_mov_b32 s5, exec_lo
	s_clause 0x1
	global_load_dwordx2 v[10:11], v5, s[6:7] offset:40
	global_load_dwordx4 v[6:9], v5, s[6:7]
	s_waitcnt vmcnt(1)
	v_readfirstlane_b32 s16, v10
	v_readfirstlane_b32 s17, v11
	s_and_b64 s[16:17], s[10:11], s[16:17]
	s_mul_i32 s18, s17, 24
	s_mul_hi_u32 s19, s16, 24
	s_mul_i32 s20, s16, 24
	s_add_i32 s19, s19, s18
	s_waitcnt vmcnt(0)
	v_add_co_u32 v10, vcc_lo, v6, s20
	v_add_co_ci_u32_e32 v11, vcc_lo, s19, v7, vcc_lo
	s_and_saveexec_b32 s18, s4
	s_cbranch_execz .LBB6_395
; %bb.394:
	v_mov_b32_e32 v4, s5
	v_mov_b32_e32 v13, v5
	;; [unrolled: 1-line block ×5, first 2 shown]
	global_store_dwordx4 v[10:11], v[12:15], off offset:8
.LBB6_395:
	s_or_b32 exec_lo, exec_lo, s18
	s_lshl_b64 s[16:17], s[16:17], 12
	v_and_or_b32 v2, 0xffffff1d, v2, 34
	v_add_co_u32 v0, vcc_lo, v8, s16
	v_add_co_ci_u32_e32 v1, vcc_lo, s17, v9, vcc_lo
	s_mov_b32 s16, 0
	v_mov_b32_e32 v4, 10
	s_mov_b32 s17, s16
	s_mov_b32 s18, s16
	;; [unrolled: 1-line block ×3, first 2 shown]
	v_readfirstlane_b32 s20, v0
	v_readfirstlane_b32 s21, v1
	v_mov_b32_e32 v12, s16
	v_mov_b32_e32 v13, s17
	;; [unrolled: 1-line block ×4, first 2 shown]
	global_store_dwordx4 v31, v[2:5], s[20:21]
	global_store_dwordx4 v31, v[12:15], s[20:21] offset:16
	global_store_dwordx4 v31, v[12:15], s[20:21] offset:32
	;; [unrolled: 1-line block ×3, first 2 shown]
	s_and_saveexec_b32 s5, s4
	s_cbranch_execz .LBB6_403
; %bb.396:
	v_mov_b32_e32 v8, 0
	v_mov_b32_e32 v12, s10
	;; [unrolled: 1-line block ×3, first 2 shown]
	s_clause 0x1
	global_load_dwordx2 v[14:15], v8, s[6:7] offset:32 glc dlc
	global_load_dwordx2 v[0:1], v8, s[6:7] offset:40
	s_waitcnt vmcnt(0)
	v_readfirstlane_b32 s16, v0
	v_readfirstlane_b32 s17, v1
	s_and_b64 s[16:17], s[16:17], s[10:11]
	s_mul_i32 s17, s17, 24
	s_mul_hi_u32 s18, s16, 24
	s_mul_i32 s16, s16, 24
	s_add_i32 s18, s18, s17
	v_add_co_u32 v4, vcc_lo, v6, s16
	v_add_co_ci_u32_e32 v5, vcc_lo, s18, v7, vcc_lo
	s_mov_b32 s16, exec_lo
	global_store_dwordx2 v[4:5], v[14:15], off
	s_waitcnt_vscnt null, 0x0
	global_atomic_cmpswap_x2 v[2:3], v8, v[12:15], s[6:7] offset:32 glc
	s_waitcnt vmcnt(0)
	v_cmpx_ne_u64_e64 v[2:3], v[14:15]
	s_cbranch_execz .LBB6_399
; %bb.397:
	s_mov_b32 s17, 0
.LBB6_398:                              ; =>This Inner Loop Header: Depth=1
	v_mov_b32_e32 v0, s10
	v_mov_b32_e32 v1, s11
	s_sleep 1
	global_store_dwordx2 v[4:5], v[2:3], off
	s_waitcnt_vscnt null, 0x0
	global_atomic_cmpswap_x2 v[0:1], v8, v[0:3], s[6:7] offset:32 glc
	s_waitcnt vmcnt(0)
	v_cmp_eq_u64_e32 vcc_lo, v[0:1], v[2:3]
	v_mov_b32_e32 v3, v1
	v_mov_b32_e32 v2, v0
	s_or_b32 s17, vcc_lo, s17
	s_andn2_b32 exec_lo, exec_lo, s17
	s_cbranch_execnz .LBB6_398
.LBB6_399:
	s_or_b32 exec_lo, exec_lo, s16
	v_mov_b32_e32 v3, 0
	s_mov_b32 s17, exec_lo
	s_mov_b32 s16, exec_lo
	v_mbcnt_lo_u32_b32 v2, s17, 0
	global_load_dwordx2 v[0:1], v3, s[6:7] offset:16
	v_cmpx_eq_u32_e32 0, v2
	s_cbranch_execz .LBB6_401
; %bb.400:
	s_bcnt1_i32_b32 s17, s17
	v_mov_b32_e32 v2, s17
	s_waitcnt vmcnt(0)
	global_atomic_add_x2 v[0:1], v[2:3], off offset:8
.LBB6_401:
	s_or_b32 exec_lo, exec_lo, s16
	s_waitcnt vmcnt(0)
	global_load_dwordx2 v[2:3], v[0:1], off offset:16
	s_waitcnt vmcnt(0)
	v_cmp_eq_u64_e32 vcc_lo, 0, v[2:3]
	s_cbranch_vccnz .LBB6_403
; %bb.402:
	global_load_dword v0, v[0:1], off offset:24
	v_mov_b32_e32 v1, 0
	s_waitcnt vmcnt(0)
	v_and_b32_e32 v4, 0x7fffff, v0
	s_waitcnt_vscnt null, 0x0
	global_store_dwordx2 v[2:3], v[0:1], off
	v_readfirstlane_b32 m0, v4
	s_sendmsg sendmsg(MSG_INTERRUPT)
.LBB6_403:
	s_or_b32 exec_lo, exec_lo, s5
	s_branch .LBB6_407
	.p2align	6
.LBB6_404:                              ;   in Loop: Header=BB6_407 Depth=1
	s_or_b32 exec_lo, exec_lo, s5
	v_readfirstlane_b32 s5, v0
	s_cmp_eq_u32 s5, 0
	s_cbranch_scc1 .LBB6_406
; %bb.405:                              ;   in Loop: Header=BB6_407 Depth=1
	s_sleep 1
	s_cbranch_execnz .LBB6_407
	s_branch .LBB6_409
	.p2align	6
.LBB6_406:
	s_branch .LBB6_409
.LBB6_407:                              ; =>This Inner Loop Header: Depth=1
	v_mov_b32_e32 v0, 1
	s_and_saveexec_b32 s5, s4
	s_cbranch_execz .LBB6_404
; %bb.408:                              ;   in Loop: Header=BB6_407 Depth=1
	global_load_dword v0, v[10:11], off offset:20 glc dlc
	s_waitcnt vmcnt(0)
	buffer_gl1_inv
	buffer_gl0_inv
	v_and_b32_e32 v0, 1, v0
	s_branch .LBB6_404
.LBB6_409:
	s_and_saveexec_b32 s5, s4
	s_cbranch_execz .LBB6_413
; %bb.410:
	v_mov_b32_e32 v6, 0
	s_clause 0x2
	global_load_dwordx2 v[2:3], v6, s[6:7] offset:40
	global_load_dwordx2 v[7:8], v6, s[6:7] offset:24 glc dlc
	global_load_dwordx2 v[4:5], v6, s[6:7]
	s_waitcnt vmcnt(2)
	v_add_co_u32 v9, vcc_lo, v2, 1
	v_add_co_ci_u32_e32 v10, vcc_lo, 0, v3, vcc_lo
	v_add_co_u32 v0, vcc_lo, v9, s10
	v_add_co_ci_u32_e32 v1, vcc_lo, s11, v10, vcc_lo
	v_cmp_eq_u64_e32 vcc_lo, 0, v[0:1]
	v_cndmask_b32_e32 v1, v1, v10, vcc_lo
	v_cndmask_b32_e32 v0, v0, v9, vcc_lo
	v_and_b32_e32 v3, v1, v3
	v_and_b32_e32 v2, v0, v2
	v_mul_lo_u32 v3, v3, 24
	v_mul_hi_u32 v9, v2, 24
	v_mul_lo_u32 v2, v2, 24
	v_add_nc_u32_e32 v3, v9, v3
	s_waitcnt vmcnt(0)
	v_add_co_u32 v4, vcc_lo, v4, v2
	v_mov_b32_e32 v2, v7
	v_add_co_ci_u32_e32 v5, vcc_lo, v5, v3, vcc_lo
	v_mov_b32_e32 v3, v8
	global_store_dwordx2 v[4:5], v[7:8], off
	s_waitcnt_vscnt null, 0x0
	global_atomic_cmpswap_x2 v[2:3], v6, v[0:3], s[6:7] offset:24 glc
	s_waitcnt vmcnt(0)
	v_cmp_ne_u64_e32 vcc_lo, v[2:3], v[7:8]
	s_and_b32 exec_lo, exec_lo, vcc_lo
	s_cbranch_execz .LBB6_413
; %bb.411:
	s_mov_b32 s4, 0
.LBB6_412:                              ; =>This Inner Loop Header: Depth=1
	s_sleep 1
	global_store_dwordx2 v[4:5], v[2:3], off
	s_waitcnt_vscnt null, 0x0
	global_atomic_cmpswap_x2 v[7:8], v6, v[0:3], s[6:7] offset:24 glc
	s_waitcnt vmcnt(0)
	v_cmp_eq_u64_e32 vcc_lo, v[7:8], v[2:3]
	v_mov_b32_e32 v2, v7
	v_mov_b32_e32 v3, v8
	s_or_b32 s4, vcc_lo, s4
	s_andn2_b32 exec_lo, exec_lo, s4
	s_cbranch_execnz .LBB6_412
.LBB6_413:
	s_or_b32 exec_lo, exec_lo, s5
	v_readfirstlane_b32 s4, v32
	v_mov_b32_e32 v6, 0
	v_mov_b32_e32 v7, 0
	v_cmp_eq_u32_e64 s4, s4, v32
	s_and_saveexec_b32 s5, s4
	s_cbranch_execz .LBB6_419
; %bb.414:
	v_mov_b32_e32 v0, 0
	s_mov_b32 s10, exec_lo
	global_load_dwordx2 v[3:4], v0, s[6:7] offset:24 glc dlc
	s_waitcnt vmcnt(0)
	buffer_gl1_inv
	buffer_gl0_inv
	s_clause 0x1
	global_load_dwordx2 v[1:2], v0, s[6:7] offset:40
	global_load_dwordx2 v[5:6], v0, s[6:7]
	s_waitcnt vmcnt(1)
	v_and_b32_e32 v2, v2, v4
	v_and_b32_e32 v1, v1, v3
	v_mul_lo_u32 v2, v2, 24
	v_mul_hi_u32 v7, v1, 24
	v_mul_lo_u32 v1, v1, 24
	v_add_nc_u32_e32 v2, v7, v2
	s_waitcnt vmcnt(0)
	v_add_co_u32 v1, vcc_lo, v5, v1
	v_add_co_ci_u32_e32 v2, vcc_lo, v6, v2, vcc_lo
	global_load_dwordx2 v[1:2], v[1:2], off glc dlc
	s_waitcnt vmcnt(0)
	global_atomic_cmpswap_x2 v[6:7], v0, v[1:4], s[6:7] offset:24 glc
	s_waitcnt vmcnt(0)
	buffer_gl1_inv
	buffer_gl0_inv
	v_cmpx_ne_u64_e64 v[6:7], v[3:4]
	s_cbranch_execz .LBB6_418
; %bb.415:
	s_mov_b32 s11, 0
	.p2align	6
.LBB6_416:                              ; =>This Inner Loop Header: Depth=1
	s_sleep 1
	s_clause 0x1
	global_load_dwordx2 v[1:2], v0, s[6:7] offset:40
	global_load_dwordx2 v[8:9], v0, s[6:7]
	v_mov_b32_e32 v3, v6
	v_mov_b32_e32 v4, v7
	s_waitcnt vmcnt(1)
	v_and_b32_e32 v1, v1, v3
	v_and_b32_e32 v2, v2, v4
	s_waitcnt vmcnt(0)
	v_mad_u64_u32 v[5:6], null, v1, 24, v[8:9]
	v_mov_b32_e32 v1, v6
	v_mad_u64_u32 v[1:2], null, v2, 24, v[1:2]
	v_mov_b32_e32 v6, v1
	global_load_dwordx2 v[1:2], v[5:6], off glc dlc
	s_waitcnt vmcnt(0)
	global_atomic_cmpswap_x2 v[6:7], v0, v[1:4], s[6:7] offset:24 glc
	s_waitcnt vmcnt(0)
	buffer_gl1_inv
	buffer_gl0_inv
	v_cmp_eq_u64_e32 vcc_lo, v[6:7], v[3:4]
	s_or_b32 s11, vcc_lo, s11
	s_andn2_b32 exec_lo, exec_lo, s11
	s_cbranch_execnz .LBB6_416
; %bb.417:
	s_or_b32 exec_lo, exec_lo, s11
.LBB6_418:
	s_or_b32 exec_lo, exec_lo, s10
.LBB6_419:
	s_or_b32 exec_lo, exec_lo, s5
	v_mov_b32_e32 v5, 0
	v_readfirstlane_b32 s10, v6
	v_readfirstlane_b32 s11, v7
	s_mov_b32 s5, exec_lo
	s_clause 0x1
	global_load_dwordx2 v[8:9], v5, s[6:7] offset:40
	global_load_dwordx4 v[0:3], v5, s[6:7]
	s_waitcnt vmcnt(1)
	v_readfirstlane_b32 s16, v8
	v_readfirstlane_b32 s17, v9
	s_and_b64 s[16:17], s[10:11], s[16:17]
	s_mul_i32 s18, s17, 24
	s_mul_hi_u32 s19, s16, 24
	s_mul_i32 s20, s16, 24
	s_add_i32 s19, s19, s18
	s_waitcnt vmcnt(0)
	v_add_co_u32 v8, vcc_lo, v0, s20
	v_add_co_ci_u32_e32 v9, vcc_lo, s19, v1, vcc_lo
	s_and_saveexec_b32 s18, s4
	s_cbranch_execz .LBB6_421
; %bb.420:
	v_mov_b32_e32 v4, s5
	v_mov_b32_e32 v6, 2
	;; [unrolled: 1-line block ×3, first 2 shown]
	global_store_dwordx4 v[8:9], v[4:7], off offset:8
.LBB6_421:
	s_or_b32 exec_lo, exec_lo, s18
	s_lshl_b64 s[16:17], s[16:17], 12
	v_mov_b32_e32 v4, 33
	v_add_co_u32 v2, vcc_lo, v2, s16
	v_add_co_ci_u32_e32 v3, vcc_lo, s17, v3, vcc_lo
	s_mov_b32 s16, 0
	v_add_co_u32 v10, vcc_lo, v2, v31
	s_mov_b32 s17, s16
	s_mov_b32 s18, s16
	;; [unrolled: 1-line block ×3, first 2 shown]
	v_mov_b32_e32 v6, v5
	v_mov_b32_e32 v7, v5
	v_readfirstlane_b32 s20, v2
	v_readfirstlane_b32 s21, v3
	v_mov_b32_e32 v12, s16
	v_add_co_ci_u32_e32 v11, vcc_lo, 0, v3, vcc_lo
	v_mov_b32_e32 v13, s17
	v_mov_b32_e32 v14, s18
	;; [unrolled: 1-line block ×3, first 2 shown]
	global_store_dwordx4 v31, v[4:7], s[20:21]
	global_store_dwordx4 v31, v[12:15], s[20:21] offset:16
	global_store_dwordx4 v31, v[12:15], s[20:21] offset:32
	;; [unrolled: 1-line block ×3, first 2 shown]
	s_and_saveexec_b32 s5, s4
	s_cbranch_execz .LBB6_429
; %bb.422:
	v_mov_b32_e32 v6, 0
	v_mov_b32_e32 v12, s10
	;; [unrolled: 1-line block ×3, first 2 shown]
	s_clause 0x1
	global_load_dwordx2 v[14:15], v6, s[6:7] offset:32 glc dlc
	global_load_dwordx2 v[2:3], v6, s[6:7] offset:40
	s_waitcnt vmcnt(0)
	v_readfirstlane_b32 s16, v2
	v_readfirstlane_b32 s17, v3
	s_and_b64 s[16:17], s[16:17], s[10:11]
	s_mul_i32 s17, s17, 24
	s_mul_hi_u32 s18, s16, 24
	s_mul_i32 s16, s16, 24
	s_add_i32 s18, s18, s17
	v_add_co_u32 v4, vcc_lo, v0, s16
	v_add_co_ci_u32_e32 v5, vcc_lo, s18, v1, vcc_lo
	s_mov_b32 s16, exec_lo
	global_store_dwordx2 v[4:5], v[14:15], off
	s_waitcnt_vscnt null, 0x0
	global_atomic_cmpswap_x2 v[2:3], v6, v[12:15], s[6:7] offset:32 glc
	s_waitcnt vmcnt(0)
	v_cmpx_ne_u64_e64 v[2:3], v[14:15]
	s_cbranch_execz .LBB6_425
; %bb.423:
	s_mov_b32 s17, 0
.LBB6_424:                              ; =>This Inner Loop Header: Depth=1
	v_mov_b32_e32 v0, s10
	v_mov_b32_e32 v1, s11
	s_sleep 1
	global_store_dwordx2 v[4:5], v[2:3], off
	s_waitcnt_vscnt null, 0x0
	global_atomic_cmpswap_x2 v[0:1], v6, v[0:3], s[6:7] offset:32 glc
	s_waitcnt vmcnt(0)
	v_cmp_eq_u64_e32 vcc_lo, v[0:1], v[2:3]
	v_mov_b32_e32 v3, v1
	v_mov_b32_e32 v2, v0
	s_or_b32 s17, vcc_lo, s17
	s_andn2_b32 exec_lo, exec_lo, s17
	s_cbranch_execnz .LBB6_424
.LBB6_425:
	s_or_b32 exec_lo, exec_lo, s16
	v_mov_b32_e32 v3, 0
	s_mov_b32 s17, exec_lo
	s_mov_b32 s16, exec_lo
	v_mbcnt_lo_u32_b32 v2, s17, 0
	global_load_dwordx2 v[0:1], v3, s[6:7] offset:16
	v_cmpx_eq_u32_e32 0, v2
	s_cbranch_execz .LBB6_427
; %bb.426:
	s_bcnt1_i32_b32 s17, s17
	v_mov_b32_e32 v2, s17
	s_waitcnt vmcnt(0)
	global_atomic_add_x2 v[0:1], v[2:3], off offset:8
.LBB6_427:
	s_or_b32 exec_lo, exec_lo, s16
	s_waitcnt vmcnt(0)
	global_load_dwordx2 v[2:3], v[0:1], off offset:16
	s_waitcnt vmcnt(0)
	v_cmp_eq_u64_e32 vcc_lo, 0, v[2:3]
	s_cbranch_vccnz .LBB6_429
; %bb.428:
	global_load_dword v0, v[0:1], off offset:24
	v_mov_b32_e32 v1, 0
	s_waitcnt vmcnt(0)
	v_and_b32_e32 v4, 0x7fffff, v0
	s_waitcnt_vscnt null, 0x0
	global_store_dwordx2 v[2:3], v[0:1], off
	v_readfirstlane_b32 m0, v4
	s_sendmsg sendmsg(MSG_INTERRUPT)
.LBB6_429:
	s_or_b32 exec_lo, exec_lo, s5
	s_branch .LBB6_433
	.p2align	6
.LBB6_430:                              ;   in Loop: Header=BB6_433 Depth=1
	s_or_b32 exec_lo, exec_lo, s5
	v_readfirstlane_b32 s5, v0
	s_cmp_eq_u32 s5, 0
	s_cbranch_scc1 .LBB6_432
; %bb.431:                              ;   in Loop: Header=BB6_433 Depth=1
	s_sleep 1
	s_cbranch_execnz .LBB6_433
	s_branch .LBB6_435
	.p2align	6
.LBB6_432:
	s_branch .LBB6_435
.LBB6_433:                              ; =>This Inner Loop Header: Depth=1
	v_mov_b32_e32 v0, 1
	s_and_saveexec_b32 s5, s4
	s_cbranch_execz .LBB6_430
; %bb.434:                              ;   in Loop: Header=BB6_433 Depth=1
	global_load_dword v0, v[8:9], off offset:20 glc dlc
	s_waitcnt vmcnt(0)
	buffer_gl1_inv
	buffer_gl0_inv
	v_and_b32_e32 v0, 1, v0
	s_branch .LBB6_430
.LBB6_435:
	global_load_dwordx2 v[4:5], v[10:11], off
	s_and_saveexec_b32 s5, s4
	s_cbranch_execz .LBB6_439
; %bb.436:
	v_mov_b32_e32 v8, 0
	s_clause 0x2
	global_load_dwordx2 v[2:3], v8, s[6:7] offset:40
	global_load_dwordx2 v[9:10], v8, s[6:7] offset:24 glc dlc
	global_load_dwordx2 v[6:7], v8, s[6:7]
	s_waitcnt vmcnt(2)
	v_add_co_u32 v11, vcc_lo, v2, 1
	v_add_co_ci_u32_e32 v12, vcc_lo, 0, v3, vcc_lo
	v_add_co_u32 v0, vcc_lo, v11, s10
	v_add_co_ci_u32_e32 v1, vcc_lo, s11, v12, vcc_lo
	v_cmp_eq_u64_e32 vcc_lo, 0, v[0:1]
	v_cndmask_b32_e32 v1, v1, v12, vcc_lo
	v_cndmask_b32_e32 v0, v0, v11, vcc_lo
	v_and_b32_e32 v3, v1, v3
	v_and_b32_e32 v2, v0, v2
	v_mul_lo_u32 v3, v3, 24
	v_mul_hi_u32 v11, v2, 24
	v_mul_lo_u32 v2, v2, 24
	v_add_nc_u32_e32 v3, v11, v3
	s_waitcnt vmcnt(0)
	v_add_co_u32 v6, vcc_lo, v6, v2
	v_mov_b32_e32 v2, v9
	v_add_co_ci_u32_e32 v7, vcc_lo, v7, v3, vcc_lo
	v_mov_b32_e32 v3, v10
	global_store_dwordx2 v[6:7], v[9:10], off
	s_waitcnt_vscnt null, 0x0
	global_atomic_cmpswap_x2 v[2:3], v8, v[0:3], s[6:7] offset:24 glc
	s_waitcnt vmcnt(0)
	v_cmp_ne_u64_e32 vcc_lo, v[2:3], v[9:10]
	s_and_b32 exec_lo, exec_lo, vcc_lo
	s_cbranch_execz .LBB6_439
; %bb.437:
	s_mov_b32 s4, 0
.LBB6_438:                              ; =>This Inner Loop Header: Depth=1
	s_sleep 1
	global_store_dwordx2 v[6:7], v[2:3], off
	s_waitcnt_vscnt null, 0x0
	global_atomic_cmpswap_x2 v[9:10], v8, v[0:3], s[6:7] offset:24 glc
	s_waitcnt vmcnt(0)
	v_cmp_eq_u64_e32 vcc_lo, v[9:10], v[2:3]
	v_mov_b32_e32 v2, v9
	v_mov_b32_e32 v3, v10
	s_or_b32 s4, vcc_lo, s4
	s_andn2_b32 exec_lo, exec_lo, s4
	s_cbranch_execnz .LBB6_438
.LBB6_439:
	s_or_b32 exec_lo, exec_lo, s5
	s_and_b32 vcc_lo, exec_lo, s15
	s_cbranch_vccz .LBB6_518
; %bb.440:
	s_waitcnt vmcnt(0)
	v_and_b32_e32 v28, 2, v4
	v_mov_b32_e32 v7, 0
	v_and_b32_e32 v0, -3, v4
	v_mov_b32_e32 v1, v5
	v_mov_b32_e32 v8, 2
	v_mov_b32_e32 v9, 1
	s_mov_b64 s[16:17], 3
	s_getpc_b64 s[10:11]
	s_add_u32 s10, s10, .str.5@rel32@lo+4
	s_addc_u32 s11, s11, .str.5@rel32@hi+12
	s_branch .LBB6_442
.LBB6_441:                              ;   in Loop: Header=BB6_442 Depth=1
	s_or_b32 exec_lo, exec_lo, s5
	s_sub_u32 s16, s16, s18
	s_subb_u32 s17, s17, s19
	s_add_u32 s10, s10, s18
	s_addc_u32 s11, s11, s19
	s_cmp_lg_u64 s[16:17], 0
	s_cbranch_scc0 .LBB6_517
.LBB6_442:                              ; =>This Loop Header: Depth=1
                                        ;     Child Loop BB6_451 Depth 2
                                        ;     Child Loop BB6_447 Depth 2
	;; [unrolled: 1-line block ×11, first 2 shown]
	v_cmp_lt_u64_e64 s4, s[16:17], 56
	v_cmp_gt_u64_e64 s5, s[16:17], 7
                                        ; implicit-def: $vgpr2_vgpr3
                                        ; implicit-def: $sgpr25
	s_and_b32 s4, s4, exec_lo
	s_cselect_b32 s19, s17, 0
	s_cselect_b32 s18, s16, 56
	s_and_b32 vcc_lo, exec_lo, s5
	s_mov_b32 s4, -1
	s_cbranch_vccz .LBB6_449
; %bb.443:                              ;   in Loop: Header=BB6_442 Depth=1
	s_andn2_b32 vcc_lo, exec_lo, s4
	s_mov_b64 s[4:5], s[10:11]
	s_cbranch_vccz .LBB6_453
.LBB6_444:                              ;   in Loop: Header=BB6_442 Depth=1
	s_cmp_gt_u32 s25, 7
	s_cbranch_scc1 .LBB6_454
.LBB6_445:                              ;   in Loop: Header=BB6_442 Depth=1
	v_mov_b32_e32 v10, 0
	v_mov_b32_e32 v11, 0
	s_cmp_eq_u32 s25, 0
	s_cbranch_scc1 .LBB6_448
; %bb.446:                              ;   in Loop: Header=BB6_442 Depth=1
	s_mov_b64 s[20:21], 0
	s_mov_b64 s[22:23], 0
.LBB6_447:                              ;   Parent Loop BB6_442 Depth=1
                                        ; =>  This Inner Loop Header: Depth=2
	s_add_u32 s26, s4, s22
	s_addc_u32 s27, s5, s23
	s_add_u32 s22, s22, 1
	global_load_ubyte v6, v7, s[26:27]
	s_addc_u32 s23, s23, 0
	s_waitcnt vmcnt(0)
	v_and_b32_e32 v6, 0xffff, v6
	v_lshlrev_b64 v[12:13], s20, v[6:7]
	s_add_u32 s20, s20, 8
	s_addc_u32 s21, s21, 0
	s_cmp_lg_u32 s25, s22
	v_or_b32_e32 v10, v12, v10
	v_or_b32_e32 v11, v13, v11
	s_cbranch_scc1 .LBB6_447
.LBB6_448:                              ;   in Loop: Header=BB6_442 Depth=1
	s_mov_b32 s26, 0
	s_cbranch_execz .LBB6_455
	s_branch .LBB6_456
.LBB6_449:                              ;   in Loop: Header=BB6_442 Depth=1
	s_waitcnt vmcnt(0)
	v_mov_b32_e32 v2, 0
	v_mov_b32_e32 v3, 0
	s_cmp_eq_u64 s[16:17], 0
	s_mov_b64 s[4:5], 0
	s_cbranch_scc1 .LBB6_452
; %bb.450:                              ;   in Loop: Header=BB6_442 Depth=1
	v_mov_b32_e32 v2, 0
	v_mov_b32_e32 v3, 0
	s_lshl_b64 s[20:21], s[18:19], 3
	s_mov_b64 s[22:23], s[10:11]
.LBB6_451:                              ;   Parent Loop BB6_442 Depth=1
                                        ; =>  This Inner Loop Header: Depth=2
	global_load_ubyte v6, v7, s[22:23]
	s_waitcnt vmcnt(0)
	v_and_b32_e32 v6, 0xffff, v6
	v_lshlrev_b64 v[10:11], s4, v[6:7]
	s_add_u32 s4, s4, 8
	s_addc_u32 s5, s5, 0
	s_add_u32 s22, s22, 1
	s_addc_u32 s23, s23, 0
	s_cmp_lg_u32 s20, s4
	v_or_b32_e32 v2, v10, v2
	v_or_b32_e32 v3, v11, v3
	s_cbranch_scc1 .LBB6_451
.LBB6_452:                              ;   in Loop: Header=BB6_442 Depth=1
	s_mov_b32 s25, 0
	s_mov_b64 s[4:5], s[10:11]
	s_cbranch_execnz .LBB6_444
.LBB6_453:                              ;   in Loop: Header=BB6_442 Depth=1
	global_load_dwordx2 v[2:3], v7, s[10:11]
	s_add_i32 s25, s18, -8
	s_add_u32 s4, s10, 8
	s_addc_u32 s5, s11, 0
	s_cmp_gt_u32 s25, 7
	s_cbranch_scc0 .LBB6_445
.LBB6_454:                              ;   in Loop: Header=BB6_442 Depth=1
                                        ; implicit-def: $vgpr10_vgpr11
                                        ; implicit-def: $sgpr26
.LBB6_455:                              ;   in Loop: Header=BB6_442 Depth=1
	global_load_dwordx2 v[10:11], v7, s[4:5]
	s_add_i32 s26, s25, -8
	s_add_u32 s4, s4, 8
	s_addc_u32 s5, s5, 0
.LBB6_456:                              ;   in Loop: Header=BB6_442 Depth=1
	s_cmp_gt_u32 s26, 7
	s_cbranch_scc1 .LBB6_461
; %bb.457:                              ;   in Loop: Header=BB6_442 Depth=1
	v_mov_b32_e32 v12, 0
	v_mov_b32_e32 v13, 0
	s_cmp_eq_u32 s26, 0
	s_cbranch_scc1 .LBB6_460
; %bb.458:                              ;   in Loop: Header=BB6_442 Depth=1
	s_mov_b64 s[20:21], 0
	s_mov_b64 s[22:23], 0
.LBB6_459:                              ;   Parent Loop BB6_442 Depth=1
                                        ; =>  This Inner Loop Header: Depth=2
	s_add_u32 s28, s4, s22
	s_addc_u32 s29, s5, s23
	s_add_u32 s22, s22, 1
	global_load_ubyte v6, v7, s[28:29]
	s_addc_u32 s23, s23, 0
	s_waitcnt vmcnt(0)
	v_and_b32_e32 v6, 0xffff, v6
	v_lshlrev_b64 v[14:15], s20, v[6:7]
	s_add_u32 s20, s20, 8
	s_addc_u32 s21, s21, 0
	s_cmp_lg_u32 s26, s22
	v_or_b32_e32 v12, v14, v12
	v_or_b32_e32 v13, v15, v13
	s_cbranch_scc1 .LBB6_459
.LBB6_460:                              ;   in Loop: Header=BB6_442 Depth=1
	s_mov_b32 s25, 0
	s_cbranch_execz .LBB6_462
	s_branch .LBB6_463
.LBB6_461:                              ;   in Loop: Header=BB6_442 Depth=1
                                        ; implicit-def: $sgpr25
.LBB6_462:                              ;   in Loop: Header=BB6_442 Depth=1
	global_load_dwordx2 v[12:13], v7, s[4:5]
	s_add_i32 s25, s26, -8
	s_add_u32 s4, s4, 8
	s_addc_u32 s5, s5, 0
.LBB6_463:                              ;   in Loop: Header=BB6_442 Depth=1
	s_cmp_gt_u32 s25, 7
	s_cbranch_scc1 .LBB6_468
; %bb.464:                              ;   in Loop: Header=BB6_442 Depth=1
	v_mov_b32_e32 v14, 0
	v_mov_b32_e32 v15, 0
	s_cmp_eq_u32 s25, 0
	s_cbranch_scc1 .LBB6_467
; %bb.465:                              ;   in Loop: Header=BB6_442 Depth=1
	s_mov_b64 s[20:21], 0
	s_mov_b64 s[22:23], 0
.LBB6_466:                              ;   Parent Loop BB6_442 Depth=1
                                        ; =>  This Inner Loop Header: Depth=2
	s_add_u32 s26, s4, s22
	s_addc_u32 s27, s5, s23
	s_add_u32 s22, s22, 1
	global_load_ubyte v6, v7, s[26:27]
	s_addc_u32 s23, s23, 0
	s_waitcnt vmcnt(0)
	v_and_b32_e32 v6, 0xffff, v6
	v_lshlrev_b64 v[16:17], s20, v[6:7]
	s_add_u32 s20, s20, 8
	s_addc_u32 s21, s21, 0
	s_cmp_lg_u32 s25, s22
	v_or_b32_e32 v14, v16, v14
	v_or_b32_e32 v15, v17, v15
	s_cbranch_scc1 .LBB6_466
.LBB6_467:                              ;   in Loop: Header=BB6_442 Depth=1
	s_mov_b32 s26, 0
	s_cbranch_execz .LBB6_469
	s_branch .LBB6_470
.LBB6_468:                              ;   in Loop: Header=BB6_442 Depth=1
                                        ; implicit-def: $vgpr14_vgpr15
                                        ; implicit-def: $sgpr26
.LBB6_469:                              ;   in Loop: Header=BB6_442 Depth=1
	global_load_dwordx2 v[14:15], v7, s[4:5]
	s_add_i32 s26, s25, -8
	s_add_u32 s4, s4, 8
	s_addc_u32 s5, s5, 0
.LBB6_470:                              ;   in Loop: Header=BB6_442 Depth=1
	s_cmp_gt_u32 s26, 7
	s_cbranch_scc1 .LBB6_475
; %bb.471:                              ;   in Loop: Header=BB6_442 Depth=1
	v_mov_b32_e32 v16, 0
	v_mov_b32_e32 v17, 0
	s_cmp_eq_u32 s26, 0
	s_cbranch_scc1 .LBB6_474
; %bb.472:                              ;   in Loop: Header=BB6_442 Depth=1
	s_mov_b64 s[20:21], 0
	s_mov_b64 s[22:23], 0
.LBB6_473:                              ;   Parent Loop BB6_442 Depth=1
                                        ; =>  This Inner Loop Header: Depth=2
	s_add_u32 s28, s4, s22
	s_addc_u32 s29, s5, s23
	s_add_u32 s22, s22, 1
	global_load_ubyte v6, v7, s[28:29]
	s_addc_u32 s23, s23, 0
	s_waitcnt vmcnt(0)
	v_and_b32_e32 v6, 0xffff, v6
	v_lshlrev_b64 v[18:19], s20, v[6:7]
	s_add_u32 s20, s20, 8
	s_addc_u32 s21, s21, 0
	s_cmp_lg_u32 s26, s22
	v_or_b32_e32 v16, v18, v16
	v_or_b32_e32 v17, v19, v17
	s_cbranch_scc1 .LBB6_473
.LBB6_474:                              ;   in Loop: Header=BB6_442 Depth=1
	s_mov_b32 s25, 0
	s_cbranch_execz .LBB6_476
	s_branch .LBB6_477
.LBB6_475:                              ;   in Loop: Header=BB6_442 Depth=1
                                        ; implicit-def: $sgpr25
.LBB6_476:                              ;   in Loop: Header=BB6_442 Depth=1
	global_load_dwordx2 v[16:17], v7, s[4:5]
	s_add_i32 s25, s26, -8
	s_add_u32 s4, s4, 8
	s_addc_u32 s5, s5, 0
.LBB6_477:                              ;   in Loop: Header=BB6_442 Depth=1
	s_cmp_gt_u32 s25, 7
	s_cbranch_scc1 .LBB6_482
; %bb.478:                              ;   in Loop: Header=BB6_442 Depth=1
	v_mov_b32_e32 v18, 0
	v_mov_b32_e32 v19, 0
	s_cmp_eq_u32 s25, 0
	s_cbranch_scc1 .LBB6_481
; %bb.479:                              ;   in Loop: Header=BB6_442 Depth=1
	s_mov_b64 s[20:21], 0
	s_mov_b64 s[22:23], 0
.LBB6_480:                              ;   Parent Loop BB6_442 Depth=1
                                        ; =>  This Inner Loop Header: Depth=2
	s_add_u32 s26, s4, s22
	s_addc_u32 s27, s5, s23
	s_add_u32 s22, s22, 1
	global_load_ubyte v6, v7, s[26:27]
	s_addc_u32 s23, s23, 0
	s_waitcnt vmcnt(0)
	v_and_b32_e32 v6, 0xffff, v6
	v_lshlrev_b64 v[20:21], s20, v[6:7]
	s_add_u32 s20, s20, 8
	s_addc_u32 s21, s21, 0
	s_cmp_lg_u32 s25, s22
	v_or_b32_e32 v18, v20, v18
	v_or_b32_e32 v19, v21, v19
	s_cbranch_scc1 .LBB6_480
.LBB6_481:                              ;   in Loop: Header=BB6_442 Depth=1
	s_mov_b32 s26, 0
	s_cbranch_execz .LBB6_483
	s_branch .LBB6_484
.LBB6_482:                              ;   in Loop: Header=BB6_442 Depth=1
                                        ; implicit-def: $vgpr18_vgpr19
                                        ; implicit-def: $sgpr26
.LBB6_483:                              ;   in Loop: Header=BB6_442 Depth=1
	global_load_dwordx2 v[18:19], v7, s[4:5]
	s_add_i32 s26, s25, -8
	s_add_u32 s4, s4, 8
	s_addc_u32 s5, s5, 0
.LBB6_484:                              ;   in Loop: Header=BB6_442 Depth=1
	s_cmp_gt_u32 s26, 7
	s_cbranch_scc1 .LBB6_489
; %bb.485:                              ;   in Loop: Header=BB6_442 Depth=1
	v_mov_b32_e32 v20, 0
	v_mov_b32_e32 v21, 0
	s_cmp_eq_u32 s26, 0
	s_cbranch_scc1 .LBB6_488
; %bb.486:                              ;   in Loop: Header=BB6_442 Depth=1
	s_mov_b64 s[20:21], 0
	s_mov_b64 s[22:23], s[4:5]
.LBB6_487:                              ;   Parent Loop BB6_442 Depth=1
                                        ; =>  This Inner Loop Header: Depth=2
	global_load_ubyte v6, v7, s[22:23]
	s_add_i32 s26, s26, -1
	s_waitcnt vmcnt(0)
	v_and_b32_e32 v6, 0xffff, v6
	v_lshlrev_b64 v[22:23], s20, v[6:7]
	s_add_u32 s20, s20, 8
	s_addc_u32 s21, s21, 0
	s_add_u32 s22, s22, 1
	s_addc_u32 s23, s23, 0
	s_cmp_lg_u32 s26, 0
	v_or_b32_e32 v20, v22, v20
	v_or_b32_e32 v21, v23, v21
	s_cbranch_scc1 .LBB6_487
.LBB6_488:                              ;   in Loop: Header=BB6_442 Depth=1
	s_cbranch_execz .LBB6_490
	s_branch .LBB6_491
.LBB6_489:                              ;   in Loop: Header=BB6_442 Depth=1
.LBB6_490:                              ;   in Loop: Header=BB6_442 Depth=1
	global_load_dwordx2 v[20:21], v7, s[4:5]
.LBB6_491:                              ;   in Loop: Header=BB6_442 Depth=1
	v_readfirstlane_b32 s4, v32
	v_mov_b32_e32 v26, 0
	v_mov_b32_e32 v27, 0
	v_cmp_eq_u32_e64 s4, s4, v32
	s_and_saveexec_b32 s5, s4
	s_cbranch_execz .LBB6_497
; %bb.492:                              ;   in Loop: Header=BB6_442 Depth=1
	global_load_dwordx2 v[24:25], v7, s[6:7] offset:24 glc dlc
	s_waitcnt vmcnt(0)
	buffer_gl1_inv
	buffer_gl0_inv
	s_clause 0x1
	global_load_dwordx2 v[22:23], v7, s[6:7] offset:40
	global_load_dwordx2 v[26:27], v7, s[6:7]
	s_mov_b32 s20, exec_lo
	s_waitcnt vmcnt(1)
	v_and_b32_e32 v6, v23, v25
	v_and_b32_e32 v22, v22, v24
	v_mul_lo_u32 v6, v6, 24
	v_mul_hi_u32 v23, v22, 24
	v_mul_lo_u32 v22, v22, 24
	v_add_nc_u32_e32 v6, v23, v6
	s_waitcnt vmcnt(0)
	v_add_co_u32 v22, vcc_lo, v26, v22
	v_add_co_ci_u32_e32 v23, vcc_lo, v27, v6, vcc_lo
	global_load_dwordx2 v[22:23], v[22:23], off glc dlc
	s_waitcnt vmcnt(0)
	global_atomic_cmpswap_x2 v[26:27], v7, v[22:25], s[6:7] offset:24 glc
	s_waitcnt vmcnt(0)
	buffer_gl1_inv
	buffer_gl0_inv
	v_cmpx_ne_u64_e64 v[26:27], v[24:25]
	s_cbranch_execz .LBB6_496
; %bb.493:                              ;   in Loop: Header=BB6_442 Depth=1
	s_mov_b32 s21, 0
	.p2align	6
.LBB6_494:                              ;   Parent Loop BB6_442 Depth=1
                                        ; =>  This Inner Loop Header: Depth=2
	s_sleep 1
	s_clause 0x1
	global_load_dwordx2 v[22:23], v7, s[6:7] offset:40
	global_load_dwordx2 v[29:30], v7, s[6:7]
	v_mov_b32_e32 v24, v26
	v_mov_b32_e32 v25, v27
	s_waitcnt vmcnt(1)
	v_and_b32_e32 v6, v22, v24
	v_and_b32_e32 v22, v23, v25
	s_waitcnt vmcnt(0)
	v_mad_u64_u32 v[26:27], null, v6, 24, v[29:30]
	v_mov_b32_e32 v6, v27
	v_mad_u64_u32 v[22:23], null, v22, 24, v[6:7]
	v_mov_b32_e32 v27, v22
	global_load_dwordx2 v[22:23], v[26:27], off glc dlc
	s_waitcnt vmcnt(0)
	global_atomic_cmpswap_x2 v[26:27], v7, v[22:25], s[6:7] offset:24 glc
	s_waitcnt vmcnt(0)
	buffer_gl1_inv
	buffer_gl0_inv
	v_cmp_eq_u64_e32 vcc_lo, v[26:27], v[24:25]
	s_or_b32 s21, vcc_lo, s21
	s_andn2_b32 exec_lo, exec_lo, s21
	s_cbranch_execnz .LBB6_494
; %bb.495:                              ;   in Loop: Header=BB6_442 Depth=1
	s_or_b32 exec_lo, exec_lo, s21
.LBB6_496:                              ;   in Loop: Header=BB6_442 Depth=1
	s_or_b32 exec_lo, exec_lo, s20
.LBB6_497:                              ;   in Loop: Header=BB6_442 Depth=1
	s_or_b32 exec_lo, exec_lo, s5
	s_clause 0x1
	global_load_dwordx2 v[29:30], v7, s[6:7] offset:40
	global_load_dwordx4 v[22:25], v7, s[6:7]
	v_readfirstlane_b32 s20, v26
	v_readfirstlane_b32 s21, v27
	s_mov_b32 s5, exec_lo
	s_waitcnt vmcnt(1)
	v_readfirstlane_b32 s22, v29
	v_readfirstlane_b32 s23, v30
	s_and_b64 s[22:23], s[20:21], s[22:23]
	s_mul_i32 s25, s23, 24
	s_mul_hi_u32 s26, s22, 24
	s_mul_i32 s27, s22, 24
	s_add_i32 s26, s26, s25
	s_waitcnt vmcnt(0)
	v_add_co_u32 v26, vcc_lo, v22, s27
	v_add_co_ci_u32_e32 v27, vcc_lo, s26, v23, vcc_lo
	s_and_saveexec_b32 s25, s4
	s_cbranch_execz .LBB6_499
; %bb.498:                              ;   in Loop: Header=BB6_442 Depth=1
	v_mov_b32_e32 v6, s5
	global_store_dwordx4 v[26:27], v[6:9], off offset:8
.LBB6_499:                              ;   in Loop: Header=BB6_442 Depth=1
	s_or_b32 exec_lo, exec_lo, s25
	s_lshl_b64 s[22:23], s[22:23], 12
	v_cmp_gt_u64_e64 vcc_lo, s[16:17], 56
	v_or_b32_e32 v29, v0, v28
	v_add_co_u32 v24, s5, v24, s22
	v_add_co_ci_u32_e64 v25, s5, s23, v25, s5
	s_lshl_b32 s5, s18, 2
	v_or_b32_e32 v6, 0, v1
	v_cndmask_b32_e32 v0, v29, v0, vcc_lo
	s_add_i32 s5, s5, 28
	v_readfirstlane_b32 s22, v24
	s_and_b32 s5, s5, 0x1e0
	v_cndmask_b32_e32 v1, v6, v1, vcc_lo
	v_readfirstlane_b32 s23, v25
	v_and_or_b32 v0, 0xffffff1f, v0, s5
	global_store_dwordx4 v31, v[0:3], s[22:23]
	global_store_dwordx4 v31, v[10:13], s[22:23] offset:16
	global_store_dwordx4 v31, v[14:17], s[22:23] offset:32
	;; [unrolled: 1-line block ×3, first 2 shown]
	s_and_saveexec_b32 s5, s4
	s_cbranch_execz .LBB6_507
; %bb.500:                              ;   in Loop: Header=BB6_442 Depth=1
	s_clause 0x1
	global_load_dwordx2 v[14:15], v7, s[6:7] offset:32 glc dlc
	global_load_dwordx2 v[0:1], v7, s[6:7] offset:40
	v_mov_b32_e32 v12, s20
	v_mov_b32_e32 v13, s21
	s_waitcnt vmcnt(0)
	v_readfirstlane_b32 s22, v0
	v_readfirstlane_b32 s23, v1
	s_and_b64 s[22:23], s[22:23], s[20:21]
	s_mul_i32 s23, s23, 24
	s_mul_hi_u32 s25, s22, 24
	s_mul_i32 s22, s22, 24
	s_add_i32 s25, s25, s23
	v_add_co_u32 v10, vcc_lo, v22, s22
	v_add_co_ci_u32_e32 v11, vcc_lo, s25, v23, vcc_lo
	s_mov_b32 s22, exec_lo
	global_store_dwordx2 v[10:11], v[14:15], off
	s_waitcnt_vscnt null, 0x0
	global_atomic_cmpswap_x2 v[2:3], v7, v[12:15], s[6:7] offset:32 glc
	s_waitcnt vmcnt(0)
	v_cmpx_ne_u64_e64 v[2:3], v[14:15]
	s_cbranch_execz .LBB6_503
; %bb.501:                              ;   in Loop: Header=BB6_442 Depth=1
	s_mov_b32 s23, 0
.LBB6_502:                              ;   Parent Loop BB6_442 Depth=1
                                        ; =>  This Inner Loop Header: Depth=2
	v_mov_b32_e32 v0, s20
	v_mov_b32_e32 v1, s21
	s_sleep 1
	global_store_dwordx2 v[10:11], v[2:3], off
	s_waitcnt_vscnt null, 0x0
	global_atomic_cmpswap_x2 v[0:1], v7, v[0:3], s[6:7] offset:32 glc
	s_waitcnt vmcnt(0)
	v_cmp_eq_u64_e32 vcc_lo, v[0:1], v[2:3]
	v_mov_b32_e32 v3, v1
	v_mov_b32_e32 v2, v0
	s_or_b32 s23, vcc_lo, s23
	s_andn2_b32 exec_lo, exec_lo, s23
	s_cbranch_execnz .LBB6_502
.LBB6_503:                              ;   in Loop: Header=BB6_442 Depth=1
	s_or_b32 exec_lo, exec_lo, s22
	global_load_dwordx2 v[0:1], v7, s[6:7] offset:16
	s_mov_b32 s23, exec_lo
	s_mov_b32 s22, exec_lo
	v_mbcnt_lo_u32_b32 v2, s23, 0
	v_cmpx_eq_u32_e32 0, v2
	s_cbranch_execz .LBB6_505
; %bb.504:                              ;   in Loop: Header=BB6_442 Depth=1
	s_bcnt1_i32_b32 s23, s23
	v_mov_b32_e32 v6, s23
	s_waitcnt vmcnt(0)
	global_atomic_add_x2 v[0:1], v[6:7], off offset:8
.LBB6_505:                              ;   in Loop: Header=BB6_442 Depth=1
	s_or_b32 exec_lo, exec_lo, s22
	s_waitcnt vmcnt(0)
	global_load_dwordx2 v[2:3], v[0:1], off offset:16
	s_waitcnt vmcnt(0)
	v_cmp_eq_u64_e32 vcc_lo, 0, v[2:3]
	s_cbranch_vccnz .LBB6_507
; %bb.506:                              ;   in Loop: Header=BB6_442 Depth=1
	global_load_dword v6, v[0:1], off offset:24
	s_waitcnt vmcnt(0)
	v_and_b32_e32 v0, 0x7fffff, v6
	s_waitcnt_vscnt null, 0x0
	global_store_dwordx2 v[2:3], v[6:7], off
	v_readfirstlane_b32 m0, v0
	s_sendmsg sendmsg(MSG_INTERRUPT)
.LBB6_507:                              ;   in Loop: Header=BB6_442 Depth=1
	s_or_b32 exec_lo, exec_lo, s5
	v_add_co_u32 v0, vcc_lo, v24, v31
	v_add_co_ci_u32_e32 v1, vcc_lo, 0, v25, vcc_lo
	s_branch .LBB6_511
	.p2align	6
.LBB6_508:                              ;   in Loop: Header=BB6_511 Depth=2
	s_or_b32 exec_lo, exec_lo, s5
	v_readfirstlane_b32 s5, v2
	s_cmp_eq_u32 s5, 0
	s_cbranch_scc1 .LBB6_510
; %bb.509:                              ;   in Loop: Header=BB6_511 Depth=2
	s_sleep 1
	s_cbranch_execnz .LBB6_511
	s_branch .LBB6_513
	.p2align	6
.LBB6_510:                              ;   in Loop: Header=BB6_442 Depth=1
	s_branch .LBB6_513
.LBB6_511:                              ;   Parent Loop BB6_442 Depth=1
                                        ; =>  This Inner Loop Header: Depth=2
	v_mov_b32_e32 v2, 1
	s_and_saveexec_b32 s5, s4
	s_cbranch_execz .LBB6_508
; %bb.512:                              ;   in Loop: Header=BB6_511 Depth=2
	global_load_dword v2, v[26:27], off offset:20 glc dlc
	s_waitcnt vmcnt(0)
	buffer_gl1_inv
	buffer_gl0_inv
	v_and_b32_e32 v2, 1, v2
	s_branch .LBB6_508
.LBB6_513:                              ;   in Loop: Header=BB6_442 Depth=1
	global_load_dwordx4 v[0:3], v[0:1], off
	s_and_saveexec_b32 s5, s4
	s_cbranch_execz .LBB6_441
; %bb.514:                              ;   in Loop: Header=BB6_442 Depth=1
	s_clause 0x2
	global_load_dwordx2 v[2:3], v7, s[6:7] offset:40
	global_load_dwordx2 v[14:15], v7, s[6:7] offset:24 glc dlc
	global_load_dwordx2 v[12:13], v7, s[6:7]
	s_waitcnt vmcnt(2)
	v_add_co_u32 v6, vcc_lo, v2, 1
	v_add_co_ci_u32_e32 v16, vcc_lo, 0, v3, vcc_lo
	v_add_co_u32 v10, vcc_lo, v6, s20
	v_add_co_ci_u32_e32 v11, vcc_lo, s21, v16, vcc_lo
	v_cmp_eq_u64_e32 vcc_lo, 0, v[10:11]
	v_cndmask_b32_e32 v11, v11, v16, vcc_lo
	v_cndmask_b32_e32 v10, v10, v6, vcc_lo
	v_and_b32_e32 v3, v11, v3
	v_and_b32_e32 v2, v10, v2
	v_mul_lo_u32 v3, v3, 24
	v_mul_hi_u32 v6, v2, 24
	v_mul_lo_u32 v2, v2, 24
	v_add_nc_u32_e32 v3, v6, v3
	s_waitcnt vmcnt(0)
	v_add_co_u32 v2, vcc_lo, v12, v2
	v_mov_b32_e32 v12, v14
	v_add_co_ci_u32_e32 v3, vcc_lo, v13, v3, vcc_lo
	v_mov_b32_e32 v13, v15
	global_store_dwordx2 v[2:3], v[14:15], off
	s_waitcnt_vscnt null, 0x0
	global_atomic_cmpswap_x2 v[12:13], v7, v[10:13], s[6:7] offset:24 glc
	s_waitcnt vmcnt(0)
	v_cmp_ne_u64_e32 vcc_lo, v[12:13], v[14:15]
	s_and_b32 exec_lo, exec_lo, vcc_lo
	s_cbranch_execz .LBB6_441
; %bb.515:                              ;   in Loop: Header=BB6_442 Depth=1
	s_mov_b32 s4, 0
.LBB6_516:                              ;   Parent Loop BB6_442 Depth=1
                                        ; =>  This Inner Loop Header: Depth=2
	s_sleep 1
	global_store_dwordx2 v[2:3], v[12:13], off
	s_waitcnt_vscnt null, 0x0
	global_atomic_cmpswap_x2 v[14:15], v7, v[10:13], s[6:7] offset:24 glc
	s_waitcnt vmcnt(0)
	v_cmp_eq_u64_e32 vcc_lo, v[14:15], v[12:13]
	v_mov_b32_e32 v12, v14
	v_mov_b32_e32 v13, v15
	s_or_b32 s4, vcc_lo, s4
	s_andn2_b32 exec_lo, exec_lo, s4
	s_cbranch_execnz .LBB6_516
	s_branch .LBB6_441
.LBB6_517:
	s_branch .LBB6_546
.LBB6_518:
                                        ; implicit-def: $vgpr0_vgpr1
	s_cbranch_execz .LBB6_546
; %bb.519:
	v_readfirstlane_b32 s4, v32
	v_mov_b32_e32 v7, 0
	v_mov_b32_e32 v8, 0
	v_cmp_eq_u32_e64 s4, s4, v32
	s_and_saveexec_b32 s5, s4
	s_cbranch_execz .LBB6_525
; %bb.520:
	s_waitcnt vmcnt(0)
	v_mov_b32_e32 v0, 0
	s_mov_b32 s10, exec_lo
	global_load_dwordx2 v[9:10], v0, s[6:7] offset:24 glc dlc
	s_waitcnt vmcnt(0)
	buffer_gl1_inv
	buffer_gl0_inv
	s_clause 0x1
	global_load_dwordx2 v[1:2], v0, s[6:7] offset:40
	global_load_dwordx2 v[6:7], v0, s[6:7]
	s_waitcnt vmcnt(1)
	v_and_b32_e32 v2, v2, v10
	v_and_b32_e32 v1, v1, v9
	v_mul_lo_u32 v2, v2, 24
	v_mul_hi_u32 v3, v1, 24
	v_mul_lo_u32 v1, v1, 24
	v_add_nc_u32_e32 v2, v3, v2
	s_waitcnt vmcnt(0)
	v_add_co_u32 v1, vcc_lo, v6, v1
	v_add_co_ci_u32_e32 v2, vcc_lo, v7, v2, vcc_lo
	global_load_dwordx2 v[7:8], v[1:2], off glc dlc
	s_waitcnt vmcnt(0)
	global_atomic_cmpswap_x2 v[7:8], v0, v[7:10], s[6:7] offset:24 glc
	s_waitcnt vmcnt(0)
	buffer_gl1_inv
	buffer_gl0_inv
	v_cmpx_ne_u64_e64 v[7:8], v[9:10]
	s_cbranch_execz .LBB6_524
; %bb.521:
	s_mov_b32 s11, 0
	.p2align	6
.LBB6_522:                              ; =>This Inner Loop Header: Depth=1
	s_sleep 1
	s_clause 0x1
	global_load_dwordx2 v[1:2], v0, s[6:7] offset:40
	global_load_dwordx2 v[11:12], v0, s[6:7]
	v_mov_b32_e32 v10, v8
	v_mov_b32_e32 v9, v7
	s_waitcnt vmcnt(1)
	v_and_b32_e32 v1, v1, v9
	v_and_b32_e32 v2, v2, v10
	s_waitcnt vmcnt(0)
	v_mad_u64_u32 v[6:7], null, v1, 24, v[11:12]
	v_mov_b32_e32 v1, v7
	v_mad_u64_u32 v[1:2], null, v2, 24, v[1:2]
	v_mov_b32_e32 v7, v1
	global_load_dwordx2 v[7:8], v[6:7], off glc dlc
	s_waitcnt vmcnt(0)
	global_atomic_cmpswap_x2 v[7:8], v0, v[7:10], s[6:7] offset:24 glc
	s_waitcnt vmcnt(0)
	buffer_gl1_inv
	buffer_gl0_inv
	v_cmp_eq_u64_e32 vcc_lo, v[7:8], v[9:10]
	s_or_b32 s11, vcc_lo, s11
	s_andn2_b32 exec_lo, exec_lo, s11
	s_cbranch_execnz .LBB6_522
; %bb.523:
	s_or_b32 exec_lo, exec_lo, s11
.LBB6_524:
	s_or_b32 exec_lo, exec_lo, s10
.LBB6_525:
	s_or_b32 exec_lo, exec_lo, s5
	v_mov_b32_e32 v6, 0
	v_readfirstlane_b32 s10, v7
	v_readfirstlane_b32 s11, v8
	s_mov_b32 s5, exec_lo
	s_clause 0x1
	global_load_dwordx2 v[9:10], v6, s[6:7] offset:40
	global_load_dwordx4 v[0:3], v6, s[6:7]
	s_waitcnt vmcnt(1)
	v_readfirstlane_b32 s16, v9
	v_readfirstlane_b32 s17, v10
	s_and_b64 s[16:17], s[10:11], s[16:17]
	s_mul_i32 s18, s17, 24
	s_mul_hi_u32 s19, s16, 24
	s_mul_i32 s20, s16, 24
	s_add_i32 s19, s19, s18
	s_waitcnt vmcnt(0)
	v_add_co_u32 v8, vcc_lo, v0, s20
	v_add_co_ci_u32_e32 v9, vcc_lo, s19, v1, vcc_lo
	s_and_saveexec_b32 s18, s4
	s_cbranch_execz .LBB6_527
; %bb.526:
	v_mov_b32_e32 v10, s5
	v_mov_b32_e32 v11, v6
	;; [unrolled: 1-line block ×4, first 2 shown]
	global_store_dwordx4 v[8:9], v[10:13], off offset:8
.LBB6_527:
	s_or_b32 exec_lo, exec_lo, s18
	s_lshl_b64 s[16:17], s[16:17], 12
	v_and_or_b32 v4, 0xffffff1f, v4, 32
	v_add_co_u32 v2, vcc_lo, v2, s16
	v_add_co_ci_u32_e32 v3, vcc_lo, s17, v3, vcc_lo
	s_mov_b32 s16, 0
	v_add_co_u32 v10, vcc_lo, v2, v31
	s_mov_b32 s17, s16
	s_mov_b32 s18, s16
	;; [unrolled: 1-line block ×3, first 2 shown]
	v_mov_b32_e32 v7, v6
	v_readfirstlane_b32 s20, v2
	v_readfirstlane_b32 s21, v3
	v_mov_b32_e32 v12, s16
	v_add_co_ci_u32_e32 v11, vcc_lo, 0, v3, vcc_lo
	v_mov_b32_e32 v13, s17
	v_mov_b32_e32 v14, s18
	;; [unrolled: 1-line block ×3, first 2 shown]
	global_store_dwordx4 v31, v[4:7], s[20:21]
	global_store_dwordx4 v31, v[12:15], s[20:21] offset:16
	global_store_dwordx4 v31, v[12:15], s[20:21] offset:32
	;; [unrolled: 1-line block ×3, first 2 shown]
	s_and_saveexec_b32 s5, s4
	s_cbranch_execz .LBB6_535
; %bb.528:
	v_mov_b32_e32 v6, 0
	v_mov_b32_e32 v12, s10
	;; [unrolled: 1-line block ×3, first 2 shown]
	s_clause 0x1
	global_load_dwordx2 v[14:15], v6, s[6:7] offset:32 glc dlc
	global_load_dwordx2 v[2:3], v6, s[6:7] offset:40
	s_waitcnt vmcnt(0)
	v_readfirstlane_b32 s16, v2
	v_readfirstlane_b32 s17, v3
	s_and_b64 s[16:17], s[16:17], s[10:11]
	s_mul_i32 s17, s17, 24
	s_mul_hi_u32 s18, s16, 24
	s_mul_i32 s16, s16, 24
	s_add_i32 s18, s18, s17
	v_add_co_u32 v4, vcc_lo, v0, s16
	v_add_co_ci_u32_e32 v5, vcc_lo, s18, v1, vcc_lo
	s_mov_b32 s16, exec_lo
	global_store_dwordx2 v[4:5], v[14:15], off
	s_waitcnt_vscnt null, 0x0
	global_atomic_cmpswap_x2 v[2:3], v6, v[12:15], s[6:7] offset:32 glc
	s_waitcnt vmcnt(0)
	v_cmpx_ne_u64_e64 v[2:3], v[14:15]
	s_cbranch_execz .LBB6_531
; %bb.529:
	s_mov_b32 s17, 0
.LBB6_530:                              ; =>This Inner Loop Header: Depth=1
	v_mov_b32_e32 v0, s10
	v_mov_b32_e32 v1, s11
	s_sleep 1
	global_store_dwordx2 v[4:5], v[2:3], off
	s_waitcnt_vscnt null, 0x0
	global_atomic_cmpswap_x2 v[0:1], v6, v[0:3], s[6:7] offset:32 glc
	s_waitcnt vmcnt(0)
	v_cmp_eq_u64_e32 vcc_lo, v[0:1], v[2:3]
	v_mov_b32_e32 v3, v1
	v_mov_b32_e32 v2, v0
	s_or_b32 s17, vcc_lo, s17
	s_andn2_b32 exec_lo, exec_lo, s17
	s_cbranch_execnz .LBB6_530
.LBB6_531:
	s_or_b32 exec_lo, exec_lo, s16
	v_mov_b32_e32 v3, 0
	s_mov_b32 s17, exec_lo
	s_mov_b32 s16, exec_lo
	v_mbcnt_lo_u32_b32 v2, s17, 0
	global_load_dwordx2 v[0:1], v3, s[6:7] offset:16
	v_cmpx_eq_u32_e32 0, v2
	s_cbranch_execz .LBB6_533
; %bb.532:
	s_bcnt1_i32_b32 s17, s17
	v_mov_b32_e32 v2, s17
	s_waitcnt vmcnt(0)
	global_atomic_add_x2 v[0:1], v[2:3], off offset:8
.LBB6_533:
	s_or_b32 exec_lo, exec_lo, s16
	s_waitcnt vmcnt(0)
	global_load_dwordx2 v[2:3], v[0:1], off offset:16
	s_waitcnt vmcnt(0)
	v_cmp_eq_u64_e32 vcc_lo, 0, v[2:3]
	s_cbranch_vccnz .LBB6_535
; %bb.534:
	global_load_dword v0, v[0:1], off offset:24
	v_mov_b32_e32 v1, 0
	s_waitcnt vmcnt(0)
	v_and_b32_e32 v4, 0x7fffff, v0
	s_waitcnt_vscnt null, 0x0
	global_store_dwordx2 v[2:3], v[0:1], off
	v_readfirstlane_b32 m0, v4
	s_sendmsg sendmsg(MSG_INTERRUPT)
.LBB6_535:
	s_or_b32 exec_lo, exec_lo, s5
	s_branch .LBB6_539
	.p2align	6
.LBB6_536:                              ;   in Loop: Header=BB6_539 Depth=1
	s_or_b32 exec_lo, exec_lo, s5
	v_readfirstlane_b32 s5, v0
	s_cmp_eq_u32 s5, 0
	s_cbranch_scc1 .LBB6_538
; %bb.537:                              ;   in Loop: Header=BB6_539 Depth=1
	s_sleep 1
	s_cbranch_execnz .LBB6_539
	s_branch .LBB6_541
	.p2align	6
.LBB6_538:
	s_branch .LBB6_541
.LBB6_539:                              ; =>This Inner Loop Header: Depth=1
	v_mov_b32_e32 v0, 1
	s_and_saveexec_b32 s5, s4
	s_cbranch_execz .LBB6_536
; %bb.540:                              ;   in Loop: Header=BB6_539 Depth=1
	global_load_dword v0, v[8:9], off offset:20 glc dlc
	s_waitcnt vmcnt(0)
	buffer_gl1_inv
	buffer_gl0_inv
	v_and_b32_e32 v0, 1, v0
	s_branch .LBB6_536
.LBB6_541:
	global_load_dwordx2 v[0:1], v[10:11], off
	s_and_saveexec_b32 s5, s4
	s_cbranch_execz .LBB6_545
; %bb.542:
	v_mov_b32_e32 v8, 0
	s_clause 0x2
	global_load_dwordx2 v[4:5], v8, s[6:7] offset:40
	global_load_dwordx2 v[9:10], v8, s[6:7] offset:24 glc dlc
	global_load_dwordx2 v[6:7], v8, s[6:7]
	s_waitcnt vmcnt(2)
	v_add_co_u32 v11, vcc_lo, v4, 1
	v_add_co_ci_u32_e32 v12, vcc_lo, 0, v5, vcc_lo
	v_add_co_u32 v2, vcc_lo, v11, s10
	v_add_co_ci_u32_e32 v3, vcc_lo, s11, v12, vcc_lo
	v_cmp_eq_u64_e32 vcc_lo, 0, v[2:3]
	v_cndmask_b32_e32 v3, v3, v12, vcc_lo
	v_cndmask_b32_e32 v2, v2, v11, vcc_lo
	v_and_b32_e32 v5, v3, v5
	v_and_b32_e32 v4, v2, v4
	v_mul_lo_u32 v5, v5, 24
	v_mul_hi_u32 v11, v4, 24
	v_mul_lo_u32 v4, v4, 24
	v_add_nc_u32_e32 v5, v11, v5
	s_waitcnt vmcnt(0)
	v_add_co_u32 v6, vcc_lo, v6, v4
	v_mov_b32_e32 v4, v9
	v_add_co_ci_u32_e32 v7, vcc_lo, v7, v5, vcc_lo
	v_mov_b32_e32 v5, v10
	global_store_dwordx2 v[6:7], v[9:10], off
	s_waitcnt_vscnt null, 0x0
	global_atomic_cmpswap_x2 v[4:5], v8, v[2:5], s[6:7] offset:24 glc
	s_waitcnt vmcnt(0)
	v_cmp_ne_u64_e32 vcc_lo, v[4:5], v[9:10]
	s_and_b32 exec_lo, exec_lo, vcc_lo
	s_cbranch_execz .LBB6_545
; %bb.543:
	s_mov_b32 s4, 0
.LBB6_544:                              ; =>This Inner Loop Header: Depth=1
	s_sleep 1
	global_store_dwordx2 v[6:7], v[4:5], off
	s_waitcnt_vscnt null, 0x0
	global_atomic_cmpswap_x2 v[9:10], v8, v[2:5], s[6:7] offset:24 glc
	s_waitcnt vmcnt(0)
	v_cmp_eq_u64_e32 vcc_lo, v[9:10], v[4:5]
	v_mov_b32_e32 v4, v9
	v_mov_b32_e32 v5, v10
	s_or_b32 s4, vcc_lo, s4
	s_andn2_b32 exec_lo, exec_lo, s4
	s_cbranch_execnz .LBB6_544
.LBB6_545:
	s_or_b32 exec_lo, exec_lo, s5
.LBB6_546:
	s_getpc_b64 s[10:11]
	s_add_u32 s10, s10, .str.1@rel32@lo+4
	s_addc_u32 s11, s11, .str.1@rel32@hi+12
	s_cmp_lg_u64 s[10:11], 0
	s_cbranch_scc0 .LBB6_625
; %bb.547:
	s_waitcnt vmcnt(0)
	v_and_b32_e32 v6, -3, v0
	v_mov_b32_e32 v7, v1
	v_mov_b32_e32 v3, 0
	;; [unrolled: 1-line block ×4, first 2 shown]
	s_mov_b64 s[16:17], 0x53
	s_branch .LBB6_549
.LBB6_548:                              ;   in Loop: Header=BB6_549 Depth=1
	s_or_b32 exec_lo, exec_lo, s5
	s_sub_u32 s16, s16, s18
	s_subb_u32 s17, s17, s19
	s_add_u32 s10, s10, s18
	s_addc_u32 s11, s11, s19
	s_cmp_lg_u64 s[16:17], 0
	s_cbranch_scc0 .LBB6_624
.LBB6_549:                              ; =>This Loop Header: Depth=1
                                        ;     Child Loop BB6_558 Depth 2
                                        ;     Child Loop BB6_554 Depth 2
	;; [unrolled: 1-line block ×11, first 2 shown]
	v_cmp_lt_u64_e64 s4, s[16:17], 56
	v_cmp_gt_u64_e64 s5, s[16:17], 7
                                        ; implicit-def: $sgpr25
	s_and_b32 s4, s4, exec_lo
	s_cselect_b32 s19, s17, 0
	s_cselect_b32 s18, s16, 56
	s_and_b32 vcc_lo, exec_lo, s5
	s_mov_b32 s4, -1
	s_cbranch_vccz .LBB6_556
; %bb.550:                              ;   in Loop: Header=BB6_549 Depth=1
	s_andn2_b32 vcc_lo, exec_lo, s4
	s_mov_b64 s[4:5], s[10:11]
	s_cbranch_vccz .LBB6_560
.LBB6_551:                              ;   in Loop: Header=BB6_549 Depth=1
	s_cmp_gt_u32 s25, 7
	s_cbranch_scc1 .LBB6_561
.LBB6_552:                              ;   in Loop: Header=BB6_549 Depth=1
	v_mov_b32_e32 v10, 0
	v_mov_b32_e32 v11, 0
	s_cmp_eq_u32 s25, 0
	s_cbranch_scc1 .LBB6_555
; %bb.553:                              ;   in Loop: Header=BB6_549 Depth=1
	s_mov_b64 s[20:21], 0
	s_mov_b64 s[22:23], 0
.LBB6_554:                              ;   Parent Loop BB6_549 Depth=1
                                        ; =>  This Inner Loop Header: Depth=2
	s_add_u32 s26, s4, s22
	s_addc_u32 s27, s5, s23
	s_add_u32 s22, s22, 1
	global_load_ubyte v2, v3, s[26:27]
	s_addc_u32 s23, s23, 0
	s_waitcnt vmcnt(0)
	v_and_b32_e32 v2, 0xffff, v2
	v_lshlrev_b64 v[12:13], s20, v[2:3]
	s_add_u32 s20, s20, 8
	s_addc_u32 s21, s21, 0
	s_cmp_lg_u32 s25, s22
	v_or_b32_e32 v10, v12, v10
	v_or_b32_e32 v11, v13, v11
	s_cbranch_scc1 .LBB6_554
.LBB6_555:                              ;   in Loop: Header=BB6_549 Depth=1
	s_mov_b32 s26, 0
	s_cbranch_execz .LBB6_562
	s_branch .LBB6_563
.LBB6_556:                              ;   in Loop: Header=BB6_549 Depth=1
	s_waitcnt vmcnt(0)
	v_mov_b32_e32 v8, 0
	v_mov_b32_e32 v9, 0
	s_cmp_eq_u64 s[16:17], 0
	s_mov_b64 s[4:5], 0
	s_cbranch_scc1 .LBB6_559
; %bb.557:                              ;   in Loop: Header=BB6_549 Depth=1
	v_mov_b32_e32 v8, 0
	v_mov_b32_e32 v9, 0
	s_lshl_b64 s[20:21], s[18:19], 3
	s_mov_b64 s[22:23], s[10:11]
.LBB6_558:                              ;   Parent Loop BB6_549 Depth=1
                                        ; =>  This Inner Loop Header: Depth=2
	global_load_ubyte v2, v3, s[22:23]
	s_waitcnt vmcnt(0)
	v_and_b32_e32 v2, 0xffff, v2
	v_lshlrev_b64 v[10:11], s4, v[2:3]
	s_add_u32 s4, s4, 8
	s_addc_u32 s5, s5, 0
	s_add_u32 s22, s22, 1
	s_addc_u32 s23, s23, 0
	s_cmp_lg_u32 s20, s4
	v_or_b32_e32 v8, v10, v8
	v_or_b32_e32 v9, v11, v9
	s_cbranch_scc1 .LBB6_558
.LBB6_559:                              ;   in Loop: Header=BB6_549 Depth=1
	s_mov_b32 s25, 0
	s_mov_b64 s[4:5], s[10:11]
	s_cbranch_execnz .LBB6_551
.LBB6_560:                              ;   in Loop: Header=BB6_549 Depth=1
	global_load_dwordx2 v[8:9], v3, s[10:11]
	s_add_i32 s25, s18, -8
	s_add_u32 s4, s10, 8
	s_addc_u32 s5, s11, 0
	s_cmp_gt_u32 s25, 7
	s_cbranch_scc0 .LBB6_552
.LBB6_561:                              ;   in Loop: Header=BB6_549 Depth=1
                                        ; implicit-def: $vgpr10_vgpr11
                                        ; implicit-def: $sgpr26
.LBB6_562:                              ;   in Loop: Header=BB6_549 Depth=1
	global_load_dwordx2 v[10:11], v3, s[4:5]
	s_add_i32 s26, s25, -8
	s_add_u32 s4, s4, 8
	s_addc_u32 s5, s5, 0
.LBB6_563:                              ;   in Loop: Header=BB6_549 Depth=1
	s_cmp_gt_u32 s26, 7
	s_cbranch_scc1 .LBB6_568
; %bb.564:                              ;   in Loop: Header=BB6_549 Depth=1
	v_mov_b32_e32 v12, 0
	v_mov_b32_e32 v13, 0
	s_cmp_eq_u32 s26, 0
	s_cbranch_scc1 .LBB6_567
; %bb.565:                              ;   in Loop: Header=BB6_549 Depth=1
	s_mov_b64 s[20:21], 0
	s_mov_b64 s[22:23], 0
.LBB6_566:                              ;   Parent Loop BB6_549 Depth=1
                                        ; =>  This Inner Loop Header: Depth=2
	s_add_u32 s28, s4, s22
	s_addc_u32 s29, s5, s23
	s_add_u32 s22, s22, 1
	global_load_ubyte v2, v3, s[28:29]
	s_addc_u32 s23, s23, 0
	s_waitcnt vmcnt(0)
	v_and_b32_e32 v2, 0xffff, v2
	v_lshlrev_b64 v[14:15], s20, v[2:3]
	s_add_u32 s20, s20, 8
	s_addc_u32 s21, s21, 0
	s_cmp_lg_u32 s26, s22
	v_or_b32_e32 v12, v14, v12
	v_or_b32_e32 v13, v15, v13
	s_cbranch_scc1 .LBB6_566
.LBB6_567:                              ;   in Loop: Header=BB6_549 Depth=1
	s_mov_b32 s25, 0
	s_cbranch_execz .LBB6_569
	s_branch .LBB6_570
.LBB6_568:                              ;   in Loop: Header=BB6_549 Depth=1
                                        ; implicit-def: $sgpr25
.LBB6_569:                              ;   in Loop: Header=BB6_549 Depth=1
	global_load_dwordx2 v[12:13], v3, s[4:5]
	s_add_i32 s25, s26, -8
	s_add_u32 s4, s4, 8
	s_addc_u32 s5, s5, 0
.LBB6_570:                              ;   in Loop: Header=BB6_549 Depth=1
	s_cmp_gt_u32 s25, 7
	s_cbranch_scc1 .LBB6_575
; %bb.571:                              ;   in Loop: Header=BB6_549 Depth=1
	v_mov_b32_e32 v14, 0
	v_mov_b32_e32 v15, 0
	s_cmp_eq_u32 s25, 0
	s_cbranch_scc1 .LBB6_574
; %bb.572:                              ;   in Loop: Header=BB6_549 Depth=1
	s_mov_b64 s[20:21], 0
	s_mov_b64 s[22:23], 0
.LBB6_573:                              ;   Parent Loop BB6_549 Depth=1
                                        ; =>  This Inner Loop Header: Depth=2
	s_add_u32 s26, s4, s22
	s_addc_u32 s27, s5, s23
	s_add_u32 s22, s22, 1
	global_load_ubyte v2, v3, s[26:27]
	s_addc_u32 s23, s23, 0
	s_waitcnt vmcnt(0)
	v_and_b32_e32 v2, 0xffff, v2
	v_lshlrev_b64 v[16:17], s20, v[2:3]
	s_add_u32 s20, s20, 8
	s_addc_u32 s21, s21, 0
	s_cmp_lg_u32 s25, s22
	v_or_b32_e32 v14, v16, v14
	v_or_b32_e32 v15, v17, v15
	s_cbranch_scc1 .LBB6_573
.LBB6_574:                              ;   in Loop: Header=BB6_549 Depth=1
	s_mov_b32 s26, 0
	s_cbranch_execz .LBB6_576
	s_branch .LBB6_577
.LBB6_575:                              ;   in Loop: Header=BB6_549 Depth=1
                                        ; implicit-def: $vgpr14_vgpr15
                                        ; implicit-def: $sgpr26
.LBB6_576:                              ;   in Loop: Header=BB6_549 Depth=1
	global_load_dwordx2 v[14:15], v3, s[4:5]
	s_add_i32 s26, s25, -8
	s_add_u32 s4, s4, 8
	s_addc_u32 s5, s5, 0
.LBB6_577:                              ;   in Loop: Header=BB6_549 Depth=1
	s_cmp_gt_u32 s26, 7
	s_cbranch_scc1 .LBB6_582
; %bb.578:                              ;   in Loop: Header=BB6_549 Depth=1
	v_mov_b32_e32 v16, 0
	v_mov_b32_e32 v17, 0
	s_cmp_eq_u32 s26, 0
	s_cbranch_scc1 .LBB6_581
; %bb.579:                              ;   in Loop: Header=BB6_549 Depth=1
	s_mov_b64 s[20:21], 0
	s_mov_b64 s[22:23], 0
.LBB6_580:                              ;   Parent Loop BB6_549 Depth=1
                                        ; =>  This Inner Loop Header: Depth=2
	s_add_u32 s28, s4, s22
	s_addc_u32 s29, s5, s23
	s_add_u32 s22, s22, 1
	global_load_ubyte v2, v3, s[28:29]
	s_addc_u32 s23, s23, 0
	s_waitcnt vmcnt(0)
	v_and_b32_e32 v2, 0xffff, v2
	v_lshlrev_b64 v[18:19], s20, v[2:3]
	s_add_u32 s20, s20, 8
	s_addc_u32 s21, s21, 0
	s_cmp_lg_u32 s26, s22
	v_or_b32_e32 v16, v18, v16
	v_or_b32_e32 v17, v19, v17
	s_cbranch_scc1 .LBB6_580
.LBB6_581:                              ;   in Loop: Header=BB6_549 Depth=1
	s_mov_b32 s25, 0
	s_cbranch_execz .LBB6_583
	s_branch .LBB6_584
.LBB6_582:                              ;   in Loop: Header=BB6_549 Depth=1
                                        ; implicit-def: $sgpr25
.LBB6_583:                              ;   in Loop: Header=BB6_549 Depth=1
	global_load_dwordx2 v[16:17], v3, s[4:5]
	s_add_i32 s25, s26, -8
	s_add_u32 s4, s4, 8
	s_addc_u32 s5, s5, 0
.LBB6_584:                              ;   in Loop: Header=BB6_549 Depth=1
	s_cmp_gt_u32 s25, 7
	s_cbranch_scc1 .LBB6_589
; %bb.585:                              ;   in Loop: Header=BB6_549 Depth=1
	v_mov_b32_e32 v18, 0
	v_mov_b32_e32 v19, 0
	s_cmp_eq_u32 s25, 0
	s_cbranch_scc1 .LBB6_588
; %bb.586:                              ;   in Loop: Header=BB6_549 Depth=1
	s_mov_b64 s[20:21], 0
	s_mov_b64 s[22:23], 0
.LBB6_587:                              ;   Parent Loop BB6_549 Depth=1
                                        ; =>  This Inner Loop Header: Depth=2
	s_add_u32 s26, s4, s22
	s_addc_u32 s27, s5, s23
	s_add_u32 s22, s22, 1
	global_load_ubyte v2, v3, s[26:27]
	s_addc_u32 s23, s23, 0
	s_waitcnt vmcnt(0)
	v_and_b32_e32 v2, 0xffff, v2
	v_lshlrev_b64 v[20:21], s20, v[2:3]
	s_add_u32 s20, s20, 8
	s_addc_u32 s21, s21, 0
	s_cmp_lg_u32 s25, s22
	v_or_b32_e32 v18, v20, v18
	v_or_b32_e32 v19, v21, v19
	s_cbranch_scc1 .LBB6_587
.LBB6_588:                              ;   in Loop: Header=BB6_549 Depth=1
	s_mov_b32 s26, 0
	s_cbranch_execz .LBB6_590
	s_branch .LBB6_591
.LBB6_589:                              ;   in Loop: Header=BB6_549 Depth=1
                                        ; implicit-def: $vgpr18_vgpr19
                                        ; implicit-def: $sgpr26
.LBB6_590:                              ;   in Loop: Header=BB6_549 Depth=1
	global_load_dwordx2 v[18:19], v3, s[4:5]
	s_add_i32 s26, s25, -8
	s_add_u32 s4, s4, 8
	s_addc_u32 s5, s5, 0
.LBB6_591:                              ;   in Loop: Header=BB6_549 Depth=1
	s_cmp_gt_u32 s26, 7
	s_cbranch_scc1 .LBB6_596
; %bb.592:                              ;   in Loop: Header=BB6_549 Depth=1
	v_mov_b32_e32 v20, 0
	v_mov_b32_e32 v21, 0
	s_cmp_eq_u32 s26, 0
	s_cbranch_scc1 .LBB6_595
; %bb.593:                              ;   in Loop: Header=BB6_549 Depth=1
	s_mov_b64 s[20:21], 0
	s_mov_b64 s[22:23], s[4:5]
.LBB6_594:                              ;   Parent Loop BB6_549 Depth=1
                                        ; =>  This Inner Loop Header: Depth=2
	global_load_ubyte v2, v3, s[22:23]
	s_add_i32 s26, s26, -1
	s_waitcnt vmcnt(0)
	v_and_b32_e32 v2, 0xffff, v2
	v_lshlrev_b64 v[22:23], s20, v[2:3]
	s_add_u32 s20, s20, 8
	s_addc_u32 s21, s21, 0
	s_add_u32 s22, s22, 1
	s_addc_u32 s23, s23, 0
	s_cmp_lg_u32 s26, 0
	v_or_b32_e32 v20, v22, v20
	v_or_b32_e32 v21, v23, v21
	s_cbranch_scc1 .LBB6_594
.LBB6_595:                              ;   in Loop: Header=BB6_549 Depth=1
	s_cbranch_execz .LBB6_597
	s_branch .LBB6_598
.LBB6_596:                              ;   in Loop: Header=BB6_549 Depth=1
.LBB6_597:                              ;   in Loop: Header=BB6_549 Depth=1
	global_load_dwordx2 v[20:21], v3, s[4:5]
.LBB6_598:                              ;   in Loop: Header=BB6_549 Depth=1
	v_readfirstlane_b32 s4, v32
	v_mov_b32_e32 v26, 0
	v_mov_b32_e32 v27, 0
	v_cmp_eq_u32_e64 s4, s4, v32
	s_and_saveexec_b32 s5, s4
	s_cbranch_execz .LBB6_604
; %bb.599:                              ;   in Loop: Header=BB6_549 Depth=1
	global_load_dwordx2 v[24:25], v3, s[6:7] offset:24 glc dlc
	s_waitcnt vmcnt(0)
	buffer_gl1_inv
	buffer_gl0_inv
	s_clause 0x1
	global_load_dwordx2 v[22:23], v3, s[6:7] offset:40
	global_load_dwordx2 v[26:27], v3, s[6:7]
	s_mov_b32 s20, exec_lo
	s_waitcnt vmcnt(1)
	v_and_b32_e32 v2, v23, v25
	v_and_b32_e32 v22, v22, v24
	v_mul_lo_u32 v2, v2, 24
	v_mul_hi_u32 v23, v22, 24
	v_mul_lo_u32 v22, v22, 24
	v_add_nc_u32_e32 v2, v23, v2
	s_waitcnt vmcnt(0)
	v_add_co_u32 v22, vcc_lo, v26, v22
	v_add_co_ci_u32_e32 v23, vcc_lo, v27, v2, vcc_lo
	global_load_dwordx2 v[22:23], v[22:23], off glc dlc
	s_waitcnt vmcnt(0)
	global_atomic_cmpswap_x2 v[26:27], v3, v[22:25], s[6:7] offset:24 glc
	s_waitcnt vmcnt(0)
	buffer_gl1_inv
	buffer_gl0_inv
	v_cmpx_ne_u64_e64 v[26:27], v[24:25]
	s_cbranch_execz .LBB6_603
; %bb.600:                              ;   in Loop: Header=BB6_549 Depth=1
	s_mov_b32 s21, 0
	.p2align	6
.LBB6_601:                              ;   Parent Loop BB6_549 Depth=1
                                        ; =>  This Inner Loop Header: Depth=2
	s_sleep 1
	s_clause 0x1
	global_load_dwordx2 v[22:23], v3, s[6:7] offset:40
	global_load_dwordx2 v[28:29], v3, s[6:7]
	v_mov_b32_e32 v24, v26
	v_mov_b32_e32 v25, v27
	s_waitcnt vmcnt(1)
	v_and_b32_e32 v2, v22, v24
	v_and_b32_e32 v22, v23, v25
	s_waitcnt vmcnt(0)
	v_mad_u64_u32 v[26:27], null, v2, 24, v[28:29]
	v_mov_b32_e32 v2, v27
	v_mad_u64_u32 v[22:23], null, v22, 24, v[2:3]
	v_mov_b32_e32 v27, v22
	global_load_dwordx2 v[22:23], v[26:27], off glc dlc
	s_waitcnt vmcnt(0)
	global_atomic_cmpswap_x2 v[26:27], v3, v[22:25], s[6:7] offset:24 glc
	s_waitcnt vmcnt(0)
	buffer_gl1_inv
	buffer_gl0_inv
	v_cmp_eq_u64_e32 vcc_lo, v[26:27], v[24:25]
	s_or_b32 s21, vcc_lo, s21
	s_andn2_b32 exec_lo, exec_lo, s21
	s_cbranch_execnz .LBB6_601
; %bb.602:                              ;   in Loop: Header=BB6_549 Depth=1
	s_or_b32 exec_lo, exec_lo, s21
.LBB6_603:                              ;   in Loop: Header=BB6_549 Depth=1
	s_or_b32 exec_lo, exec_lo, s20
.LBB6_604:                              ;   in Loop: Header=BB6_549 Depth=1
	s_or_b32 exec_lo, exec_lo, s5
	s_clause 0x1
	global_load_dwordx2 v[28:29], v3, s[6:7] offset:40
	global_load_dwordx4 v[22:25], v3, s[6:7]
	v_readfirstlane_b32 s20, v26
	v_readfirstlane_b32 s21, v27
	s_mov_b32 s5, exec_lo
	s_waitcnt vmcnt(1)
	v_readfirstlane_b32 s22, v28
	v_readfirstlane_b32 s23, v29
	s_and_b64 s[22:23], s[20:21], s[22:23]
	s_mul_i32 s25, s23, 24
	s_mul_hi_u32 s26, s22, 24
	s_mul_i32 s27, s22, 24
	s_add_i32 s26, s26, s25
	s_waitcnt vmcnt(0)
	v_add_co_u32 v26, vcc_lo, v22, s27
	v_add_co_ci_u32_e32 v27, vcc_lo, s26, v23, vcc_lo
	s_and_saveexec_b32 s25, s4
	s_cbranch_execz .LBB6_606
; %bb.605:                              ;   in Loop: Header=BB6_549 Depth=1
	v_mov_b32_e32 v2, s5
	global_store_dwordx4 v[26:27], v[2:5], off offset:8
.LBB6_606:                              ;   in Loop: Header=BB6_549 Depth=1
	s_or_b32 exec_lo, exec_lo, s25
	s_lshl_b64 s[22:23], s[22:23], 12
	v_or_b32_e32 v2, 2, v6
	v_add_co_u32 v24, vcc_lo, v24, s22
	v_add_co_ci_u32_e32 v25, vcc_lo, s23, v25, vcc_lo
	v_cmp_gt_u64_e64 vcc_lo, s[16:17], 56
	s_lshl_b32 s5, s18, 2
	v_readfirstlane_b32 s22, v24
	s_add_i32 s5, s5, 28
	v_readfirstlane_b32 s23, v25
	s_and_b32 s5, s5, 0x1e0
	v_cndmask_b32_e32 v2, v2, v6, vcc_lo
	v_and_or_b32 v6, 0xffffff1f, v2, s5
	global_store_dwordx4 v31, v[10:13], s[22:23] offset:16
	global_store_dwordx4 v31, v[6:9], s[22:23]
	global_store_dwordx4 v31, v[14:17], s[22:23] offset:32
	global_store_dwordx4 v31, v[18:21], s[22:23] offset:48
	s_and_saveexec_b32 s5, s4
	s_cbranch_execz .LBB6_614
; %bb.607:                              ;   in Loop: Header=BB6_549 Depth=1
	s_clause 0x1
	global_load_dwordx2 v[14:15], v3, s[6:7] offset:32 glc dlc
	global_load_dwordx2 v[6:7], v3, s[6:7] offset:40
	v_mov_b32_e32 v12, s20
	v_mov_b32_e32 v13, s21
	s_waitcnt vmcnt(0)
	v_readfirstlane_b32 s22, v6
	v_readfirstlane_b32 s23, v7
	s_and_b64 s[22:23], s[22:23], s[20:21]
	s_mul_i32 s23, s23, 24
	s_mul_hi_u32 s25, s22, 24
	s_mul_i32 s22, s22, 24
	s_add_i32 s25, s25, s23
	v_add_co_u32 v10, vcc_lo, v22, s22
	v_add_co_ci_u32_e32 v11, vcc_lo, s25, v23, vcc_lo
	s_mov_b32 s22, exec_lo
	global_store_dwordx2 v[10:11], v[14:15], off
	s_waitcnt_vscnt null, 0x0
	global_atomic_cmpswap_x2 v[8:9], v3, v[12:15], s[6:7] offset:32 glc
	s_waitcnt vmcnt(0)
	v_cmpx_ne_u64_e64 v[8:9], v[14:15]
	s_cbranch_execz .LBB6_610
; %bb.608:                              ;   in Loop: Header=BB6_549 Depth=1
	s_mov_b32 s23, 0
.LBB6_609:                              ;   Parent Loop BB6_549 Depth=1
                                        ; =>  This Inner Loop Header: Depth=2
	v_mov_b32_e32 v6, s20
	v_mov_b32_e32 v7, s21
	s_sleep 1
	global_store_dwordx2 v[10:11], v[8:9], off
	s_waitcnt_vscnt null, 0x0
	global_atomic_cmpswap_x2 v[6:7], v3, v[6:9], s[6:7] offset:32 glc
	s_waitcnt vmcnt(0)
	v_cmp_eq_u64_e32 vcc_lo, v[6:7], v[8:9]
	v_mov_b32_e32 v9, v7
	v_mov_b32_e32 v8, v6
	s_or_b32 s23, vcc_lo, s23
	s_andn2_b32 exec_lo, exec_lo, s23
	s_cbranch_execnz .LBB6_609
.LBB6_610:                              ;   in Loop: Header=BB6_549 Depth=1
	s_or_b32 exec_lo, exec_lo, s22
	global_load_dwordx2 v[6:7], v3, s[6:7] offset:16
	s_mov_b32 s23, exec_lo
	s_mov_b32 s22, exec_lo
	v_mbcnt_lo_u32_b32 v2, s23, 0
	v_cmpx_eq_u32_e32 0, v2
	s_cbranch_execz .LBB6_612
; %bb.611:                              ;   in Loop: Header=BB6_549 Depth=1
	s_bcnt1_i32_b32 s23, s23
	v_mov_b32_e32 v2, s23
	s_waitcnt vmcnt(0)
	global_atomic_add_x2 v[6:7], v[2:3], off offset:8
.LBB6_612:                              ;   in Loop: Header=BB6_549 Depth=1
	s_or_b32 exec_lo, exec_lo, s22
	s_waitcnt vmcnt(0)
	global_load_dwordx2 v[8:9], v[6:7], off offset:16
	s_waitcnt vmcnt(0)
	v_cmp_eq_u64_e32 vcc_lo, 0, v[8:9]
	s_cbranch_vccnz .LBB6_614
; %bb.613:                              ;   in Loop: Header=BB6_549 Depth=1
	global_load_dword v2, v[6:7], off offset:24
	s_waitcnt vmcnt(0)
	v_and_b32_e32 v6, 0x7fffff, v2
	s_waitcnt_vscnt null, 0x0
	global_store_dwordx2 v[8:9], v[2:3], off
	v_readfirstlane_b32 m0, v6
	s_sendmsg sendmsg(MSG_INTERRUPT)
.LBB6_614:                              ;   in Loop: Header=BB6_549 Depth=1
	s_or_b32 exec_lo, exec_lo, s5
	v_add_co_u32 v6, vcc_lo, v24, v31
	v_add_co_ci_u32_e32 v7, vcc_lo, 0, v25, vcc_lo
	s_branch .LBB6_618
	.p2align	6
.LBB6_615:                              ;   in Loop: Header=BB6_618 Depth=2
	s_or_b32 exec_lo, exec_lo, s5
	v_readfirstlane_b32 s5, v2
	s_cmp_eq_u32 s5, 0
	s_cbranch_scc1 .LBB6_617
; %bb.616:                              ;   in Loop: Header=BB6_618 Depth=2
	s_sleep 1
	s_cbranch_execnz .LBB6_618
	s_branch .LBB6_620
	.p2align	6
.LBB6_617:                              ;   in Loop: Header=BB6_549 Depth=1
	s_branch .LBB6_620
.LBB6_618:                              ;   Parent Loop BB6_549 Depth=1
                                        ; =>  This Inner Loop Header: Depth=2
	v_mov_b32_e32 v2, 1
	s_and_saveexec_b32 s5, s4
	s_cbranch_execz .LBB6_615
; %bb.619:                              ;   in Loop: Header=BB6_618 Depth=2
	global_load_dword v2, v[26:27], off offset:20 glc dlc
	s_waitcnt vmcnt(0)
	buffer_gl1_inv
	buffer_gl0_inv
	v_and_b32_e32 v2, 1, v2
	s_branch .LBB6_615
.LBB6_620:                              ;   in Loop: Header=BB6_549 Depth=1
	global_load_dwordx4 v[6:9], v[6:7], off
	s_and_saveexec_b32 s5, s4
	s_cbranch_execz .LBB6_548
; %bb.621:                              ;   in Loop: Header=BB6_549 Depth=1
	s_clause 0x2
	global_load_dwordx2 v[10:11], v3, s[6:7] offset:40
	global_load_dwordx2 v[14:15], v3, s[6:7] offset:24 glc dlc
	global_load_dwordx2 v[12:13], v3, s[6:7]
	s_waitcnt vmcnt(2)
	v_add_co_u32 v2, vcc_lo, v10, 1
	v_add_co_ci_u32_e32 v16, vcc_lo, 0, v11, vcc_lo
	v_add_co_u32 v8, vcc_lo, v2, s20
	v_add_co_ci_u32_e32 v9, vcc_lo, s21, v16, vcc_lo
	v_cmp_eq_u64_e32 vcc_lo, 0, v[8:9]
	v_cndmask_b32_e32 v9, v9, v16, vcc_lo
	v_cndmask_b32_e32 v8, v8, v2, vcc_lo
	v_and_b32_e32 v2, v9, v11
	v_and_b32_e32 v10, v8, v10
	v_mul_lo_u32 v2, v2, 24
	v_mul_hi_u32 v11, v10, 24
	v_mul_lo_u32 v10, v10, 24
	v_add_nc_u32_e32 v2, v11, v2
	s_waitcnt vmcnt(0)
	v_add_co_u32 v12, vcc_lo, v12, v10
	v_mov_b32_e32 v10, v14
	v_mov_b32_e32 v11, v15
	v_add_co_ci_u32_e32 v13, vcc_lo, v13, v2, vcc_lo
	global_store_dwordx2 v[12:13], v[14:15], off
	s_waitcnt_vscnt null, 0x0
	global_atomic_cmpswap_x2 v[10:11], v3, v[8:11], s[6:7] offset:24 glc
	s_waitcnt vmcnt(0)
	v_cmp_ne_u64_e32 vcc_lo, v[10:11], v[14:15]
	s_and_b32 exec_lo, exec_lo, vcc_lo
	s_cbranch_execz .LBB6_548
; %bb.622:                              ;   in Loop: Header=BB6_549 Depth=1
	s_mov_b32 s4, 0
.LBB6_623:                              ;   Parent Loop BB6_549 Depth=1
                                        ; =>  This Inner Loop Header: Depth=2
	s_sleep 1
	global_store_dwordx2 v[12:13], v[10:11], off
	s_waitcnt_vscnt null, 0x0
	global_atomic_cmpswap_x2 v[14:15], v3, v[8:11], s[6:7] offset:24 glc
	s_waitcnt vmcnt(0)
	v_cmp_eq_u64_e32 vcc_lo, v[14:15], v[10:11]
	v_mov_b32_e32 v10, v14
	v_mov_b32_e32 v11, v15
	s_or_b32 s4, vcc_lo, s4
	s_andn2_b32 exec_lo, exec_lo, s4
	s_cbranch_execnz .LBB6_623
	s_branch .LBB6_548
.LBB6_624:
	s_branch .LBB6_653
.LBB6_625:
	s_cbranch_execz .LBB6_653
; %bb.626:
	v_readfirstlane_b32 s4, v32
	s_waitcnt vmcnt(0)
	v_mov_b32_e32 v8, 0
	v_mov_b32_e32 v9, 0
	v_cmp_eq_u32_e64 s4, s4, v32
	s_and_saveexec_b32 s5, s4
	s_cbranch_execz .LBB6_632
; %bb.627:
	v_mov_b32_e32 v2, 0
	s_mov_b32 s10, exec_lo
	global_load_dwordx2 v[5:6], v2, s[6:7] offset:24 glc dlc
	s_waitcnt vmcnt(0)
	buffer_gl1_inv
	buffer_gl0_inv
	s_clause 0x1
	global_load_dwordx2 v[3:4], v2, s[6:7] offset:40
	global_load_dwordx2 v[7:8], v2, s[6:7]
	s_waitcnt vmcnt(1)
	v_and_b32_e32 v4, v4, v6
	v_and_b32_e32 v3, v3, v5
	v_mul_lo_u32 v4, v4, 24
	v_mul_hi_u32 v9, v3, 24
	v_mul_lo_u32 v3, v3, 24
	v_add_nc_u32_e32 v4, v9, v4
	s_waitcnt vmcnt(0)
	v_add_co_u32 v3, vcc_lo, v7, v3
	v_add_co_ci_u32_e32 v4, vcc_lo, v8, v4, vcc_lo
	global_load_dwordx2 v[3:4], v[3:4], off glc dlc
	s_waitcnt vmcnt(0)
	global_atomic_cmpswap_x2 v[8:9], v2, v[3:6], s[6:7] offset:24 glc
	s_waitcnt vmcnt(0)
	buffer_gl1_inv
	buffer_gl0_inv
	v_cmpx_ne_u64_e64 v[8:9], v[5:6]
	s_cbranch_execz .LBB6_631
; %bb.628:
	s_mov_b32 s11, 0
	.p2align	6
.LBB6_629:                              ; =>This Inner Loop Header: Depth=1
	s_sleep 1
	s_clause 0x1
	global_load_dwordx2 v[3:4], v2, s[6:7] offset:40
	global_load_dwordx2 v[10:11], v2, s[6:7]
	v_mov_b32_e32 v5, v8
	v_mov_b32_e32 v6, v9
	s_waitcnt vmcnt(1)
	v_and_b32_e32 v3, v3, v5
	v_and_b32_e32 v4, v4, v6
	s_waitcnt vmcnt(0)
	v_mad_u64_u32 v[7:8], null, v3, 24, v[10:11]
	v_mov_b32_e32 v3, v8
	v_mad_u64_u32 v[3:4], null, v4, 24, v[3:4]
	v_mov_b32_e32 v8, v3
	global_load_dwordx2 v[3:4], v[7:8], off glc dlc
	s_waitcnt vmcnt(0)
	global_atomic_cmpswap_x2 v[8:9], v2, v[3:6], s[6:7] offset:24 glc
	s_waitcnt vmcnt(0)
	buffer_gl1_inv
	buffer_gl0_inv
	v_cmp_eq_u64_e32 vcc_lo, v[8:9], v[5:6]
	s_or_b32 s11, vcc_lo, s11
	s_andn2_b32 exec_lo, exec_lo, s11
	s_cbranch_execnz .LBB6_629
; %bb.630:
	s_or_b32 exec_lo, exec_lo, s11
.LBB6_631:
	s_or_b32 exec_lo, exec_lo, s10
.LBB6_632:
	s_or_b32 exec_lo, exec_lo, s5
	v_mov_b32_e32 v2, 0
	v_readfirstlane_b32 s10, v8
	v_readfirstlane_b32 s11, v9
	s_mov_b32 s5, exec_lo
	s_clause 0x1
	global_load_dwordx2 v[10:11], v2, s[6:7] offset:40
	global_load_dwordx4 v[4:7], v2, s[6:7]
	s_waitcnt vmcnt(1)
	v_readfirstlane_b32 s16, v10
	v_readfirstlane_b32 s17, v11
	s_and_b64 s[16:17], s[10:11], s[16:17]
	s_mul_i32 s18, s17, 24
	s_mul_hi_u32 s19, s16, 24
	s_mul_i32 s20, s16, 24
	s_add_i32 s19, s19, s18
	s_waitcnt vmcnt(0)
	v_add_co_u32 v8, vcc_lo, v4, s20
	v_add_co_ci_u32_e32 v9, vcc_lo, s19, v5, vcc_lo
	s_and_saveexec_b32 s18, s4
	s_cbranch_execz .LBB6_634
; %bb.633:
	v_mov_b32_e32 v10, s5
	v_mov_b32_e32 v11, v2
	;; [unrolled: 1-line block ×4, first 2 shown]
	global_store_dwordx4 v[8:9], v[10:13], off offset:8
.LBB6_634:
	s_or_b32 exec_lo, exec_lo, s18
	s_lshl_b64 s[16:17], s[16:17], 12
	v_and_or_b32 v0, 0xffffff1d, v0, 34
	v_add_co_u32 v6, vcc_lo, v6, s16
	v_add_co_ci_u32_e32 v7, vcc_lo, s17, v7, vcc_lo
	s_mov_b32 s16, 0
	v_mov_b32_e32 v3, v2
	s_mov_b32 s17, s16
	s_mov_b32 s18, s16
	;; [unrolled: 1-line block ×3, first 2 shown]
	v_readfirstlane_b32 s20, v6
	v_readfirstlane_b32 s21, v7
	v_mov_b32_e32 v10, s16
	v_mov_b32_e32 v11, s17
	;; [unrolled: 1-line block ×4, first 2 shown]
	global_store_dwordx4 v31, v[0:3], s[20:21]
	global_store_dwordx4 v31, v[10:13], s[20:21] offset:16
	global_store_dwordx4 v31, v[10:13], s[20:21] offset:32
	;; [unrolled: 1-line block ×3, first 2 shown]
	s_and_saveexec_b32 s5, s4
	s_cbranch_execz .LBB6_642
; %bb.635:
	v_mov_b32_e32 v6, 0
	v_mov_b32_e32 v10, s10
	;; [unrolled: 1-line block ×3, first 2 shown]
	s_clause 0x1
	global_load_dwordx2 v[12:13], v6, s[6:7] offset:32 glc dlc
	global_load_dwordx2 v[0:1], v6, s[6:7] offset:40
	s_waitcnt vmcnt(0)
	v_readfirstlane_b32 s16, v0
	v_readfirstlane_b32 s17, v1
	s_and_b64 s[16:17], s[16:17], s[10:11]
	s_mul_i32 s17, s17, 24
	s_mul_hi_u32 s18, s16, 24
	s_mul_i32 s16, s16, 24
	s_add_i32 s18, s18, s17
	v_add_co_u32 v4, vcc_lo, v4, s16
	v_add_co_ci_u32_e32 v5, vcc_lo, s18, v5, vcc_lo
	s_mov_b32 s16, exec_lo
	global_store_dwordx2 v[4:5], v[12:13], off
	s_waitcnt_vscnt null, 0x0
	global_atomic_cmpswap_x2 v[2:3], v6, v[10:13], s[6:7] offset:32 glc
	s_waitcnt vmcnt(0)
	v_cmpx_ne_u64_e64 v[2:3], v[12:13]
	s_cbranch_execz .LBB6_638
; %bb.636:
	s_mov_b32 s17, 0
.LBB6_637:                              ; =>This Inner Loop Header: Depth=1
	v_mov_b32_e32 v0, s10
	v_mov_b32_e32 v1, s11
	s_sleep 1
	global_store_dwordx2 v[4:5], v[2:3], off
	s_waitcnt_vscnt null, 0x0
	global_atomic_cmpswap_x2 v[0:1], v6, v[0:3], s[6:7] offset:32 glc
	s_waitcnt vmcnt(0)
	v_cmp_eq_u64_e32 vcc_lo, v[0:1], v[2:3]
	v_mov_b32_e32 v3, v1
	v_mov_b32_e32 v2, v0
	s_or_b32 s17, vcc_lo, s17
	s_andn2_b32 exec_lo, exec_lo, s17
	s_cbranch_execnz .LBB6_637
.LBB6_638:
	s_or_b32 exec_lo, exec_lo, s16
	v_mov_b32_e32 v3, 0
	s_mov_b32 s17, exec_lo
	s_mov_b32 s16, exec_lo
	v_mbcnt_lo_u32_b32 v2, s17, 0
	global_load_dwordx2 v[0:1], v3, s[6:7] offset:16
	v_cmpx_eq_u32_e32 0, v2
	s_cbranch_execz .LBB6_640
; %bb.639:
	s_bcnt1_i32_b32 s17, s17
	v_mov_b32_e32 v2, s17
	s_waitcnt vmcnt(0)
	global_atomic_add_x2 v[0:1], v[2:3], off offset:8
.LBB6_640:
	s_or_b32 exec_lo, exec_lo, s16
	s_waitcnt vmcnt(0)
	global_load_dwordx2 v[2:3], v[0:1], off offset:16
	s_waitcnt vmcnt(0)
	v_cmp_eq_u64_e32 vcc_lo, 0, v[2:3]
	s_cbranch_vccnz .LBB6_642
; %bb.641:
	global_load_dword v0, v[0:1], off offset:24
	v_mov_b32_e32 v1, 0
	s_waitcnt vmcnt(0)
	v_and_b32_e32 v4, 0x7fffff, v0
	s_waitcnt_vscnt null, 0x0
	global_store_dwordx2 v[2:3], v[0:1], off
	v_readfirstlane_b32 m0, v4
	s_sendmsg sendmsg(MSG_INTERRUPT)
.LBB6_642:
	s_or_b32 exec_lo, exec_lo, s5
	s_branch .LBB6_646
	.p2align	6
.LBB6_643:                              ;   in Loop: Header=BB6_646 Depth=1
	s_or_b32 exec_lo, exec_lo, s5
	v_readfirstlane_b32 s5, v0
	s_cmp_eq_u32 s5, 0
	s_cbranch_scc1 .LBB6_645
; %bb.644:                              ;   in Loop: Header=BB6_646 Depth=1
	s_sleep 1
	s_cbranch_execnz .LBB6_646
	s_branch .LBB6_648
	.p2align	6
.LBB6_645:
	s_branch .LBB6_648
.LBB6_646:                              ; =>This Inner Loop Header: Depth=1
	v_mov_b32_e32 v0, 1
	s_and_saveexec_b32 s5, s4
	s_cbranch_execz .LBB6_643
; %bb.647:                              ;   in Loop: Header=BB6_646 Depth=1
	global_load_dword v0, v[8:9], off offset:20 glc dlc
	s_waitcnt vmcnt(0)
	buffer_gl1_inv
	buffer_gl0_inv
	v_and_b32_e32 v0, 1, v0
	s_branch .LBB6_643
.LBB6_648:
	s_and_saveexec_b32 s5, s4
	s_cbranch_execz .LBB6_652
; %bb.649:
	v_mov_b32_e32 v6, 0
	s_clause 0x2
	global_load_dwordx2 v[2:3], v6, s[6:7] offset:40
	global_load_dwordx2 v[7:8], v6, s[6:7] offset:24 glc dlc
	global_load_dwordx2 v[4:5], v6, s[6:7]
	s_waitcnt vmcnt(2)
	v_add_co_u32 v9, vcc_lo, v2, 1
	v_add_co_ci_u32_e32 v10, vcc_lo, 0, v3, vcc_lo
	v_add_co_u32 v0, vcc_lo, v9, s10
	v_add_co_ci_u32_e32 v1, vcc_lo, s11, v10, vcc_lo
	v_cmp_eq_u64_e32 vcc_lo, 0, v[0:1]
	v_cndmask_b32_e32 v1, v1, v10, vcc_lo
	v_cndmask_b32_e32 v0, v0, v9, vcc_lo
	v_and_b32_e32 v3, v1, v3
	v_and_b32_e32 v2, v0, v2
	v_mul_lo_u32 v3, v3, 24
	v_mul_hi_u32 v9, v2, 24
	v_mul_lo_u32 v2, v2, 24
	v_add_nc_u32_e32 v3, v9, v3
	s_waitcnt vmcnt(0)
	v_add_co_u32 v4, vcc_lo, v4, v2
	v_mov_b32_e32 v2, v7
	v_add_co_ci_u32_e32 v5, vcc_lo, v5, v3, vcc_lo
	v_mov_b32_e32 v3, v8
	global_store_dwordx2 v[4:5], v[7:8], off
	s_waitcnt_vscnt null, 0x0
	global_atomic_cmpswap_x2 v[2:3], v6, v[0:3], s[6:7] offset:24 glc
	s_waitcnt vmcnt(0)
	v_cmp_ne_u64_e32 vcc_lo, v[2:3], v[7:8]
	s_and_b32 exec_lo, exec_lo, vcc_lo
	s_cbranch_execz .LBB6_652
; %bb.650:
	s_mov_b32 s4, 0
.LBB6_651:                              ; =>This Inner Loop Header: Depth=1
	s_sleep 1
	global_store_dwordx2 v[4:5], v[2:3], off
	s_waitcnt_vscnt null, 0x0
	global_atomic_cmpswap_x2 v[7:8], v6, v[0:3], s[6:7] offset:24 glc
	s_waitcnt vmcnt(0)
	v_cmp_eq_u64_e32 vcc_lo, v[7:8], v[2:3]
	v_mov_b32_e32 v2, v7
	v_mov_b32_e32 v3, v8
	s_or_b32 s4, vcc_lo, s4
	s_andn2_b32 exec_lo, exec_lo, s4
	s_cbranch_execnz .LBB6_651
.LBB6_652:
	s_or_b32 exec_lo, exec_lo, s5
.LBB6_653:
	v_readfirstlane_b32 s4, v32
	s_waitcnt vmcnt(0)
	v_mov_b32_e32 v6, 0
	v_mov_b32_e32 v7, 0
	v_cmp_eq_u32_e64 s4, s4, v32
	s_and_saveexec_b32 s5, s4
	s_cbranch_execz .LBB6_659
; %bb.654:
	v_mov_b32_e32 v0, 0
	s_mov_b32 s10, exec_lo
	global_load_dwordx2 v[3:4], v0, s[6:7] offset:24 glc dlc
	s_waitcnt vmcnt(0)
	buffer_gl1_inv
	buffer_gl0_inv
	s_clause 0x1
	global_load_dwordx2 v[1:2], v0, s[6:7] offset:40
	global_load_dwordx2 v[5:6], v0, s[6:7]
	s_waitcnt vmcnt(1)
	v_and_b32_e32 v2, v2, v4
	v_and_b32_e32 v1, v1, v3
	v_mul_lo_u32 v2, v2, 24
	v_mul_hi_u32 v7, v1, 24
	v_mul_lo_u32 v1, v1, 24
	v_add_nc_u32_e32 v2, v7, v2
	s_waitcnt vmcnt(0)
	v_add_co_u32 v1, vcc_lo, v5, v1
	v_add_co_ci_u32_e32 v2, vcc_lo, v6, v2, vcc_lo
	global_load_dwordx2 v[1:2], v[1:2], off glc dlc
	s_waitcnt vmcnt(0)
	global_atomic_cmpswap_x2 v[6:7], v0, v[1:4], s[6:7] offset:24 glc
	s_waitcnt vmcnt(0)
	buffer_gl1_inv
	buffer_gl0_inv
	v_cmpx_ne_u64_e64 v[6:7], v[3:4]
	s_cbranch_execz .LBB6_658
; %bb.655:
	s_mov_b32 s11, 0
	.p2align	6
.LBB6_656:                              ; =>This Inner Loop Header: Depth=1
	s_sleep 1
	s_clause 0x1
	global_load_dwordx2 v[1:2], v0, s[6:7] offset:40
	global_load_dwordx2 v[8:9], v0, s[6:7]
	v_mov_b32_e32 v3, v6
	v_mov_b32_e32 v4, v7
	s_waitcnt vmcnt(1)
	v_and_b32_e32 v1, v1, v3
	v_and_b32_e32 v2, v2, v4
	s_waitcnt vmcnt(0)
	v_mad_u64_u32 v[5:6], null, v1, 24, v[8:9]
	v_mov_b32_e32 v1, v6
	v_mad_u64_u32 v[1:2], null, v2, 24, v[1:2]
	v_mov_b32_e32 v6, v1
	global_load_dwordx2 v[1:2], v[5:6], off glc dlc
	s_waitcnt vmcnt(0)
	global_atomic_cmpswap_x2 v[6:7], v0, v[1:4], s[6:7] offset:24 glc
	s_waitcnt vmcnt(0)
	buffer_gl1_inv
	buffer_gl0_inv
	v_cmp_eq_u64_e32 vcc_lo, v[6:7], v[3:4]
	s_or_b32 s11, vcc_lo, s11
	s_andn2_b32 exec_lo, exec_lo, s11
	s_cbranch_execnz .LBB6_656
; %bb.657:
	s_or_b32 exec_lo, exec_lo, s11
.LBB6_658:
	s_or_b32 exec_lo, exec_lo, s10
.LBB6_659:
	s_or_b32 exec_lo, exec_lo, s5
	v_mov_b32_e32 v5, 0
	v_readfirstlane_b32 s10, v6
	v_readfirstlane_b32 s11, v7
	s_mov_b32 s5, exec_lo
	s_clause 0x1
	global_load_dwordx2 v[8:9], v5, s[6:7] offset:40
	global_load_dwordx4 v[0:3], v5, s[6:7]
	s_waitcnt vmcnt(1)
	v_readfirstlane_b32 s16, v8
	v_readfirstlane_b32 s17, v9
	s_and_b64 s[16:17], s[10:11], s[16:17]
	s_mul_i32 s18, s17, 24
	s_mul_hi_u32 s19, s16, 24
	s_mul_i32 s20, s16, 24
	s_add_i32 s19, s19, s18
	s_waitcnt vmcnt(0)
	v_add_co_u32 v8, vcc_lo, v0, s20
	v_add_co_ci_u32_e32 v9, vcc_lo, s19, v1, vcc_lo
	s_and_saveexec_b32 s18, s4
	s_cbranch_execz .LBB6_661
; %bb.660:
	v_mov_b32_e32 v4, s5
	v_mov_b32_e32 v6, 2
	;; [unrolled: 1-line block ×3, first 2 shown]
	global_store_dwordx4 v[8:9], v[4:7], off offset:8
.LBB6_661:
	s_or_b32 exec_lo, exec_lo, s18
	s_lshl_b64 s[16:17], s[16:17], 12
	v_mov_b32_e32 v4, 33
	v_add_co_u32 v2, vcc_lo, v2, s16
	v_add_co_ci_u32_e32 v3, vcc_lo, s17, v3, vcc_lo
	s_mov_b32 s16, 0
	v_add_co_u32 v10, vcc_lo, v2, v31
	s_mov_b32 s17, s16
	s_mov_b32 s18, s16
	;; [unrolled: 1-line block ×3, first 2 shown]
	v_mov_b32_e32 v6, v5
	v_mov_b32_e32 v7, v5
	v_readfirstlane_b32 s20, v2
	v_readfirstlane_b32 s21, v3
	v_mov_b32_e32 v12, s16
	v_add_co_ci_u32_e32 v11, vcc_lo, 0, v3, vcc_lo
	v_mov_b32_e32 v13, s17
	v_mov_b32_e32 v14, s18
	;; [unrolled: 1-line block ×3, first 2 shown]
	global_store_dwordx4 v31, v[4:7], s[20:21]
	global_store_dwordx4 v31, v[12:15], s[20:21] offset:16
	global_store_dwordx4 v31, v[12:15], s[20:21] offset:32
	;; [unrolled: 1-line block ×3, first 2 shown]
	s_and_saveexec_b32 s5, s4
	s_cbranch_execz .LBB6_669
; %bb.662:
	v_mov_b32_e32 v6, 0
	v_mov_b32_e32 v12, s10
	;; [unrolled: 1-line block ×3, first 2 shown]
	s_clause 0x1
	global_load_dwordx2 v[14:15], v6, s[6:7] offset:32 glc dlc
	global_load_dwordx2 v[2:3], v6, s[6:7] offset:40
	s_waitcnt vmcnt(0)
	v_readfirstlane_b32 s16, v2
	v_readfirstlane_b32 s17, v3
	s_and_b64 s[16:17], s[16:17], s[10:11]
	s_mul_i32 s17, s17, 24
	s_mul_hi_u32 s18, s16, 24
	s_mul_i32 s16, s16, 24
	s_add_i32 s18, s18, s17
	v_add_co_u32 v4, vcc_lo, v0, s16
	v_add_co_ci_u32_e32 v5, vcc_lo, s18, v1, vcc_lo
	s_mov_b32 s16, exec_lo
	global_store_dwordx2 v[4:5], v[14:15], off
	s_waitcnt_vscnt null, 0x0
	global_atomic_cmpswap_x2 v[2:3], v6, v[12:15], s[6:7] offset:32 glc
	s_waitcnt vmcnt(0)
	v_cmpx_ne_u64_e64 v[2:3], v[14:15]
	s_cbranch_execz .LBB6_665
; %bb.663:
	s_mov_b32 s17, 0
.LBB6_664:                              ; =>This Inner Loop Header: Depth=1
	v_mov_b32_e32 v0, s10
	v_mov_b32_e32 v1, s11
	s_sleep 1
	global_store_dwordx2 v[4:5], v[2:3], off
	s_waitcnt_vscnt null, 0x0
	global_atomic_cmpswap_x2 v[0:1], v6, v[0:3], s[6:7] offset:32 glc
	s_waitcnt vmcnt(0)
	v_cmp_eq_u64_e32 vcc_lo, v[0:1], v[2:3]
	v_mov_b32_e32 v3, v1
	v_mov_b32_e32 v2, v0
	s_or_b32 s17, vcc_lo, s17
	s_andn2_b32 exec_lo, exec_lo, s17
	s_cbranch_execnz .LBB6_664
.LBB6_665:
	s_or_b32 exec_lo, exec_lo, s16
	v_mov_b32_e32 v3, 0
	s_mov_b32 s17, exec_lo
	s_mov_b32 s16, exec_lo
	v_mbcnt_lo_u32_b32 v2, s17, 0
	global_load_dwordx2 v[0:1], v3, s[6:7] offset:16
	v_cmpx_eq_u32_e32 0, v2
	s_cbranch_execz .LBB6_667
; %bb.666:
	s_bcnt1_i32_b32 s17, s17
	v_mov_b32_e32 v2, s17
	s_waitcnt vmcnt(0)
	global_atomic_add_x2 v[0:1], v[2:3], off offset:8
.LBB6_667:
	s_or_b32 exec_lo, exec_lo, s16
	s_waitcnt vmcnt(0)
	global_load_dwordx2 v[2:3], v[0:1], off offset:16
	s_waitcnt vmcnt(0)
	v_cmp_eq_u64_e32 vcc_lo, 0, v[2:3]
	s_cbranch_vccnz .LBB6_669
; %bb.668:
	global_load_dword v0, v[0:1], off offset:24
	v_mov_b32_e32 v1, 0
	s_waitcnt vmcnt(0)
	v_and_b32_e32 v4, 0x7fffff, v0
	s_waitcnt_vscnt null, 0x0
	global_store_dwordx2 v[2:3], v[0:1], off
	v_readfirstlane_b32 m0, v4
	s_sendmsg sendmsg(MSG_INTERRUPT)
.LBB6_669:
	s_or_b32 exec_lo, exec_lo, s5
	s_branch .LBB6_673
	.p2align	6
.LBB6_670:                              ;   in Loop: Header=BB6_673 Depth=1
	s_or_b32 exec_lo, exec_lo, s5
	v_readfirstlane_b32 s5, v0
	s_cmp_eq_u32 s5, 0
	s_cbranch_scc1 .LBB6_672
; %bb.671:                              ;   in Loop: Header=BB6_673 Depth=1
	s_sleep 1
	s_cbranch_execnz .LBB6_673
	s_branch .LBB6_675
	.p2align	6
.LBB6_672:
	s_branch .LBB6_675
.LBB6_673:                              ; =>This Inner Loop Header: Depth=1
	v_mov_b32_e32 v0, 1
	s_and_saveexec_b32 s5, s4
	s_cbranch_execz .LBB6_670
; %bb.674:                              ;   in Loop: Header=BB6_673 Depth=1
	global_load_dword v0, v[8:9], off offset:20 glc dlc
	s_waitcnt vmcnt(0)
	buffer_gl1_inv
	buffer_gl0_inv
	v_and_b32_e32 v0, 1, v0
	s_branch .LBB6_670
.LBB6_675:
	global_load_dwordx2 v[0:1], v[10:11], off
	s_and_saveexec_b32 s5, s4
	s_cbranch_execz .LBB6_679
; %bb.676:
	v_mov_b32_e32 v8, 0
	s_clause 0x2
	global_load_dwordx2 v[4:5], v8, s[6:7] offset:40
	global_load_dwordx2 v[9:10], v8, s[6:7] offset:24 glc dlc
	global_load_dwordx2 v[6:7], v8, s[6:7]
	s_waitcnt vmcnt(2)
	v_add_co_u32 v11, vcc_lo, v4, 1
	v_add_co_ci_u32_e32 v12, vcc_lo, 0, v5, vcc_lo
	v_add_co_u32 v2, vcc_lo, v11, s10
	v_add_co_ci_u32_e32 v3, vcc_lo, s11, v12, vcc_lo
	v_cmp_eq_u64_e32 vcc_lo, 0, v[2:3]
	v_cndmask_b32_e32 v3, v3, v12, vcc_lo
	v_cndmask_b32_e32 v2, v2, v11, vcc_lo
	v_and_b32_e32 v5, v3, v5
	v_and_b32_e32 v4, v2, v4
	v_mul_lo_u32 v5, v5, 24
	v_mul_hi_u32 v11, v4, 24
	v_mul_lo_u32 v4, v4, 24
	v_add_nc_u32_e32 v5, v11, v5
	s_waitcnt vmcnt(0)
	v_add_co_u32 v6, vcc_lo, v6, v4
	v_mov_b32_e32 v4, v9
	v_add_co_ci_u32_e32 v7, vcc_lo, v7, v5, vcc_lo
	v_mov_b32_e32 v5, v10
	global_store_dwordx2 v[6:7], v[9:10], off
	s_waitcnt_vscnt null, 0x0
	global_atomic_cmpswap_x2 v[4:5], v8, v[2:5], s[6:7] offset:24 glc
	s_waitcnt vmcnt(0)
	v_cmp_ne_u64_e32 vcc_lo, v[4:5], v[9:10]
	s_and_b32 exec_lo, exec_lo, vcc_lo
	s_cbranch_execz .LBB6_679
; %bb.677:
	s_mov_b32 s4, 0
.LBB6_678:                              ; =>This Inner Loop Header: Depth=1
	s_sleep 1
	global_store_dwordx2 v[6:7], v[4:5], off
	s_waitcnt_vscnt null, 0x0
	global_atomic_cmpswap_x2 v[9:10], v8, v[2:5], s[6:7] offset:24 glc
	s_waitcnt vmcnt(0)
	v_cmp_eq_u64_e32 vcc_lo, v[9:10], v[4:5]
	v_mov_b32_e32 v4, v9
	v_mov_b32_e32 v5, v10
	s_or_b32 s4, vcc_lo, s4
	s_andn2_b32 exec_lo, exec_lo, s4
	s_cbranch_execnz .LBB6_678
.LBB6_679:
	s_or_b32 exec_lo, exec_lo, s5
	s_and_b32 vcc_lo, exec_lo, s24
	s_cbranch_vccz .LBB6_758
; %bb.680:
	s_waitcnt vmcnt(0)
	v_and_b32_e32 v33, 2, v0
	v_mov_b32_e32 v6, 0
	v_and_b32_e32 v2, -3, v0
	v_mov_b32_e32 v3, v1
	v_mov_b32_e32 v7, 2
	;; [unrolled: 1-line block ×3, first 2 shown]
	s_mov_b64 s[16:17], 3
	s_getpc_b64 s[10:11]
	s_add_u32 s10, s10, .str.6@rel32@lo+4
	s_addc_u32 s11, s11, .str.6@rel32@hi+12
	s_branch .LBB6_682
.LBB6_681:                              ;   in Loop: Header=BB6_682 Depth=1
	s_or_b32 exec_lo, exec_lo, s5
	s_sub_u32 s16, s16, s18
	s_subb_u32 s17, s17, s19
	s_add_u32 s10, s10, s18
	s_addc_u32 s11, s11, s19
	s_cmp_lg_u64 s[16:17], 0
	s_cbranch_scc0 .LBB6_757
.LBB6_682:                              ; =>This Loop Header: Depth=1
                                        ;     Child Loop BB6_691 Depth 2
                                        ;     Child Loop BB6_687 Depth 2
	;; [unrolled: 1-line block ×11, first 2 shown]
	v_cmp_lt_u64_e64 s4, s[16:17], 56
	v_cmp_gt_u64_e64 s5, s[16:17], 7
                                        ; implicit-def: $vgpr11_vgpr12
                                        ; implicit-def: $sgpr25
	s_and_b32 s4, s4, exec_lo
	s_cselect_b32 s19, s17, 0
	s_cselect_b32 s18, s16, 56
	s_and_b32 vcc_lo, exec_lo, s5
	s_mov_b32 s4, -1
	s_cbranch_vccz .LBB6_689
; %bb.683:                              ;   in Loop: Header=BB6_682 Depth=1
	s_andn2_b32 vcc_lo, exec_lo, s4
	s_mov_b64 s[4:5], s[10:11]
	s_cbranch_vccz .LBB6_693
.LBB6_684:                              ;   in Loop: Header=BB6_682 Depth=1
	s_cmp_gt_u32 s25, 7
	s_cbranch_scc1 .LBB6_694
.LBB6_685:                              ;   in Loop: Header=BB6_682 Depth=1
	v_mov_b32_e32 v13, 0
	v_mov_b32_e32 v14, 0
	s_cmp_eq_u32 s25, 0
	s_cbranch_scc1 .LBB6_688
; %bb.686:                              ;   in Loop: Header=BB6_682 Depth=1
	s_mov_b64 s[20:21], 0
	s_mov_b64 s[22:23], 0
.LBB6_687:                              ;   Parent Loop BB6_682 Depth=1
                                        ; =>  This Inner Loop Header: Depth=2
	s_add_u32 s26, s4, s22
	s_addc_u32 s27, s5, s23
	s_add_u32 s22, s22, 1
	global_load_ubyte v4, v6, s[26:27]
	s_addc_u32 s23, s23, 0
	s_waitcnt vmcnt(0)
	v_and_b32_e32 v5, 0xffff, v4
	v_lshlrev_b64 v[4:5], s20, v[5:6]
	s_add_u32 s20, s20, 8
	s_addc_u32 s21, s21, 0
	s_cmp_lg_u32 s25, s22
	v_or_b32_e32 v13, v4, v13
	v_or_b32_e32 v14, v5, v14
	s_cbranch_scc1 .LBB6_687
.LBB6_688:                              ;   in Loop: Header=BB6_682 Depth=1
	s_mov_b32 s26, 0
	s_cbranch_execz .LBB6_695
	s_branch .LBB6_696
.LBB6_689:                              ;   in Loop: Header=BB6_682 Depth=1
	v_mov_b32_e32 v11, 0
	v_mov_b32_e32 v12, 0
	s_cmp_eq_u64 s[16:17], 0
	s_mov_b64 s[4:5], 0
	s_cbranch_scc1 .LBB6_692
; %bb.690:                              ;   in Loop: Header=BB6_682 Depth=1
	v_mov_b32_e32 v11, 0
	v_mov_b32_e32 v12, 0
	s_lshl_b64 s[20:21], s[18:19], 3
	s_mov_b64 s[22:23], s[10:11]
.LBB6_691:                              ;   Parent Loop BB6_682 Depth=1
                                        ; =>  This Inner Loop Header: Depth=2
	global_load_ubyte v4, v6, s[22:23]
	s_waitcnt vmcnt(0)
	v_and_b32_e32 v5, 0xffff, v4
	v_lshlrev_b64 v[4:5], s4, v[5:6]
	s_add_u32 s4, s4, 8
	s_addc_u32 s5, s5, 0
	s_add_u32 s22, s22, 1
	s_addc_u32 s23, s23, 0
	s_cmp_lg_u32 s20, s4
	v_or_b32_e32 v11, v4, v11
	v_or_b32_e32 v12, v5, v12
	s_cbranch_scc1 .LBB6_691
.LBB6_692:                              ;   in Loop: Header=BB6_682 Depth=1
	s_mov_b32 s25, 0
	s_mov_b64 s[4:5], s[10:11]
	s_cbranch_execnz .LBB6_684
.LBB6_693:                              ;   in Loop: Header=BB6_682 Depth=1
	global_load_dwordx2 v[11:12], v6, s[10:11]
	s_add_i32 s25, s18, -8
	s_add_u32 s4, s10, 8
	s_addc_u32 s5, s11, 0
	s_cmp_gt_u32 s25, 7
	s_cbranch_scc0 .LBB6_685
.LBB6_694:                              ;   in Loop: Header=BB6_682 Depth=1
                                        ; implicit-def: $vgpr13_vgpr14
                                        ; implicit-def: $sgpr26
.LBB6_695:                              ;   in Loop: Header=BB6_682 Depth=1
	global_load_dwordx2 v[13:14], v6, s[4:5]
	s_add_i32 s26, s25, -8
	s_add_u32 s4, s4, 8
	s_addc_u32 s5, s5, 0
.LBB6_696:                              ;   in Loop: Header=BB6_682 Depth=1
	s_cmp_gt_u32 s26, 7
	s_cbranch_scc1 .LBB6_701
; %bb.697:                              ;   in Loop: Header=BB6_682 Depth=1
	v_mov_b32_e32 v15, 0
	v_mov_b32_e32 v16, 0
	s_cmp_eq_u32 s26, 0
	s_cbranch_scc1 .LBB6_700
; %bb.698:                              ;   in Loop: Header=BB6_682 Depth=1
	s_mov_b64 s[20:21], 0
	s_mov_b64 s[22:23], 0
.LBB6_699:                              ;   Parent Loop BB6_682 Depth=1
                                        ; =>  This Inner Loop Header: Depth=2
	s_add_u32 s28, s4, s22
	s_addc_u32 s29, s5, s23
	s_add_u32 s22, s22, 1
	global_load_ubyte v4, v6, s[28:29]
	s_addc_u32 s23, s23, 0
	s_waitcnt vmcnt(0)
	v_and_b32_e32 v5, 0xffff, v4
	v_lshlrev_b64 v[4:5], s20, v[5:6]
	s_add_u32 s20, s20, 8
	s_addc_u32 s21, s21, 0
	s_cmp_lg_u32 s26, s22
	v_or_b32_e32 v15, v4, v15
	v_or_b32_e32 v16, v5, v16
	s_cbranch_scc1 .LBB6_699
.LBB6_700:                              ;   in Loop: Header=BB6_682 Depth=1
	s_mov_b32 s25, 0
	s_cbranch_execz .LBB6_702
	s_branch .LBB6_703
.LBB6_701:                              ;   in Loop: Header=BB6_682 Depth=1
                                        ; implicit-def: $sgpr25
.LBB6_702:                              ;   in Loop: Header=BB6_682 Depth=1
	global_load_dwordx2 v[15:16], v6, s[4:5]
	s_add_i32 s25, s26, -8
	s_add_u32 s4, s4, 8
	s_addc_u32 s5, s5, 0
.LBB6_703:                              ;   in Loop: Header=BB6_682 Depth=1
	s_cmp_gt_u32 s25, 7
	s_cbranch_scc1 .LBB6_708
; %bb.704:                              ;   in Loop: Header=BB6_682 Depth=1
	v_mov_b32_e32 v17, 0
	v_mov_b32_e32 v18, 0
	s_cmp_eq_u32 s25, 0
	s_cbranch_scc1 .LBB6_707
; %bb.705:                              ;   in Loop: Header=BB6_682 Depth=1
	s_mov_b64 s[20:21], 0
	s_mov_b64 s[22:23], 0
.LBB6_706:                              ;   Parent Loop BB6_682 Depth=1
                                        ; =>  This Inner Loop Header: Depth=2
	s_add_u32 s26, s4, s22
	s_addc_u32 s27, s5, s23
	s_add_u32 s22, s22, 1
	global_load_ubyte v4, v6, s[26:27]
	s_addc_u32 s23, s23, 0
	s_waitcnt vmcnt(0)
	v_and_b32_e32 v5, 0xffff, v4
	v_lshlrev_b64 v[4:5], s20, v[5:6]
	s_add_u32 s20, s20, 8
	s_addc_u32 s21, s21, 0
	s_cmp_lg_u32 s25, s22
	v_or_b32_e32 v17, v4, v17
	v_or_b32_e32 v18, v5, v18
	s_cbranch_scc1 .LBB6_706
.LBB6_707:                              ;   in Loop: Header=BB6_682 Depth=1
	s_mov_b32 s26, 0
	s_cbranch_execz .LBB6_709
	s_branch .LBB6_710
.LBB6_708:                              ;   in Loop: Header=BB6_682 Depth=1
                                        ; implicit-def: $vgpr17_vgpr18
                                        ; implicit-def: $sgpr26
.LBB6_709:                              ;   in Loop: Header=BB6_682 Depth=1
	global_load_dwordx2 v[17:18], v6, s[4:5]
	s_add_i32 s26, s25, -8
	s_add_u32 s4, s4, 8
	s_addc_u32 s5, s5, 0
.LBB6_710:                              ;   in Loop: Header=BB6_682 Depth=1
	s_cmp_gt_u32 s26, 7
	s_cbranch_scc1 .LBB6_715
; %bb.711:                              ;   in Loop: Header=BB6_682 Depth=1
	v_mov_b32_e32 v19, 0
	v_mov_b32_e32 v20, 0
	s_cmp_eq_u32 s26, 0
	s_cbranch_scc1 .LBB6_714
; %bb.712:                              ;   in Loop: Header=BB6_682 Depth=1
	s_mov_b64 s[20:21], 0
	s_mov_b64 s[22:23], 0
.LBB6_713:                              ;   Parent Loop BB6_682 Depth=1
                                        ; =>  This Inner Loop Header: Depth=2
	s_add_u32 s28, s4, s22
	s_addc_u32 s29, s5, s23
	s_add_u32 s22, s22, 1
	global_load_ubyte v4, v6, s[28:29]
	s_addc_u32 s23, s23, 0
	s_waitcnt vmcnt(0)
	v_and_b32_e32 v5, 0xffff, v4
	v_lshlrev_b64 v[4:5], s20, v[5:6]
	s_add_u32 s20, s20, 8
	s_addc_u32 s21, s21, 0
	s_cmp_lg_u32 s26, s22
	v_or_b32_e32 v19, v4, v19
	v_or_b32_e32 v20, v5, v20
	s_cbranch_scc1 .LBB6_713
.LBB6_714:                              ;   in Loop: Header=BB6_682 Depth=1
	s_mov_b32 s25, 0
	s_cbranch_execz .LBB6_716
	s_branch .LBB6_717
.LBB6_715:                              ;   in Loop: Header=BB6_682 Depth=1
                                        ; implicit-def: $sgpr25
.LBB6_716:                              ;   in Loop: Header=BB6_682 Depth=1
	global_load_dwordx2 v[19:20], v6, s[4:5]
	s_add_i32 s25, s26, -8
	s_add_u32 s4, s4, 8
	s_addc_u32 s5, s5, 0
.LBB6_717:                              ;   in Loop: Header=BB6_682 Depth=1
	s_cmp_gt_u32 s25, 7
	s_cbranch_scc1 .LBB6_722
; %bb.718:                              ;   in Loop: Header=BB6_682 Depth=1
	v_mov_b32_e32 v21, 0
	v_mov_b32_e32 v22, 0
	s_cmp_eq_u32 s25, 0
	s_cbranch_scc1 .LBB6_721
; %bb.719:                              ;   in Loop: Header=BB6_682 Depth=1
	s_mov_b64 s[20:21], 0
	s_mov_b64 s[22:23], 0
.LBB6_720:                              ;   Parent Loop BB6_682 Depth=1
                                        ; =>  This Inner Loop Header: Depth=2
	s_add_u32 s26, s4, s22
	s_addc_u32 s27, s5, s23
	s_add_u32 s22, s22, 1
	global_load_ubyte v4, v6, s[26:27]
	s_addc_u32 s23, s23, 0
	s_waitcnt vmcnt(0)
	v_and_b32_e32 v5, 0xffff, v4
	v_lshlrev_b64 v[4:5], s20, v[5:6]
	s_add_u32 s20, s20, 8
	s_addc_u32 s21, s21, 0
	s_cmp_lg_u32 s25, s22
	v_or_b32_e32 v21, v4, v21
	v_or_b32_e32 v22, v5, v22
	s_cbranch_scc1 .LBB6_720
.LBB6_721:                              ;   in Loop: Header=BB6_682 Depth=1
	s_mov_b32 s26, 0
	s_cbranch_execz .LBB6_723
	s_branch .LBB6_724
.LBB6_722:                              ;   in Loop: Header=BB6_682 Depth=1
                                        ; implicit-def: $vgpr21_vgpr22
                                        ; implicit-def: $sgpr26
.LBB6_723:                              ;   in Loop: Header=BB6_682 Depth=1
	global_load_dwordx2 v[21:22], v6, s[4:5]
	s_add_i32 s26, s25, -8
	s_add_u32 s4, s4, 8
	s_addc_u32 s5, s5, 0
.LBB6_724:                              ;   in Loop: Header=BB6_682 Depth=1
	s_cmp_gt_u32 s26, 7
	s_cbranch_scc1 .LBB6_729
; %bb.725:                              ;   in Loop: Header=BB6_682 Depth=1
	v_mov_b32_e32 v23, 0
	v_mov_b32_e32 v24, 0
	s_cmp_eq_u32 s26, 0
	s_cbranch_scc1 .LBB6_728
; %bb.726:                              ;   in Loop: Header=BB6_682 Depth=1
	s_mov_b64 s[20:21], 0
	s_mov_b64 s[22:23], s[4:5]
.LBB6_727:                              ;   Parent Loop BB6_682 Depth=1
                                        ; =>  This Inner Loop Header: Depth=2
	global_load_ubyte v4, v6, s[22:23]
	s_add_i32 s26, s26, -1
	s_waitcnt vmcnt(0)
	v_and_b32_e32 v5, 0xffff, v4
	v_lshlrev_b64 v[4:5], s20, v[5:6]
	s_add_u32 s20, s20, 8
	s_addc_u32 s21, s21, 0
	s_add_u32 s22, s22, 1
	s_addc_u32 s23, s23, 0
	s_cmp_lg_u32 s26, 0
	v_or_b32_e32 v23, v4, v23
	v_or_b32_e32 v24, v5, v24
	s_cbranch_scc1 .LBB6_727
.LBB6_728:                              ;   in Loop: Header=BB6_682 Depth=1
	s_cbranch_execz .LBB6_730
	s_branch .LBB6_731
.LBB6_729:                              ;   in Loop: Header=BB6_682 Depth=1
.LBB6_730:                              ;   in Loop: Header=BB6_682 Depth=1
	global_load_dwordx2 v[23:24], v6, s[4:5]
.LBB6_731:                              ;   in Loop: Header=BB6_682 Depth=1
	v_readfirstlane_b32 s4, v32
	s_waitcnt vmcnt(0)
	v_mov_b32_e32 v4, 0
	v_mov_b32_e32 v5, 0
	v_cmp_eq_u32_e64 s4, s4, v32
	s_and_saveexec_b32 s5, s4
	s_cbranch_execz .LBB6_737
; %bb.732:                              ;   in Loop: Header=BB6_682 Depth=1
	global_load_dwordx2 v[27:28], v6, s[6:7] offset:24 glc dlc
	s_waitcnt vmcnt(0)
	buffer_gl1_inv
	buffer_gl0_inv
	s_clause 0x1
	global_load_dwordx2 v[4:5], v6, s[6:7] offset:40
	global_load_dwordx2 v[9:10], v6, s[6:7]
	s_mov_b32 s20, exec_lo
	s_waitcnt vmcnt(1)
	v_and_b32_e32 v5, v5, v28
	v_and_b32_e32 v4, v4, v27
	v_mul_lo_u32 v5, v5, 24
	v_mul_hi_u32 v25, v4, 24
	v_mul_lo_u32 v4, v4, 24
	v_add_nc_u32_e32 v5, v25, v5
	s_waitcnt vmcnt(0)
	v_add_co_u32 v4, vcc_lo, v9, v4
	v_add_co_ci_u32_e32 v5, vcc_lo, v10, v5, vcc_lo
	global_load_dwordx2 v[25:26], v[4:5], off glc dlc
	s_waitcnt vmcnt(0)
	global_atomic_cmpswap_x2 v[4:5], v6, v[25:28], s[6:7] offset:24 glc
	s_waitcnt vmcnt(0)
	buffer_gl1_inv
	buffer_gl0_inv
	v_cmpx_ne_u64_e64 v[4:5], v[27:28]
	s_cbranch_execz .LBB6_736
; %bb.733:                              ;   in Loop: Header=BB6_682 Depth=1
	s_mov_b32 s21, 0
	.p2align	6
.LBB6_734:                              ;   Parent Loop BB6_682 Depth=1
                                        ; =>  This Inner Loop Header: Depth=2
	s_sleep 1
	s_clause 0x1
	global_load_dwordx2 v[9:10], v6, s[6:7] offset:40
	global_load_dwordx2 v[25:26], v6, s[6:7]
	v_mov_b32_e32 v28, v5
	v_mov_b32_e32 v27, v4
	s_waitcnt vmcnt(1)
	v_and_b32_e32 v4, v9, v27
	v_and_b32_e32 v9, v10, v28
	s_waitcnt vmcnt(0)
	v_mad_u64_u32 v[4:5], null, v4, 24, v[25:26]
	v_mad_u64_u32 v[9:10], null, v9, 24, v[5:6]
	v_mov_b32_e32 v5, v9
	global_load_dwordx2 v[25:26], v[4:5], off glc dlc
	s_waitcnt vmcnt(0)
	global_atomic_cmpswap_x2 v[4:5], v6, v[25:28], s[6:7] offset:24 glc
	s_waitcnt vmcnt(0)
	buffer_gl1_inv
	buffer_gl0_inv
	v_cmp_eq_u64_e32 vcc_lo, v[4:5], v[27:28]
	s_or_b32 s21, vcc_lo, s21
	s_andn2_b32 exec_lo, exec_lo, s21
	s_cbranch_execnz .LBB6_734
; %bb.735:                              ;   in Loop: Header=BB6_682 Depth=1
	s_or_b32 exec_lo, exec_lo, s21
.LBB6_736:                              ;   in Loop: Header=BB6_682 Depth=1
	s_or_b32 exec_lo, exec_lo, s20
.LBB6_737:                              ;   in Loop: Header=BB6_682 Depth=1
	s_or_b32 exec_lo, exec_lo, s5
	s_clause 0x1
	global_load_dwordx2 v[9:10], v6, s[6:7] offset:40
	global_load_dwordx4 v[25:28], v6, s[6:7]
	v_readfirstlane_b32 s20, v4
	v_readfirstlane_b32 s21, v5
	s_mov_b32 s5, exec_lo
	s_waitcnt vmcnt(1)
	v_readfirstlane_b32 s22, v9
	v_readfirstlane_b32 s23, v10
	s_and_b64 s[22:23], s[20:21], s[22:23]
	s_mul_i32 s25, s23, 24
	s_mul_hi_u32 s26, s22, 24
	s_mul_i32 s27, s22, 24
	s_add_i32 s26, s26, s25
	s_waitcnt vmcnt(0)
	v_add_co_u32 v29, vcc_lo, v25, s27
	v_add_co_ci_u32_e32 v30, vcc_lo, s26, v26, vcc_lo
	s_and_saveexec_b32 s25, s4
	s_cbranch_execz .LBB6_739
; %bb.738:                              ;   in Loop: Header=BB6_682 Depth=1
	v_mov_b32_e32 v5, s5
	global_store_dwordx4 v[29:30], v[5:8], off offset:8
.LBB6_739:                              ;   in Loop: Header=BB6_682 Depth=1
	s_or_b32 exec_lo, exec_lo, s25
	s_lshl_b64 s[22:23], s[22:23], 12
	v_cmp_gt_u64_e64 vcc_lo, s[16:17], 56
	v_or_b32_e32 v5, v2, v33
	v_add_co_u32 v27, s5, v27, s22
	v_add_co_ci_u32_e64 v28, s5, s23, v28, s5
	s_lshl_b32 s5, s18, 2
	v_or_b32_e32 v4, 0, v3
	v_cndmask_b32_e32 v2, v5, v2, vcc_lo
	s_add_i32 s5, s5, 28
	v_readfirstlane_b32 s22, v27
	s_and_b32 s5, s5, 0x1e0
	v_cndmask_b32_e32 v10, v4, v3, vcc_lo
	v_readfirstlane_b32 s23, v28
	v_and_or_b32 v9, 0xffffff1f, v2, s5
	global_store_dwordx4 v31, v[9:12], s[22:23]
	global_store_dwordx4 v31, v[13:16], s[22:23] offset:16
	global_store_dwordx4 v31, v[17:20], s[22:23] offset:32
	;; [unrolled: 1-line block ×3, first 2 shown]
	s_and_saveexec_b32 s5, s4
	s_cbranch_execz .LBB6_747
; %bb.740:                              ;   in Loop: Header=BB6_682 Depth=1
	s_clause 0x1
	global_load_dwordx2 v[13:14], v6, s[6:7] offset:32 glc dlc
	global_load_dwordx2 v[2:3], v6, s[6:7] offset:40
	v_mov_b32_e32 v11, s20
	v_mov_b32_e32 v12, s21
	s_waitcnt vmcnt(0)
	v_readfirstlane_b32 s22, v2
	v_readfirstlane_b32 s23, v3
	s_and_b64 s[22:23], s[22:23], s[20:21]
	s_mul_i32 s23, s23, 24
	s_mul_hi_u32 s25, s22, 24
	s_mul_i32 s22, s22, 24
	s_add_i32 s25, s25, s23
	v_add_co_u32 v9, vcc_lo, v25, s22
	v_add_co_ci_u32_e32 v10, vcc_lo, s25, v26, vcc_lo
	s_mov_b32 s22, exec_lo
	global_store_dwordx2 v[9:10], v[13:14], off
	s_waitcnt_vscnt null, 0x0
	global_atomic_cmpswap_x2 v[4:5], v6, v[11:14], s[6:7] offset:32 glc
	s_waitcnt vmcnt(0)
	v_cmpx_ne_u64_e64 v[4:5], v[13:14]
	s_cbranch_execz .LBB6_743
; %bb.741:                              ;   in Loop: Header=BB6_682 Depth=1
	s_mov_b32 s23, 0
.LBB6_742:                              ;   Parent Loop BB6_682 Depth=1
                                        ; =>  This Inner Loop Header: Depth=2
	v_mov_b32_e32 v2, s20
	v_mov_b32_e32 v3, s21
	s_sleep 1
	global_store_dwordx2 v[9:10], v[4:5], off
	s_waitcnt_vscnt null, 0x0
	global_atomic_cmpswap_x2 v[2:3], v6, v[2:5], s[6:7] offset:32 glc
	s_waitcnt vmcnt(0)
	v_cmp_eq_u64_e32 vcc_lo, v[2:3], v[4:5]
	v_mov_b32_e32 v5, v3
	v_mov_b32_e32 v4, v2
	s_or_b32 s23, vcc_lo, s23
	s_andn2_b32 exec_lo, exec_lo, s23
	s_cbranch_execnz .LBB6_742
.LBB6_743:                              ;   in Loop: Header=BB6_682 Depth=1
	s_or_b32 exec_lo, exec_lo, s22
	global_load_dwordx2 v[2:3], v6, s[6:7] offset:16
	s_mov_b32 s23, exec_lo
	s_mov_b32 s22, exec_lo
	v_mbcnt_lo_u32_b32 v4, s23, 0
	v_cmpx_eq_u32_e32 0, v4
	s_cbranch_execz .LBB6_745
; %bb.744:                              ;   in Loop: Header=BB6_682 Depth=1
	s_bcnt1_i32_b32 s23, s23
	v_mov_b32_e32 v5, s23
	s_waitcnt vmcnt(0)
	global_atomic_add_x2 v[2:3], v[5:6], off offset:8
.LBB6_745:                              ;   in Loop: Header=BB6_682 Depth=1
	s_or_b32 exec_lo, exec_lo, s22
	s_waitcnt vmcnt(0)
	global_load_dwordx2 v[9:10], v[2:3], off offset:16
	s_waitcnt vmcnt(0)
	v_cmp_eq_u64_e32 vcc_lo, 0, v[9:10]
	s_cbranch_vccnz .LBB6_747
; %bb.746:                              ;   in Loop: Header=BB6_682 Depth=1
	global_load_dword v5, v[2:3], off offset:24
	s_waitcnt vmcnt(0)
	v_and_b32_e32 v2, 0x7fffff, v5
	s_waitcnt_vscnt null, 0x0
	global_store_dwordx2 v[9:10], v[5:6], off
	v_readfirstlane_b32 m0, v2
	s_sendmsg sendmsg(MSG_INTERRUPT)
.LBB6_747:                              ;   in Loop: Header=BB6_682 Depth=1
	s_or_b32 exec_lo, exec_lo, s5
	v_add_co_u32 v2, vcc_lo, v27, v31
	v_add_co_ci_u32_e32 v3, vcc_lo, 0, v28, vcc_lo
	s_branch .LBB6_751
	.p2align	6
.LBB6_748:                              ;   in Loop: Header=BB6_751 Depth=2
	s_or_b32 exec_lo, exec_lo, s5
	v_readfirstlane_b32 s5, v4
	s_cmp_eq_u32 s5, 0
	s_cbranch_scc1 .LBB6_750
; %bb.749:                              ;   in Loop: Header=BB6_751 Depth=2
	s_sleep 1
	s_cbranch_execnz .LBB6_751
	s_branch .LBB6_753
	.p2align	6
.LBB6_750:                              ;   in Loop: Header=BB6_682 Depth=1
	s_branch .LBB6_753
.LBB6_751:                              ;   Parent Loop BB6_682 Depth=1
                                        ; =>  This Inner Loop Header: Depth=2
	v_mov_b32_e32 v4, 1
	s_and_saveexec_b32 s5, s4
	s_cbranch_execz .LBB6_748
; %bb.752:                              ;   in Loop: Header=BB6_751 Depth=2
	global_load_dword v4, v[29:30], off offset:20 glc dlc
	s_waitcnt vmcnt(0)
	buffer_gl1_inv
	buffer_gl0_inv
	v_and_b32_e32 v4, 1, v4
	s_branch .LBB6_748
.LBB6_753:                              ;   in Loop: Header=BB6_682 Depth=1
	global_load_dwordx4 v[2:5], v[2:3], off
	s_and_saveexec_b32 s5, s4
	s_cbranch_execz .LBB6_681
; %bb.754:                              ;   in Loop: Header=BB6_682 Depth=1
	s_clause 0x2
	global_load_dwordx2 v[4:5], v6, s[6:7] offset:40
	global_load_dwordx2 v[13:14], v6, s[6:7] offset:24 glc dlc
	global_load_dwordx2 v[11:12], v6, s[6:7]
	s_waitcnt vmcnt(2)
	v_add_co_u32 v15, vcc_lo, v4, 1
	v_add_co_ci_u32_e32 v16, vcc_lo, 0, v5, vcc_lo
	v_add_co_u32 v9, vcc_lo, v15, s20
	v_add_co_ci_u32_e32 v10, vcc_lo, s21, v16, vcc_lo
	v_cmp_eq_u64_e32 vcc_lo, 0, v[9:10]
	v_cndmask_b32_e32 v10, v10, v16, vcc_lo
	v_cndmask_b32_e32 v9, v9, v15, vcc_lo
	v_and_b32_e32 v5, v10, v5
	v_and_b32_e32 v4, v9, v4
	v_mul_lo_u32 v5, v5, 24
	v_mul_hi_u32 v15, v4, 24
	v_mul_lo_u32 v4, v4, 24
	v_add_nc_u32_e32 v5, v15, v5
	s_waitcnt vmcnt(0)
	v_add_co_u32 v4, vcc_lo, v11, v4
	v_mov_b32_e32 v11, v13
	v_add_co_ci_u32_e32 v5, vcc_lo, v12, v5, vcc_lo
	v_mov_b32_e32 v12, v14
	global_store_dwordx2 v[4:5], v[13:14], off
	s_waitcnt_vscnt null, 0x0
	global_atomic_cmpswap_x2 v[11:12], v6, v[9:12], s[6:7] offset:24 glc
	s_waitcnt vmcnt(0)
	v_cmp_ne_u64_e32 vcc_lo, v[11:12], v[13:14]
	s_and_b32 exec_lo, exec_lo, vcc_lo
	s_cbranch_execz .LBB6_681
; %bb.755:                              ;   in Loop: Header=BB6_682 Depth=1
	s_mov_b32 s4, 0
.LBB6_756:                              ;   Parent Loop BB6_682 Depth=1
                                        ; =>  This Inner Loop Header: Depth=2
	s_sleep 1
	global_store_dwordx2 v[4:5], v[11:12], off
	s_waitcnt_vscnt null, 0x0
	global_atomic_cmpswap_x2 v[13:14], v6, v[9:12], s[6:7] offset:24 glc
	s_waitcnt vmcnt(0)
	v_cmp_eq_u64_e32 vcc_lo, v[13:14], v[11:12]
	v_mov_b32_e32 v11, v13
	v_mov_b32_e32 v12, v14
	s_or_b32 s4, vcc_lo, s4
	s_andn2_b32 exec_lo, exec_lo, s4
	s_cbranch_execnz .LBB6_756
	s_branch .LBB6_681
.LBB6_757:
	s_branch .LBB6_786
.LBB6_758:
                                        ; implicit-def: $vgpr2_vgpr3
	s_cbranch_execz .LBB6_786
; %bb.759:
	v_readfirstlane_b32 s4, v32
	v_mov_b32_e32 v8, 0
	v_mov_b32_e32 v9, 0
	v_cmp_eq_u32_e64 s4, s4, v32
	s_and_saveexec_b32 s5, s4
	s_cbranch_execz .LBB6_765
; %bb.760:
	s_waitcnt vmcnt(0)
	v_mov_b32_e32 v2, 0
	s_mov_b32 s10, exec_lo
	global_load_dwordx2 v[5:6], v2, s[6:7] offset:24 glc dlc
	s_waitcnt vmcnt(0)
	buffer_gl1_inv
	buffer_gl0_inv
	s_clause 0x1
	global_load_dwordx2 v[3:4], v2, s[6:7] offset:40
	global_load_dwordx2 v[7:8], v2, s[6:7]
	s_waitcnt vmcnt(1)
	v_and_b32_e32 v4, v4, v6
	v_and_b32_e32 v3, v3, v5
	v_mul_lo_u32 v4, v4, 24
	v_mul_hi_u32 v9, v3, 24
	v_mul_lo_u32 v3, v3, 24
	v_add_nc_u32_e32 v4, v9, v4
	s_waitcnt vmcnt(0)
	v_add_co_u32 v3, vcc_lo, v7, v3
	v_add_co_ci_u32_e32 v4, vcc_lo, v8, v4, vcc_lo
	global_load_dwordx2 v[3:4], v[3:4], off glc dlc
	s_waitcnt vmcnt(0)
	global_atomic_cmpswap_x2 v[8:9], v2, v[3:6], s[6:7] offset:24 glc
	s_waitcnt vmcnt(0)
	buffer_gl1_inv
	buffer_gl0_inv
	v_cmpx_ne_u64_e64 v[8:9], v[5:6]
	s_cbranch_execz .LBB6_764
; %bb.761:
	s_mov_b32 s11, 0
	.p2align	6
.LBB6_762:                              ; =>This Inner Loop Header: Depth=1
	s_sleep 1
	s_clause 0x1
	global_load_dwordx2 v[3:4], v2, s[6:7] offset:40
	global_load_dwordx2 v[10:11], v2, s[6:7]
	v_mov_b32_e32 v5, v8
	v_mov_b32_e32 v6, v9
	s_waitcnt vmcnt(1)
	v_and_b32_e32 v3, v3, v5
	v_and_b32_e32 v4, v4, v6
	s_waitcnt vmcnt(0)
	v_mad_u64_u32 v[7:8], null, v3, 24, v[10:11]
	v_mov_b32_e32 v3, v8
	v_mad_u64_u32 v[3:4], null, v4, 24, v[3:4]
	v_mov_b32_e32 v8, v3
	global_load_dwordx2 v[3:4], v[7:8], off glc dlc
	s_waitcnt vmcnt(0)
	global_atomic_cmpswap_x2 v[8:9], v2, v[3:6], s[6:7] offset:24 glc
	s_waitcnt vmcnt(0)
	buffer_gl1_inv
	buffer_gl0_inv
	v_cmp_eq_u64_e32 vcc_lo, v[8:9], v[5:6]
	s_or_b32 s11, vcc_lo, s11
	s_andn2_b32 exec_lo, exec_lo, s11
	s_cbranch_execnz .LBB6_762
; %bb.763:
	s_or_b32 exec_lo, exec_lo, s11
.LBB6_764:
	s_or_b32 exec_lo, exec_lo, s10
.LBB6_765:
	s_or_b32 exec_lo, exec_lo, s5
	s_waitcnt vmcnt(0)
	v_mov_b32_e32 v2, 0
	v_readfirstlane_b32 s10, v8
	v_readfirstlane_b32 s11, v9
	s_mov_b32 s5, exec_lo
	s_clause 0x1
	global_load_dwordx2 v[10:11], v2, s[6:7] offset:40
	global_load_dwordx4 v[4:7], v2, s[6:7]
	s_waitcnt vmcnt(1)
	v_readfirstlane_b32 s16, v10
	v_readfirstlane_b32 s17, v11
	s_and_b64 s[16:17], s[10:11], s[16:17]
	s_mul_i32 s18, s17, 24
	s_mul_hi_u32 s19, s16, 24
	s_mul_i32 s20, s16, 24
	s_add_i32 s19, s19, s18
	s_waitcnt vmcnt(0)
	v_add_co_u32 v8, vcc_lo, v4, s20
	v_add_co_ci_u32_e32 v9, vcc_lo, s19, v5, vcc_lo
	s_and_saveexec_b32 s18, s4
	s_cbranch_execz .LBB6_767
; %bb.766:
	v_mov_b32_e32 v10, s5
	v_mov_b32_e32 v11, v2
	;; [unrolled: 1-line block ×4, first 2 shown]
	global_store_dwordx4 v[8:9], v[10:13], off offset:8
.LBB6_767:
	s_or_b32 exec_lo, exec_lo, s18
	s_lshl_b64 s[16:17], s[16:17], 12
	v_and_or_b32 v0, 0xffffff1f, v0, 32
	v_add_co_u32 v6, vcc_lo, v6, s16
	v_add_co_ci_u32_e32 v7, vcc_lo, s17, v7, vcc_lo
	s_mov_b32 s16, 0
	v_readfirstlane_b32 s20, v6
	v_add_co_u32 v6, vcc_lo, v6, v31
	s_mov_b32 s17, s16
	s_mov_b32 s18, s16
	;; [unrolled: 1-line block ×3, first 2 shown]
	v_mov_b32_e32 v3, v2
	v_readfirstlane_b32 s21, v7
	v_mov_b32_e32 v10, s16
	v_add_co_ci_u32_e32 v7, vcc_lo, 0, v7, vcc_lo
	v_mov_b32_e32 v11, s17
	v_mov_b32_e32 v12, s18
	;; [unrolled: 1-line block ×3, first 2 shown]
	global_store_dwordx4 v31, v[0:3], s[20:21]
	global_store_dwordx4 v31, v[10:13], s[20:21] offset:16
	global_store_dwordx4 v31, v[10:13], s[20:21] offset:32
	;; [unrolled: 1-line block ×3, first 2 shown]
	s_and_saveexec_b32 s5, s4
	s_cbranch_execz .LBB6_775
; %bb.768:
	v_mov_b32_e32 v10, 0
	v_mov_b32_e32 v11, s10
	;; [unrolled: 1-line block ×3, first 2 shown]
	s_clause 0x1
	global_load_dwordx2 v[13:14], v10, s[6:7] offset:32 glc dlc
	global_load_dwordx2 v[0:1], v10, s[6:7] offset:40
	s_waitcnt vmcnt(0)
	v_readfirstlane_b32 s16, v0
	v_readfirstlane_b32 s17, v1
	s_and_b64 s[16:17], s[16:17], s[10:11]
	s_mul_i32 s17, s17, 24
	s_mul_hi_u32 s18, s16, 24
	s_mul_i32 s16, s16, 24
	s_add_i32 s18, s18, s17
	v_add_co_u32 v4, vcc_lo, v4, s16
	v_add_co_ci_u32_e32 v5, vcc_lo, s18, v5, vcc_lo
	s_mov_b32 s16, exec_lo
	global_store_dwordx2 v[4:5], v[13:14], off
	s_waitcnt_vscnt null, 0x0
	global_atomic_cmpswap_x2 v[2:3], v10, v[11:14], s[6:7] offset:32 glc
	s_waitcnt vmcnt(0)
	v_cmpx_ne_u64_e64 v[2:3], v[13:14]
	s_cbranch_execz .LBB6_771
; %bb.769:
	s_mov_b32 s17, 0
.LBB6_770:                              ; =>This Inner Loop Header: Depth=1
	v_mov_b32_e32 v0, s10
	v_mov_b32_e32 v1, s11
	s_sleep 1
	global_store_dwordx2 v[4:5], v[2:3], off
	s_waitcnt_vscnt null, 0x0
	global_atomic_cmpswap_x2 v[0:1], v10, v[0:3], s[6:7] offset:32 glc
	s_waitcnt vmcnt(0)
	v_cmp_eq_u64_e32 vcc_lo, v[0:1], v[2:3]
	v_mov_b32_e32 v3, v1
	v_mov_b32_e32 v2, v0
	s_or_b32 s17, vcc_lo, s17
	s_andn2_b32 exec_lo, exec_lo, s17
	s_cbranch_execnz .LBB6_770
.LBB6_771:
	s_or_b32 exec_lo, exec_lo, s16
	v_mov_b32_e32 v3, 0
	s_mov_b32 s17, exec_lo
	s_mov_b32 s16, exec_lo
	v_mbcnt_lo_u32_b32 v2, s17, 0
	global_load_dwordx2 v[0:1], v3, s[6:7] offset:16
	v_cmpx_eq_u32_e32 0, v2
	s_cbranch_execz .LBB6_773
; %bb.772:
	s_bcnt1_i32_b32 s17, s17
	v_mov_b32_e32 v2, s17
	s_waitcnt vmcnt(0)
	global_atomic_add_x2 v[0:1], v[2:3], off offset:8
.LBB6_773:
	s_or_b32 exec_lo, exec_lo, s16
	s_waitcnt vmcnt(0)
	global_load_dwordx2 v[2:3], v[0:1], off offset:16
	s_waitcnt vmcnt(0)
	v_cmp_eq_u64_e32 vcc_lo, 0, v[2:3]
	s_cbranch_vccnz .LBB6_775
; %bb.774:
	global_load_dword v0, v[0:1], off offset:24
	v_mov_b32_e32 v1, 0
	s_waitcnt vmcnt(0)
	v_and_b32_e32 v4, 0x7fffff, v0
	s_waitcnt_vscnt null, 0x0
	global_store_dwordx2 v[2:3], v[0:1], off
	v_readfirstlane_b32 m0, v4
	s_sendmsg sendmsg(MSG_INTERRUPT)
.LBB6_775:
	s_or_b32 exec_lo, exec_lo, s5
	s_branch .LBB6_779
	.p2align	6
.LBB6_776:                              ;   in Loop: Header=BB6_779 Depth=1
	s_or_b32 exec_lo, exec_lo, s5
	v_readfirstlane_b32 s5, v0
	s_cmp_eq_u32 s5, 0
	s_cbranch_scc1 .LBB6_778
; %bb.777:                              ;   in Loop: Header=BB6_779 Depth=1
	s_sleep 1
	s_cbranch_execnz .LBB6_779
	s_branch .LBB6_781
	.p2align	6
.LBB6_778:
	s_branch .LBB6_781
.LBB6_779:                              ; =>This Inner Loop Header: Depth=1
	v_mov_b32_e32 v0, 1
	s_and_saveexec_b32 s5, s4
	s_cbranch_execz .LBB6_776
; %bb.780:                              ;   in Loop: Header=BB6_779 Depth=1
	global_load_dword v0, v[8:9], off offset:20 glc dlc
	s_waitcnt vmcnt(0)
	buffer_gl1_inv
	buffer_gl0_inv
	v_and_b32_e32 v0, 1, v0
	s_branch .LBB6_776
.LBB6_781:
	global_load_dwordx2 v[2:3], v[6:7], off
	s_and_saveexec_b32 s5, s4
	s_cbranch_execz .LBB6_785
; %bb.782:
	v_mov_b32_e32 v8, 0
	s_clause 0x2
	global_load_dwordx2 v[0:1], v8, s[6:7] offset:40
	global_load_dwordx2 v[9:10], v8, s[6:7] offset:24 glc dlc
	global_load_dwordx2 v[6:7], v8, s[6:7]
	s_waitcnt vmcnt(2)
	v_add_co_u32 v11, vcc_lo, v0, 1
	v_add_co_ci_u32_e32 v12, vcc_lo, 0, v1, vcc_lo
	v_add_co_u32 v4, vcc_lo, v11, s10
	v_add_co_ci_u32_e32 v5, vcc_lo, s11, v12, vcc_lo
	v_cmp_eq_u64_e32 vcc_lo, 0, v[4:5]
	v_cndmask_b32_e32 v5, v5, v12, vcc_lo
	v_cndmask_b32_e32 v4, v4, v11, vcc_lo
	v_and_b32_e32 v1, v5, v1
	v_and_b32_e32 v0, v4, v0
	v_mul_lo_u32 v1, v1, 24
	v_mul_hi_u32 v11, v0, 24
	v_mul_lo_u32 v0, v0, 24
	v_add_nc_u32_e32 v1, v11, v1
	s_waitcnt vmcnt(0)
	v_add_co_u32 v0, vcc_lo, v6, v0
	v_mov_b32_e32 v6, v9
	v_add_co_ci_u32_e32 v1, vcc_lo, v7, v1, vcc_lo
	v_mov_b32_e32 v7, v10
	global_store_dwordx2 v[0:1], v[9:10], off
	s_waitcnt_vscnt null, 0x0
	global_atomic_cmpswap_x2 v[6:7], v8, v[4:7], s[6:7] offset:24 glc
	s_waitcnt vmcnt(0)
	v_cmp_ne_u64_e32 vcc_lo, v[6:7], v[9:10]
	s_and_b32 exec_lo, exec_lo, vcc_lo
	s_cbranch_execz .LBB6_785
; %bb.783:
	s_mov_b32 s4, 0
.LBB6_784:                              ; =>This Inner Loop Header: Depth=1
	s_sleep 1
	global_store_dwordx2 v[0:1], v[6:7], off
	s_waitcnt_vscnt null, 0x0
	global_atomic_cmpswap_x2 v[9:10], v8, v[4:7], s[6:7] offset:24 glc
	s_waitcnt vmcnt(0)
	v_cmp_eq_u64_e32 vcc_lo, v[9:10], v[6:7]
	v_mov_b32_e32 v6, v9
	v_mov_b32_e32 v7, v10
	s_or_b32 s4, vcc_lo, s4
	s_andn2_b32 exec_lo, exec_lo, s4
	s_cbranch_execnz .LBB6_784
.LBB6_785:
	s_or_b32 exec_lo, exec_lo, s5
.LBB6_786:
	v_readfirstlane_b32 s4, v32
	s_waitcnt vmcnt(0)
	v_mov_b32_e32 v0, 0
	v_mov_b32_e32 v1, 0
	v_cmp_eq_u32_e64 s4, s4, v32
	s_and_saveexec_b32 s5, s4
	s_cbranch_execz .LBB6_792
; %bb.787:
	v_mov_b32_e32 v4, 0
	s_mov_b32 s10, exec_lo
	global_load_dwordx2 v[7:8], v4, s[6:7] offset:24 glc dlc
	s_waitcnt vmcnt(0)
	buffer_gl1_inv
	buffer_gl0_inv
	s_clause 0x1
	global_load_dwordx2 v[0:1], v4, s[6:7] offset:40
	global_load_dwordx2 v[5:6], v4, s[6:7]
	s_waitcnt vmcnt(1)
	v_and_b32_e32 v1, v1, v8
	v_and_b32_e32 v0, v0, v7
	v_mul_lo_u32 v1, v1, 24
	v_mul_hi_u32 v9, v0, 24
	v_mul_lo_u32 v0, v0, 24
	v_add_nc_u32_e32 v1, v9, v1
	s_waitcnt vmcnt(0)
	v_add_co_u32 v0, vcc_lo, v5, v0
	v_add_co_ci_u32_e32 v1, vcc_lo, v6, v1, vcc_lo
	global_load_dwordx2 v[5:6], v[0:1], off glc dlc
	s_waitcnt vmcnt(0)
	global_atomic_cmpswap_x2 v[0:1], v4, v[5:8], s[6:7] offset:24 glc
	s_waitcnt vmcnt(0)
	buffer_gl1_inv
	buffer_gl0_inv
	v_cmpx_ne_u64_e64 v[0:1], v[7:8]
	s_cbranch_execz .LBB6_791
; %bb.788:
	s_mov_b32 s11, 0
	.p2align	6
.LBB6_789:                              ; =>This Inner Loop Header: Depth=1
	s_sleep 1
	s_clause 0x1
	global_load_dwordx2 v[5:6], v4, s[6:7] offset:40
	global_load_dwordx2 v[9:10], v4, s[6:7]
	v_mov_b32_e32 v8, v1
	v_mov_b32_e32 v7, v0
	s_waitcnt vmcnt(1)
	v_and_b32_e32 v0, v5, v7
	v_and_b32_e32 v5, v6, v8
	s_waitcnt vmcnt(0)
	v_mad_u64_u32 v[0:1], null, v0, 24, v[9:10]
	v_mad_u64_u32 v[5:6], null, v5, 24, v[1:2]
	v_mov_b32_e32 v1, v5
	global_load_dwordx2 v[5:6], v[0:1], off glc dlc
	s_waitcnt vmcnt(0)
	global_atomic_cmpswap_x2 v[0:1], v4, v[5:8], s[6:7] offset:24 glc
	s_waitcnt vmcnt(0)
	buffer_gl1_inv
	buffer_gl0_inv
	v_cmp_eq_u64_e32 vcc_lo, v[0:1], v[7:8]
	s_or_b32 s11, vcc_lo, s11
	s_andn2_b32 exec_lo, exec_lo, s11
	s_cbranch_execnz .LBB6_789
; %bb.790:
	s_or_b32 exec_lo, exec_lo, s11
.LBB6_791:
	s_or_b32 exec_lo, exec_lo, s10
.LBB6_792:
	s_or_b32 exec_lo, exec_lo, s5
	v_mov_b32_e32 v5, 0
	v_readfirstlane_b32 s10, v0
	v_readfirstlane_b32 s11, v1
	s_mov_b32 s5, exec_lo
	s_clause 0x1
	global_load_dwordx2 v[10:11], v5, s[6:7] offset:40
	global_load_dwordx4 v[6:9], v5, s[6:7]
	s_waitcnt vmcnt(1)
	v_readfirstlane_b32 s16, v10
	v_readfirstlane_b32 s17, v11
	s_and_b64 s[16:17], s[10:11], s[16:17]
	s_mul_i32 s18, s17, 24
	s_mul_hi_u32 s19, s16, 24
	s_mul_i32 s20, s16, 24
	s_add_i32 s19, s19, s18
	s_waitcnt vmcnt(0)
	v_add_co_u32 v10, vcc_lo, v6, s20
	v_add_co_ci_u32_e32 v11, vcc_lo, s19, v7, vcc_lo
	s_and_saveexec_b32 s18, s4
	s_cbranch_execz .LBB6_794
; %bb.793:
	v_mov_b32_e32 v4, s5
	v_mov_b32_e32 v13, v5
	;; [unrolled: 1-line block ×5, first 2 shown]
	global_store_dwordx4 v[10:11], v[12:15], off offset:8
.LBB6_794:
	s_or_b32 exec_lo, exec_lo, s18
	s_lshl_b64 s[16:17], s[16:17], 12
	v_and_or_b32 v2, 0xffffff1d, v2, 34
	v_add_co_u32 v0, vcc_lo, v8, s16
	v_add_co_ci_u32_e32 v1, vcc_lo, s17, v9, vcc_lo
	s_mov_b32 s16, 0
	v_mov_b32_e32 v4, 58
	s_mov_b32 s17, s16
	s_mov_b32 s18, s16
	;; [unrolled: 1-line block ×3, first 2 shown]
	v_readfirstlane_b32 s20, v0
	v_readfirstlane_b32 s21, v1
	v_mov_b32_e32 v12, s16
	v_mov_b32_e32 v13, s17
	;; [unrolled: 1-line block ×4, first 2 shown]
	global_store_dwordx4 v31, v[2:5], s[20:21]
	global_store_dwordx4 v31, v[12:15], s[20:21] offset:16
	global_store_dwordx4 v31, v[12:15], s[20:21] offset:32
	;; [unrolled: 1-line block ×3, first 2 shown]
	s_and_saveexec_b32 s5, s4
	s_cbranch_execz .LBB6_802
; %bb.795:
	v_mov_b32_e32 v8, 0
	v_mov_b32_e32 v12, s10
	;; [unrolled: 1-line block ×3, first 2 shown]
	s_clause 0x1
	global_load_dwordx2 v[14:15], v8, s[6:7] offset:32 glc dlc
	global_load_dwordx2 v[0:1], v8, s[6:7] offset:40
	s_waitcnt vmcnt(0)
	v_readfirstlane_b32 s16, v0
	v_readfirstlane_b32 s17, v1
	s_and_b64 s[16:17], s[16:17], s[10:11]
	s_mul_i32 s17, s17, 24
	s_mul_hi_u32 s18, s16, 24
	s_mul_i32 s16, s16, 24
	s_add_i32 s18, s18, s17
	v_add_co_u32 v4, vcc_lo, v6, s16
	v_add_co_ci_u32_e32 v5, vcc_lo, s18, v7, vcc_lo
	s_mov_b32 s16, exec_lo
	global_store_dwordx2 v[4:5], v[14:15], off
	s_waitcnt_vscnt null, 0x0
	global_atomic_cmpswap_x2 v[2:3], v8, v[12:15], s[6:7] offset:32 glc
	s_waitcnt vmcnt(0)
	v_cmpx_ne_u64_e64 v[2:3], v[14:15]
	s_cbranch_execz .LBB6_798
; %bb.796:
	s_mov_b32 s17, 0
.LBB6_797:                              ; =>This Inner Loop Header: Depth=1
	v_mov_b32_e32 v0, s10
	v_mov_b32_e32 v1, s11
	s_sleep 1
	global_store_dwordx2 v[4:5], v[2:3], off
	s_waitcnt_vscnt null, 0x0
	global_atomic_cmpswap_x2 v[0:1], v8, v[0:3], s[6:7] offset:32 glc
	s_waitcnt vmcnt(0)
	v_cmp_eq_u64_e32 vcc_lo, v[0:1], v[2:3]
	v_mov_b32_e32 v3, v1
	v_mov_b32_e32 v2, v0
	s_or_b32 s17, vcc_lo, s17
	s_andn2_b32 exec_lo, exec_lo, s17
	s_cbranch_execnz .LBB6_797
.LBB6_798:
	s_or_b32 exec_lo, exec_lo, s16
	v_mov_b32_e32 v3, 0
	s_mov_b32 s17, exec_lo
	s_mov_b32 s16, exec_lo
	v_mbcnt_lo_u32_b32 v2, s17, 0
	global_load_dwordx2 v[0:1], v3, s[6:7] offset:16
	v_cmpx_eq_u32_e32 0, v2
	s_cbranch_execz .LBB6_800
; %bb.799:
	s_bcnt1_i32_b32 s17, s17
	v_mov_b32_e32 v2, s17
	s_waitcnt vmcnt(0)
	global_atomic_add_x2 v[0:1], v[2:3], off offset:8
.LBB6_800:
	s_or_b32 exec_lo, exec_lo, s16
	s_waitcnt vmcnt(0)
	global_load_dwordx2 v[2:3], v[0:1], off offset:16
	s_waitcnt vmcnt(0)
	v_cmp_eq_u64_e32 vcc_lo, 0, v[2:3]
	s_cbranch_vccnz .LBB6_802
; %bb.801:
	global_load_dword v0, v[0:1], off offset:24
	v_mov_b32_e32 v1, 0
	s_waitcnt vmcnt(0)
	v_and_b32_e32 v4, 0x7fffff, v0
	s_waitcnt_vscnt null, 0x0
	global_store_dwordx2 v[2:3], v[0:1], off
	v_readfirstlane_b32 m0, v4
	s_sendmsg sendmsg(MSG_INTERRUPT)
.LBB6_802:
	s_or_b32 exec_lo, exec_lo, s5
	s_branch .LBB6_806
	.p2align	6
.LBB6_803:                              ;   in Loop: Header=BB6_806 Depth=1
	s_or_b32 exec_lo, exec_lo, s5
	v_readfirstlane_b32 s5, v0
	s_cmp_eq_u32 s5, 0
	s_cbranch_scc1 .LBB6_805
; %bb.804:                              ;   in Loop: Header=BB6_806 Depth=1
	s_sleep 1
	s_cbranch_execnz .LBB6_806
	s_branch .LBB6_808
	.p2align	6
.LBB6_805:
	s_branch .LBB6_808
.LBB6_806:                              ; =>This Inner Loop Header: Depth=1
	v_mov_b32_e32 v0, 1
	s_and_saveexec_b32 s5, s4
	s_cbranch_execz .LBB6_803
; %bb.807:                              ;   in Loop: Header=BB6_806 Depth=1
	global_load_dword v0, v[10:11], off offset:20 glc dlc
	s_waitcnt vmcnt(0)
	buffer_gl1_inv
	buffer_gl0_inv
	v_and_b32_e32 v0, 1, v0
	s_branch .LBB6_803
.LBB6_808:
	s_and_saveexec_b32 s5, s4
	s_cbranch_execz .LBB6_812
; %bb.809:
	v_mov_b32_e32 v6, 0
	s_clause 0x2
	global_load_dwordx2 v[2:3], v6, s[6:7] offset:40
	global_load_dwordx2 v[7:8], v6, s[6:7] offset:24 glc dlc
	global_load_dwordx2 v[4:5], v6, s[6:7]
	s_waitcnt vmcnt(2)
	v_add_co_u32 v9, vcc_lo, v2, 1
	v_add_co_ci_u32_e32 v10, vcc_lo, 0, v3, vcc_lo
	v_add_co_u32 v0, vcc_lo, v9, s10
	v_add_co_ci_u32_e32 v1, vcc_lo, s11, v10, vcc_lo
	v_cmp_eq_u64_e32 vcc_lo, 0, v[0:1]
	v_cndmask_b32_e32 v1, v1, v10, vcc_lo
	v_cndmask_b32_e32 v0, v0, v9, vcc_lo
	v_and_b32_e32 v3, v1, v3
	v_and_b32_e32 v2, v0, v2
	v_mul_lo_u32 v3, v3, 24
	v_mul_hi_u32 v9, v2, 24
	v_mul_lo_u32 v2, v2, 24
	v_add_nc_u32_e32 v3, v9, v3
	s_waitcnt vmcnt(0)
	v_add_co_u32 v4, vcc_lo, v4, v2
	v_mov_b32_e32 v2, v7
	v_add_co_ci_u32_e32 v5, vcc_lo, v5, v3, vcc_lo
	v_mov_b32_e32 v3, v8
	global_store_dwordx2 v[4:5], v[7:8], off
	s_waitcnt_vscnt null, 0x0
	global_atomic_cmpswap_x2 v[2:3], v6, v[0:3], s[6:7] offset:24 glc
	s_waitcnt vmcnt(0)
	v_cmp_ne_u64_e32 vcc_lo, v[2:3], v[7:8]
	s_and_b32 exec_lo, exec_lo, vcc_lo
	s_cbranch_execz .LBB6_812
; %bb.810:
	s_mov_b32 s4, 0
.LBB6_811:                              ; =>This Inner Loop Header: Depth=1
	s_sleep 1
	global_store_dwordx2 v[4:5], v[2:3], off
	s_waitcnt_vscnt null, 0x0
	global_atomic_cmpswap_x2 v[7:8], v6, v[0:3], s[6:7] offset:24 glc
	s_waitcnt vmcnt(0)
	v_cmp_eq_u64_e32 vcc_lo, v[7:8], v[2:3]
	v_mov_b32_e32 v2, v7
	v_mov_b32_e32 v3, v8
	s_or_b32 s4, vcc_lo, s4
	s_andn2_b32 exec_lo, exec_lo, s4
	s_cbranch_execnz .LBB6_811
.LBB6_812:
	s_or_b32 exec_lo, exec_lo, s5
	v_readfirstlane_b32 s4, v32
	v_mov_b32_e32 v6, 0
	v_mov_b32_e32 v7, 0
	v_cmp_eq_u32_e64 s4, s4, v32
	s_and_saveexec_b32 s5, s4
	s_cbranch_execz .LBB6_818
; %bb.813:
	v_mov_b32_e32 v0, 0
	s_mov_b32 s10, exec_lo
	global_load_dwordx2 v[3:4], v0, s[6:7] offset:24 glc dlc
	s_waitcnt vmcnt(0)
	buffer_gl1_inv
	buffer_gl0_inv
	s_clause 0x1
	global_load_dwordx2 v[1:2], v0, s[6:7] offset:40
	global_load_dwordx2 v[5:6], v0, s[6:7]
	s_waitcnt vmcnt(1)
	v_and_b32_e32 v2, v2, v4
	v_and_b32_e32 v1, v1, v3
	v_mul_lo_u32 v2, v2, 24
	v_mul_hi_u32 v7, v1, 24
	v_mul_lo_u32 v1, v1, 24
	v_add_nc_u32_e32 v2, v7, v2
	s_waitcnt vmcnt(0)
	v_add_co_u32 v1, vcc_lo, v5, v1
	v_add_co_ci_u32_e32 v2, vcc_lo, v6, v2, vcc_lo
	global_load_dwordx2 v[1:2], v[1:2], off glc dlc
	s_waitcnt vmcnt(0)
	global_atomic_cmpswap_x2 v[6:7], v0, v[1:4], s[6:7] offset:24 glc
	s_waitcnt vmcnt(0)
	buffer_gl1_inv
	buffer_gl0_inv
	v_cmpx_ne_u64_e64 v[6:7], v[3:4]
	s_cbranch_execz .LBB6_817
; %bb.814:
	s_mov_b32 s11, 0
	.p2align	6
.LBB6_815:                              ; =>This Inner Loop Header: Depth=1
	s_sleep 1
	s_clause 0x1
	global_load_dwordx2 v[1:2], v0, s[6:7] offset:40
	global_load_dwordx2 v[8:9], v0, s[6:7]
	v_mov_b32_e32 v3, v6
	v_mov_b32_e32 v4, v7
	s_waitcnt vmcnt(1)
	v_and_b32_e32 v1, v1, v3
	v_and_b32_e32 v2, v2, v4
	s_waitcnt vmcnt(0)
	v_mad_u64_u32 v[5:6], null, v1, 24, v[8:9]
	v_mov_b32_e32 v1, v6
	v_mad_u64_u32 v[1:2], null, v2, 24, v[1:2]
	v_mov_b32_e32 v6, v1
	global_load_dwordx2 v[1:2], v[5:6], off glc dlc
	s_waitcnt vmcnt(0)
	global_atomic_cmpswap_x2 v[6:7], v0, v[1:4], s[6:7] offset:24 glc
	s_waitcnt vmcnt(0)
	buffer_gl1_inv
	buffer_gl0_inv
	v_cmp_eq_u64_e32 vcc_lo, v[6:7], v[3:4]
	s_or_b32 s11, vcc_lo, s11
	s_andn2_b32 exec_lo, exec_lo, s11
	s_cbranch_execnz .LBB6_815
; %bb.816:
	s_or_b32 exec_lo, exec_lo, s11
.LBB6_817:
	s_or_b32 exec_lo, exec_lo, s10
.LBB6_818:
	s_or_b32 exec_lo, exec_lo, s5
	v_mov_b32_e32 v5, 0
	v_readfirstlane_b32 s10, v6
	v_readfirstlane_b32 s11, v7
	s_mov_b32 s5, exec_lo
	s_clause 0x1
	global_load_dwordx2 v[8:9], v5, s[6:7] offset:40
	global_load_dwordx4 v[0:3], v5, s[6:7]
	s_waitcnt vmcnt(1)
	v_readfirstlane_b32 s16, v8
	v_readfirstlane_b32 s17, v9
	s_and_b64 s[16:17], s[10:11], s[16:17]
	s_mul_i32 s18, s17, 24
	s_mul_hi_u32 s19, s16, 24
	s_mul_i32 s20, s16, 24
	s_add_i32 s19, s19, s18
	s_waitcnt vmcnt(0)
	v_add_co_u32 v8, vcc_lo, v0, s20
	v_add_co_ci_u32_e32 v9, vcc_lo, s19, v1, vcc_lo
	s_and_saveexec_b32 s18, s4
	s_cbranch_execz .LBB6_820
; %bb.819:
	v_mov_b32_e32 v4, s5
	v_mov_b32_e32 v6, 2
	v_mov_b32_e32 v7, 1
	global_store_dwordx4 v[8:9], v[4:7], off offset:8
.LBB6_820:
	s_or_b32 exec_lo, exec_lo, s18
	s_lshl_b64 s[16:17], s[16:17], 12
	v_mov_b32_e32 v4, 33
	v_add_co_u32 v2, vcc_lo, v2, s16
	v_add_co_ci_u32_e32 v3, vcc_lo, s17, v3, vcc_lo
	s_mov_b32 s16, 0
	v_add_co_u32 v10, vcc_lo, v2, v31
	s_mov_b32 s17, s16
	s_mov_b32 s18, s16
	s_mov_b32 s19, s16
	v_mov_b32_e32 v6, v5
	v_mov_b32_e32 v7, v5
	v_readfirstlane_b32 s20, v2
	v_readfirstlane_b32 s21, v3
	v_mov_b32_e32 v12, s16
	v_add_co_ci_u32_e32 v11, vcc_lo, 0, v3, vcc_lo
	v_mov_b32_e32 v13, s17
	v_mov_b32_e32 v14, s18
	;; [unrolled: 1-line block ×3, first 2 shown]
	global_store_dwordx4 v31, v[4:7], s[20:21]
	global_store_dwordx4 v31, v[12:15], s[20:21] offset:16
	global_store_dwordx4 v31, v[12:15], s[20:21] offset:32
	;; [unrolled: 1-line block ×3, first 2 shown]
	s_and_saveexec_b32 s5, s4
	s_cbranch_execz .LBB6_828
; %bb.821:
	v_mov_b32_e32 v6, 0
	v_mov_b32_e32 v12, s10
	;; [unrolled: 1-line block ×3, first 2 shown]
	s_clause 0x1
	global_load_dwordx2 v[14:15], v6, s[6:7] offset:32 glc dlc
	global_load_dwordx2 v[2:3], v6, s[6:7] offset:40
	s_waitcnt vmcnt(0)
	v_readfirstlane_b32 s16, v2
	v_readfirstlane_b32 s17, v3
	s_and_b64 s[16:17], s[16:17], s[10:11]
	s_mul_i32 s17, s17, 24
	s_mul_hi_u32 s18, s16, 24
	s_mul_i32 s16, s16, 24
	s_add_i32 s18, s18, s17
	v_add_co_u32 v4, vcc_lo, v0, s16
	v_add_co_ci_u32_e32 v5, vcc_lo, s18, v1, vcc_lo
	s_mov_b32 s16, exec_lo
	global_store_dwordx2 v[4:5], v[14:15], off
	s_waitcnt_vscnt null, 0x0
	global_atomic_cmpswap_x2 v[2:3], v6, v[12:15], s[6:7] offset:32 glc
	s_waitcnt vmcnt(0)
	v_cmpx_ne_u64_e64 v[2:3], v[14:15]
	s_cbranch_execz .LBB6_824
; %bb.822:
	s_mov_b32 s17, 0
.LBB6_823:                              ; =>This Inner Loop Header: Depth=1
	v_mov_b32_e32 v0, s10
	v_mov_b32_e32 v1, s11
	s_sleep 1
	global_store_dwordx2 v[4:5], v[2:3], off
	s_waitcnt_vscnt null, 0x0
	global_atomic_cmpswap_x2 v[0:1], v6, v[0:3], s[6:7] offset:32 glc
	s_waitcnt vmcnt(0)
	v_cmp_eq_u64_e32 vcc_lo, v[0:1], v[2:3]
	v_mov_b32_e32 v3, v1
	v_mov_b32_e32 v2, v0
	s_or_b32 s17, vcc_lo, s17
	s_andn2_b32 exec_lo, exec_lo, s17
	s_cbranch_execnz .LBB6_823
.LBB6_824:
	s_or_b32 exec_lo, exec_lo, s16
	v_mov_b32_e32 v3, 0
	s_mov_b32 s17, exec_lo
	s_mov_b32 s16, exec_lo
	v_mbcnt_lo_u32_b32 v2, s17, 0
	global_load_dwordx2 v[0:1], v3, s[6:7] offset:16
	v_cmpx_eq_u32_e32 0, v2
	s_cbranch_execz .LBB6_826
; %bb.825:
	s_bcnt1_i32_b32 s17, s17
	v_mov_b32_e32 v2, s17
	s_waitcnt vmcnt(0)
	global_atomic_add_x2 v[0:1], v[2:3], off offset:8
.LBB6_826:
	s_or_b32 exec_lo, exec_lo, s16
	s_waitcnt vmcnt(0)
	global_load_dwordx2 v[2:3], v[0:1], off offset:16
	s_waitcnt vmcnt(0)
	v_cmp_eq_u64_e32 vcc_lo, 0, v[2:3]
	s_cbranch_vccnz .LBB6_828
; %bb.827:
	global_load_dword v0, v[0:1], off offset:24
	v_mov_b32_e32 v1, 0
	s_waitcnt vmcnt(0)
	v_and_b32_e32 v4, 0x7fffff, v0
	s_waitcnt_vscnt null, 0x0
	global_store_dwordx2 v[2:3], v[0:1], off
	v_readfirstlane_b32 m0, v4
	s_sendmsg sendmsg(MSG_INTERRUPT)
.LBB6_828:
	s_or_b32 exec_lo, exec_lo, s5
	s_branch .LBB6_832
	.p2align	6
.LBB6_829:                              ;   in Loop: Header=BB6_832 Depth=1
	s_or_b32 exec_lo, exec_lo, s5
	v_readfirstlane_b32 s5, v0
	s_cmp_eq_u32 s5, 0
	s_cbranch_scc1 .LBB6_831
; %bb.830:                              ;   in Loop: Header=BB6_832 Depth=1
	s_sleep 1
	s_cbranch_execnz .LBB6_832
	s_branch .LBB6_834
	.p2align	6
.LBB6_831:
	s_branch .LBB6_834
.LBB6_832:                              ; =>This Inner Loop Header: Depth=1
	v_mov_b32_e32 v0, 1
	s_and_saveexec_b32 s5, s4
	s_cbranch_execz .LBB6_829
; %bb.833:                              ;   in Loop: Header=BB6_832 Depth=1
	global_load_dword v0, v[8:9], off offset:20 glc dlc
	s_waitcnt vmcnt(0)
	buffer_gl1_inv
	buffer_gl0_inv
	v_and_b32_e32 v0, 1, v0
	s_branch .LBB6_829
.LBB6_834:
	global_load_dwordx2 v[0:1], v[10:11], off
	s_and_saveexec_b32 s5, s4
	s_cbranch_execz .LBB6_838
; %bb.835:
	v_mov_b32_e32 v8, 0
	s_clause 0x2
	global_load_dwordx2 v[4:5], v8, s[6:7] offset:40
	global_load_dwordx2 v[9:10], v8, s[6:7] offset:24 glc dlc
	global_load_dwordx2 v[6:7], v8, s[6:7]
	s_waitcnt vmcnt(2)
	v_add_co_u32 v11, vcc_lo, v4, 1
	v_add_co_ci_u32_e32 v12, vcc_lo, 0, v5, vcc_lo
	v_add_co_u32 v2, vcc_lo, v11, s10
	v_add_co_ci_u32_e32 v3, vcc_lo, s11, v12, vcc_lo
	v_cmp_eq_u64_e32 vcc_lo, 0, v[2:3]
	v_cndmask_b32_e32 v3, v3, v12, vcc_lo
	v_cndmask_b32_e32 v2, v2, v11, vcc_lo
	v_and_b32_e32 v5, v3, v5
	v_and_b32_e32 v4, v2, v4
	v_mul_lo_u32 v5, v5, 24
	v_mul_hi_u32 v11, v4, 24
	v_mul_lo_u32 v4, v4, 24
	v_add_nc_u32_e32 v5, v11, v5
	s_waitcnt vmcnt(0)
	v_add_co_u32 v6, vcc_lo, v6, v4
	v_mov_b32_e32 v4, v9
	v_add_co_ci_u32_e32 v7, vcc_lo, v7, v5, vcc_lo
	v_mov_b32_e32 v5, v10
	global_store_dwordx2 v[6:7], v[9:10], off
	s_waitcnt_vscnt null, 0x0
	global_atomic_cmpswap_x2 v[4:5], v8, v[2:5], s[6:7] offset:24 glc
	s_waitcnt vmcnt(0)
	v_cmp_ne_u64_e32 vcc_lo, v[4:5], v[9:10]
	s_and_b32 exec_lo, exec_lo, vcc_lo
	s_cbranch_execz .LBB6_838
; %bb.836:
	s_mov_b32 s4, 0
.LBB6_837:                              ; =>This Inner Loop Header: Depth=1
	s_sleep 1
	global_store_dwordx2 v[6:7], v[4:5], off
	s_waitcnt_vscnt null, 0x0
	global_atomic_cmpswap_x2 v[9:10], v8, v[2:5], s[6:7] offset:24 glc
	s_waitcnt vmcnt(0)
	v_cmp_eq_u64_e32 vcc_lo, v[9:10], v[4:5]
	v_mov_b32_e32 v4, v9
	v_mov_b32_e32 v5, v10
	s_or_b32 s4, vcc_lo, s4
	s_andn2_b32 exec_lo, exec_lo, s4
	s_cbranch_execnz .LBB6_837
.LBB6_838:
	s_or_b32 exec_lo, exec_lo, s5
	s_getpc_b64 s[10:11]
	s_add_u32 s10, s10, .str.7@rel32@lo+4
	s_addc_u32 s11, s11, .str.7@rel32@hi+12
	s_cmp_lg_u64 s[10:11], 0
	s_cbranch_scc0 .LBB6_917
; %bb.839:
	s_waitcnt vmcnt(0)
	v_and_b32_e32 v33, 2, v0
	v_mov_b32_e32 v6, 0
	v_and_b32_e32 v2, -3, v0
	v_mov_b32_e32 v3, v1
	v_mov_b32_e32 v7, 2
	;; [unrolled: 1-line block ×3, first 2 shown]
	s_mov_b64 s[16:17], 4
	s_branch .LBB6_841
.LBB6_840:                              ;   in Loop: Header=BB6_841 Depth=1
	s_or_b32 exec_lo, exec_lo, s5
	s_sub_u32 s16, s16, s18
	s_subb_u32 s17, s17, s19
	s_add_u32 s10, s10, s18
	s_addc_u32 s11, s11, s19
	s_cmp_lg_u64 s[16:17], 0
	s_cbranch_scc0 .LBB6_916
.LBB6_841:                              ; =>This Loop Header: Depth=1
                                        ;     Child Loop BB6_850 Depth 2
                                        ;     Child Loop BB6_846 Depth 2
	;; [unrolled: 1-line block ×11, first 2 shown]
	v_cmp_lt_u64_e64 s4, s[16:17], 56
	v_cmp_gt_u64_e64 s5, s[16:17], 7
                                        ; implicit-def: $vgpr11_vgpr12
                                        ; implicit-def: $sgpr25
	s_and_b32 s4, s4, exec_lo
	s_cselect_b32 s19, s17, 0
	s_cselect_b32 s18, s16, 56
	s_and_b32 vcc_lo, exec_lo, s5
	s_mov_b32 s4, -1
	s_cbranch_vccz .LBB6_848
; %bb.842:                              ;   in Loop: Header=BB6_841 Depth=1
	s_andn2_b32 vcc_lo, exec_lo, s4
	s_mov_b64 s[4:5], s[10:11]
	s_cbranch_vccz .LBB6_852
.LBB6_843:                              ;   in Loop: Header=BB6_841 Depth=1
	s_cmp_gt_u32 s25, 7
	s_cbranch_scc1 .LBB6_853
.LBB6_844:                              ;   in Loop: Header=BB6_841 Depth=1
	v_mov_b32_e32 v13, 0
	v_mov_b32_e32 v14, 0
	s_cmp_eq_u32 s25, 0
	s_cbranch_scc1 .LBB6_847
; %bb.845:                              ;   in Loop: Header=BB6_841 Depth=1
	s_mov_b64 s[20:21], 0
	s_mov_b64 s[22:23], 0
.LBB6_846:                              ;   Parent Loop BB6_841 Depth=1
                                        ; =>  This Inner Loop Header: Depth=2
	s_add_u32 s26, s4, s22
	s_addc_u32 s27, s5, s23
	s_add_u32 s22, s22, 1
	global_load_ubyte v4, v6, s[26:27]
	s_addc_u32 s23, s23, 0
	s_waitcnt vmcnt(0)
	v_and_b32_e32 v5, 0xffff, v4
	v_lshlrev_b64 v[4:5], s20, v[5:6]
	s_add_u32 s20, s20, 8
	s_addc_u32 s21, s21, 0
	s_cmp_lg_u32 s25, s22
	v_or_b32_e32 v13, v4, v13
	v_or_b32_e32 v14, v5, v14
	s_cbranch_scc1 .LBB6_846
.LBB6_847:                              ;   in Loop: Header=BB6_841 Depth=1
	s_mov_b32 s26, 0
	s_cbranch_execz .LBB6_854
	s_branch .LBB6_855
.LBB6_848:                              ;   in Loop: Header=BB6_841 Depth=1
	v_mov_b32_e32 v11, 0
	v_mov_b32_e32 v12, 0
	s_cmp_eq_u64 s[16:17], 0
	s_mov_b64 s[4:5], 0
	s_cbranch_scc1 .LBB6_851
; %bb.849:                              ;   in Loop: Header=BB6_841 Depth=1
	v_mov_b32_e32 v11, 0
	v_mov_b32_e32 v12, 0
	s_lshl_b64 s[20:21], s[18:19], 3
	s_mov_b64 s[22:23], s[10:11]
.LBB6_850:                              ;   Parent Loop BB6_841 Depth=1
                                        ; =>  This Inner Loop Header: Depth=2
	global_load_ubyte v4, v6, s[22:23]
	s_waitcnt vmcnt(0)
	v_and_b32_e32 v5, 0xffff, v4
	v_lshlrev_b64 v[4:5], s4, v[5:6]
	s_add_u32 s4, s4, 8
	s_addc_u32 s5, s5, 0
	s_add_u32 s22, s22, 1
	s_addc_u32 s23, s23, 0
	s_cmp_lg_u32 s20, s4
	v_or_b32_e32 v11, v4, v11
	v_or_b32_e32 v12, v5, v12
	s_cbranch_scc1 .LBB6_850
.LBB6_851:                              ;   in Loop: Header=BB6_841 Depth=1
	s_mov_b32 s25, 0
	s_mov_b64 s[4:5], s[10:11]
	s_cbranch_execnz .LBB6_843
.LBB6_852:                              ;   in Loop: Header=BB6_841 Depth=1
	global_load_dwordx2 v[11:12], v6, s[10:11]
	s_add_i32 s25, s18, -8
	s_add_u32 s4, s10, 8
	s_addc_u32 s5, s11, 0
	s_cmp_gt_u32 s25, 7
	s_cbranch_scc0 .LBB6_844
.LBB6_853:                              ;   in Loop: Header=BB6_841 Depth=1
                                        ; implicit-def: $vgpr13_vgpr14
                                        ; implicit-def: $sgpr26
.LBB6_854:                              ;   in Loop: Header=BB6_841 Depth=1
	global_load_dwordx2 v[13:14], v6, s[4:5]
	s_add_i32 s26, s25, -8
	s_add_u32 s4, s4, 8
	s_addc_u32 s5, s5, 0
.LBB6_855:                              ;   in Loop: Header=BB6_841 Depth=1
	s_cmp_gt_u32 s26, 7
	s_cbranch_scc1 .LBB6_860
; %bb.856:                              ;   in Loop: Header=BB6_841 Depth=1
	v_mov_b32_e32 v15, 0
	v_mov_b32_e32 v16, 0
	s_cmp_eq_u32 s26, 0
	s_cbranch_scc1 .LBB6_859
; %bb.857:                              ;   in Loop: Header=BB6_841 Depth=1
	s_mov_b64 s[20:21], 0
	s_mov_b64 s[22:23], 0
.LBB6_858:                              ;   Parent Loop BB6_841 Depth=1
                                        ; =>  This Inner Loop Header: Depth=2
	s_add_u32 s28, s4, s22
	s_addc_u32 s29, s5, s23
	s_add_u32 s22, s22, 1
	global_load_ubyte v4, v6, s[28:29]
	s_addc_u32 s23, s23, 0
	s_waitcnt vmcnt(0)
	v_and_b32_e32 v5, 0xffff, v4
	v_lshlrev_b64 v[4:5], s20, v[5:6]
	s_add_u32 s20, s20, 8
	s_addc_u32 s21, s21, 0
	s_cmp_lg_u32 s26, s22
	v_or_b32_e32 v15, v4, v15
	v_or_b32_e32 v16, v5, v16
	s_cbranch_scc1 .LBB6_858
.LBB6_859:                              ;   in Loop: Header=BB6_841 Depth=1
	s_mov_b32 s25, 0
	s_cbranch_execz .LBB6_861
	s_branch .LBB6_862
.LBB6_860:                              ;   in Loop: Header=BB6_841 Depth=1
                                        ; implicit-def: $sgpr25
.LBB6_861:                              ;   in Loop: Header=BB6_841 Depth=1
	global_load_dwordx2 v[15:16], v6, s[4:5]
	s_add_i32 s25, s26, -8
	s_add_u32 s4, s4, 8
	s_addc_u32 s5, s5, 0
.LBB6_862:                              ;   in Loop: Header=BB6_841 Depth=1
	s_cmp_gt_u32 s25, 7
	s_cbranch_scc1 .LBB6_867
; %bb.863:                              ;   in Loop: Header=BB6_841 Depth=1
	v_mov_b32_e32 v17, 0
	v_mov_b32_e32 v18, 0
	s_cmp_eq_u32 s25, 0
	s_cbranch_scc1 .LBB6_866
; %bb.864:                              ;   in Loop: Header=BB6_841 Depth=1
	s_mov_b64 s[20:21], 0
	s_mov_b64 s[22:23], 0
.LBB6_865:                              ;   Parent Loop BB6_841 Depth=1
                                        ; =>  This Inner Loop Header: Depth=2
	s_add_u32 s26, s4, s22
	s_addc_u32 s27, s5, s23
	s_add_u32 s22, s22, 1
	global_load_ubyte v4, v6, s[26:27]
	s_addc_u32 s23, s23, 0
	s_waitcnt vmcnt(0)
	v_and_b32_e32 v5, 0xffff, v4
	v_lshlrev_b64 v[4:5], s20, v[5:6]
	s_add_u32 s20, s20, 8
	s_addc_u32 s21, s21, 0
	s_cmp_lg_u32 s25, s22
	v_or_b32_e32 v17, v4, v17
	v_or_b32_e32 v18, v5, v18
	s_cbranch_scc1 .LBB6_865
.LBB6_866:                              ;   in Loop: Header=BB6_841 Depth=1
	s_mov_b32 s26, 0
	s_cbranch_execz .LBB6_868
	s_branch .LBB6_869
.LBB6_867:                              ;   in Loop: Header=BB6_841 Depth=1
                                        ; implicit-def: $vgpr17_vgpr18
                                        ; implicit-def: $sgpr26
.LBB6_868:                              ;   in Loop: Header=BB6_841 Depth=1
	global_load_dwordx2 v[17:18], v6, s[4:5]
	s_add_i32 s26, s25, -8
	s_add_u32 s4, s4, 8
	s_addc_u32 s5, s5, 0
.LBB6_869:                              ;   in Loop: Header=BB6_841 Depth=1
	s_cmp_gt_u32 s26, 7
	s_cbranch_scc1 .LBB6_874
; %bb.870:                              ;   in Loop: Header=BB6_841 Depth=1
	v_mov_b32_e32 v19, 0
	v_mov_b32_e32 v20, 0
	s_cmp_eq_u32 s26, 0
	s_cbranch_scc1 .LBB6_873
; %bb.871:                              ;   in Loop: Header=BB6_841 Depth=1
	s_mov_b64 s[20:21], 0
	s_mov_b64 s[22:23], 0
.LBB6_872:                              ;   Parent Loop BB6_841 Depth=1
                                        ; =>  This Inner Loop Header: Depth=2
	s_add_u32 s28, s4, s22
	s_addc_u32 s29, s5, s23
	s_add_u32 s22, s22, 1
	global_load_ubyte v4, v6, s[28:29]
	s_addc_u32 s23, s23, 0
	s_waitcnt vmcnt(0)
	v_and_b32_e32 v5, 0xffff, v4
	v_lshlrev_b64 v[4:5], s20, v[5:6]
	s_add_u32 s20, s20, 8
	s_addc_u32 s21, s21, 0
	s_cmp_lg_u32 s26, s22
	v_or_b32_e32 v19, v4, v19
	v_or_b32_e32 v20, v5, v20
	s_cbranch_scc1 .LBB6_872
.LBB6_873:                              ;   in Loop: Header=BB6_841 Depth=1
	s_mov_b32 s25, 0
	s_cbranch_execz .LBB6_875
	s_branch .LBB6_876
.LBB6_874:                              ;   in Loop: Header=BB6_841 Depth=1
                                        ; implicit-def: $sgpr25
.LBB6_875:                              ;   in Loop: Header=BB6_841 Depth=1
	global_load_dwordx2 v[19:20], v6, s[4:5]
	s_add_i32 s25, s26, -8
	s_add_u32 s4, s4, 8
	s_addc_u32 s5, s5, 0
.LBB6_876:                              ;   in Loop: Header=BB6_841 Depth=1
	s_cmp_gt_u32 s25, 7
	s_cbranch_scc1 .LBB6_881
; %bb.877:                              ;   in Loop: Header=BB6_841 Depth=1
	v_mov_b32_e32 v21, 0
	v_mov_b32_e32 v22, 0
	s_cmp_eq_u32 s25, 0
	s_cbranch_scc1 .LBB6_880
; %bb.878:                              ;   in Loop: Header=BB6_841 Depth=1
	s_mov_b64 s[20:21], 0
	s_mov_b64 s[22:23], 0
.LBB6_879:                              ;   Parent Loop BB6_841 Depth=1
                                        ; =>  This Inner Loop Header: Depth=2
	s_add_u32 s26, s4, s22
	s_addc_u32 s27, s5, s23
	s_add_u32 s22, s22, 1
	global_load_ubyte v4, v6, s[26:27]
	s_addc_u32 s23, s23, 0
	s_waitcnt vmcnt(0)
	v_and_b32_e32 v5, 0xffff, v4
	v_lshlrev_b64 v[4:5], s20, v[5:6]
	s_add_u32 s20, s20, 8
	s_addc_u32 s21, s21, 0
	s_cmp_lg_u32 s25, s22
	v_or_b32_e32 v21, v4, v21
	v_or_b32_e32 v22, v5, v22
	s_cbranch_scc1 .LBB6_879
.LBB6_880:                              ;   in Loop: Header=BB6_841 Depth=1
	s_mov_b32 s26, 0
	s_cbranch_execz .LBB6_882
	s_branch .LBB6_883
.LBB6_881:                              ;   in Loop: Header=BB6_841 Depth=1
                                        ; implicit-def: $vgpr21_vgpr22
                                        ; implicit-def: $sgpr26
.LBB6_882:                              ;   in Loop: Header=BB6_841 Depth=1
	global_load_dwordx2 v[21:22], v6, s[4:5]
	s_add_i32 s26, s25, -8
	s_add_u32 s4, s4, 8
	s_addc_u32 s5, s5, 0
.LBB6_883:                              ;   in Loop: Header=BB6_841 Depth=1
	s_cmp_gt_u32 s26, 7
	s_cbranch_scc1 .LBB6_888
; %bb.884:                              ;   in Loop: Header=BB6_841 Depth=1
	v_mov_b32_e32 v23, 0
	v_mov_b32_e32 v24, 0
	s_cmp_eq_u32 s26, 0
	s_cbranch_scc1 .LBB6_887
; %bb.885:                              ;   in Loop: Header=BB6_841 Depth=1
	s_mov_b64 s[20:21], 0
	s_mov_b64 s[22:23], s[4:5]
.LBB6_886:                              ;   Parent Loop BB6_841 Depth=1
                                        ; =>  This Inner Loop Header: Depth=2
	global_load_ubyte v4, v6, s[22:23]
	s_add_i32 s26, s26, -1
	s_waitcnt vmcnt(0)
	v_and_b32_e32 v5, 0xffff, v4
	v_lshlrev_b64 v[4:5], s20, v[5:6]
	s_add_u32 s20, s20, 8
	s_addc_u32 s21, s21, 0
	s_add_u32 s22, s22, 1
	s_addc_u32 s23, s23, 0
	s_cmp_lg_u32 s26, 0
	v_or_b32_e32 v23, v4, v23
	v_or_b32_e32 v24, v5, v24
	s_cbranch_scc1 .LBB6_886
.LBB6_887:                              ;   in Loop: Header=BB6_841 Depth=1
	s_cbranch_execz .LBB6_889
	s_branch .LBB6_890
.LBB6_888:                              ;   in Loop: Header=BB6_841 Depth=1
.LBB6_889:                              ;   in Loop: Header=BB6_841 Depth=1
	global_load_dwordx2 v[23:24], v6, s[4:5]
.LBB6_890:                              ;   in Loop: Header=BB6_841 Depth=1
	v_readfirstlane_b32 s4, v32
	s_waitcnt vmcnt(0)
	v_mov_b32_e32 v4, 0
	v_mov_b32_e32 v5, 0
	v_cmp_eq_u32_e64 s4, s4, v32
	s_and_saveexec_b32 s5, s4
	s_cbranch_execz .LBB6_896
; %bb.891:                              ;   in Loop: Header=BB6_841 Depth=1
	global_load_dwordx2 v[27:28], v6, s[6:7] offset:24 glc dlc
	s_waitcnt vmcnt(0)
	buffer_gl1_inv
	buffer_gl0_inv
	s_clause 0x1
	global_load_dwordx2 v[4:5], v6, s[6:7] offset:40
	global_load_dwordx2 v[9:10], v6, s[6:7]
	s_mov_b32 s20, exec_lo
	s_waitcnt vmcnt(1)
	v_and_b32_e32 v5, v5, v28
	v_and_b32_e32 v4, v4, v27
	v_mul_lo_u32 v5, v5, 24
	v_mul_hi_u32 v25, v4, 24
	v_mul_lo_u32 v4, v4, 24
	v_add_nc_u32_e32 v5, v25, v5
	s_waitcnt vmcnt(0)
	v_add_co_u32 v4, vcc_lo, v9, v4
	v_add_co_ci_u32_e32 v5, vcc_lo, v10, v5, vcc_lo
	global_load_dwordx2 v[25:26], v[4:5], off glc dlc
	s_waitcnt vmcnt(0)
	global_atomic_cmpswap_x2 v[4:5], v6, v[25:28], s[6:7] offset:24 glc
	s_waitcnt vmcnt(0)
	buffer_gl1_inv
	buffer_gl0_inv
	v_cmpx_ne_u64_e64 v[4:5], v[27:28]
	s_cbranch_execz .LBB6_895
; %bb.892:                              ;   in Loop: Header=BB6_841 Depth=1
	s_mov_b32 s21, 0
	.p2align	6
.LBB6_893:                              ;   Parent Loop BB6_841 Depth=1
                                        ; =>  This Inner Loop Header: Depth=2
	s_sleep 1
	s_clause 0x1
	global_load_dwordx2 v[9:10], v6, s[6:7] offset:40
	global_load_dwordx2 v[25:26], v6, s[6:7]
	v_mov_b32_e32 v28, v5
	v_mov_b32_e32 v27, v4
	s_waitcnt vmcnt(1)
	v_and_b32_e32 v4, v9, v27
	v_and_b32_e32 v9, v10, v28
	s_waitcnt vmcnt(0)
	v_mad_u64_u32 v[4:5], null, v4, 24, v[25:26]
	v_mad_u64_u32 v[9:10], null, v9, 24, v[5:6]
	v_mov_b32_e32 v5, v9
	global_load_dwordx2 v[25:26], v[4:5], off glc dlc
	s_waitcnt vmcnt(0)
	global_atomic_cmpswap_x2 v[4:5], v6, v[25:28], s[6:7] offset:24 glc
	s_waitcnt vmcnt(0)
	buffer_gl1_inv
	buffer_gl0_inv
	v_cmp_eq_u64_e32 vcc_lo, v[4:5], v[27:28]
	s_or_b32 s21, vcc_lo, s21
	s_andn2_b32 exec_lo, exec_lo, s21
	s_cbranch_execnz .LBB6_893
; %bb.894:                              ;   in Loop: Header=BB6_841 Depth=1
	s_or_b32 exec_lo, exec_lo, s21
.LBB6_895:                              ;   in Loop: Header=BB6_841 Depth=1
	s_or_b32 exec_lo, exec_lo, s20
.LBB6_896:                              ;   in Loop: Header=BB6_841 Depth=1
	s_or_b32 exec_lo, exec_lo, s5
	s_clause 0x1
	global_load_dwordx2 v[9:10], v6, s[6:7] offset:40
	global_load_dwordx4 v[25:28], v6, s[6:7]
	v_readfirstlane_b32 s20, v4
	v_readfirstlane_b32 s21, v5
	s_mov_b32 s5, exec_lo
	s_waitcnt vmcnt(1)
	v_readfirstlane_b32 s22, v9
	v_readfirstlane_b32 s23, v10
	s_and_b64 s[22:23], s[20:21], s[22:23]
	s_mul_i32 s25, s23, 24
	s_mul_hi_u32 s26, s22, 24
	s_mul_i32 s27, s22, 24
	s_add_i32 s26, s26, s25
	s_waitcnt vmcnt(0)
	v_add_co_u32 v29, vcc_lo, v25, s27
	v_add_co_ci_u32_e32 v30, vcc_lo, s26, v26, vcc_lo
	s_and_saveexec_b32 s25, s4
	s_cbranch_execz .LBB6_898
; %bb.897:                              ;   in Loop: Header=BB6_841 Depth=1
	v_mov_b32_e32 v5, s5
	global_store_dwordx4 v[29:30], v[5:8], off offset:8
.LBB6_898:                              ;   in Loop: Header=BB6_841 Depth=1
	s_or_b32 exec_lo, exec_lo, s25
	s_lshl_b64 s[22:23], s[22:23], 12
	v_cmp_gt_u64_e64 vcc_lo, s[16:17], 56
	v_or_b32_e32 v5, v2, v33
	v_add_co_u32 v27, s5, v27, s22
	v_add_co_ci_u32_e64 v28, s5, s23, v28, s5
	s_lshl_b32 s5, s18, 2
	v_or_b32_e32 v4, 0, v3
	v_cndmask_b32_e32 v2, v5, v2, vcc_lo
	s_add_i32 s5, s5, 28
	v_readfirstlane_b32 s22, v27
	s_and_b32 s5, s5, 0x1e0
	v_cndmask_b32_e32 v10, v4, v3, vcc_lo
	v_readfirstlane_b32 s23, v28
	v_and_or_b32 v9, 0xffffff1f, v2, s5
	global_store_dwordx4 v31, v[9:12], s[22:23]
	global_store_dwordx4 v31, v[13:16], s[22:23] offset:16
	global_store_dwordx4 v31, v[17:20], s[22:23] offset:32
	;; [unrolled: 1-line block ×3, first 2 shown]
	s_and_saveexec_b32 s5, s4
	s_cbranch_execz .LBB6_906
; %bb.899:                              ;   in Loop: Header=BB6_841 Depth=1
	s_clause 0x1
	global_load_dwordx2 v[13:14], v6, s[6:7] offset:32 glc dlc
	global_load_dwordx2 v[2:3], v6, s[6:7] offset:40
	v_mov_b32_e32 v11, s20
	v_mov_b32_e32 v12, s21
	s_waitcnt vmcnt(0)
	v_readfirstlane_b32 s22, v2
	v_readfirstlane_b32 s23, v3
	s_and_b64 s[22:23], s[22:23], s[20:21]
	s_mul_i32 s23, s23, 24
	s_mul_hi_u32 s25, s22, 24
	s_mul_i32 s22, s22, 24
	s_add_i32 s25, s25, s23
	v_add_co_u32 v9, vcc_lo, v25, s22
	v_add_co_ci_u32_e32 v10, vcc_lo, s25, v26, vcc_lo
	s_mov_b32 s22, exec_lo
	global_store_dwordx2 v[9:10], v[13:14], off
	s_waitcnt_vscnt null, 0x0
	global_atomic_cmpswap_x2 v[4:5], v6, v[11:14], s[6:7] offset:32 glc
	s_waitcnt vmcnt(0)
	v_cmpx_ne_u64_e64 v[4:5], v[13:14]
	s_cbranch_execz .LBB6_902
; %bb.900:                              ;   in Loop: Header=BB6_841 Depth=1
	s_mov_b32 s23, 0
.LBB6_901:                              ;   Parent Loop BB6_841 Depth=1
                                        ; =>  This Inner Loop Header: Depth=2
	v_mov_b32_e32 v2, s20
	v_mov_b32_e32 v3, s21
	s_sleep 1
	global_store_dwordx2 v[9:10], v[4:5], off
	s_waitcnt_vscnt null, 0x0
	global_atomic_cmpswap_x2 v[2:3], v6, v[2:5], s[6:7] offset:32 glc
	s_waitcnt vmcnt(0)
	v_cmp_eq_u64_e32 vcc_lo, v[2:3], v[4:5]
	v_mov_b32_e32 v5, v3
	v_mov_b32_e32 v4, v2
	s_or_b32 s23, vcc_lo, s23
	s_andn2_b32 exec_lo, exec_lo, s23
	s_cbranch_execnz .LBB6_901
.LBB6_902:                              ;   in Loop: Header=BB6_841 Depth=1
	s_or_b32 exec_lo, exec_lo, s22
	global_load_dwordx2 v[2:3], v6, s[6:7] offset:16
	s_mov_b32 s23, exec_lo
	s_mov_b32 s22, exec_lo
	v_mbcnt_lo_u32_b32 v4, s23, 0
	v_cmpx_eq_u32_e32 0, v4
	s_cbranch_execz .LBB6_904
; %bb.903:                              ;   in Loop: Header=BB6_841 Depth=1
	s_bcnt1_i32_b32 s23, s23
	v_mov_b32_e32 v5, s23
	s_waitcnt vmcnt(0)
	global_atomic_add_x2 v[2:3], v[5:6], off offset:8
.LBB6_904:                              ;   in Loop: Header=BB6_841 Depth=1
	s_or_b32 exec_lo, exec_lo, s22
	s_waitcnt vmcnt(0)
	global_load_dwordx2 v[9:10], v[2:3], off offset:16
	s_waitcnt vmcnt(0)
	v_cmp_eq_u64_e32 vcc_lo, 0, v[9:10]
	s_cbranch_vccnz .LBB6_906
; %bb.905:                              ;   in Loop: Header=BB6_841 Depth=1
	global_load_dword v5, v[2:3], off offset:24
	s_waitcnt vmcnt(0)
	v_and_b32_e32 v2, 0x7fffff, v5
	s_waitcnt_vscnt null, 0x0
	global_store_dwordx2 v[9:10], v[5:6], off
	v_readfirstlane_b32 m0, v2
	s_sendmsg sendmsg(MSG_INTERRUPT)
.LBB6_906:                              ;   in Loop: Header=BB6_841 Depth=1
	s_or_b32 exec_lo, exec_lo, s5
	v_add_co_u32 v2, vcc_lo, v27, v31
	v_add_co_ci_u32_e32 v3, vcc_lo, 0, v28, vcc_lo
	s_branch .LBB6_910
	.p2align	6
.LBB6_907:                              ;   in Loop: Header=BB6_910 Depth=2
	s_or_b32 exec_lo, exec_lo, s5
	v_readfirstlane_b32 s5, v4
	s_cmp_eq_u32 s5, 0
	s_cbranch_scc1 .LBB6_909
; %bb.908:                              ;   in Loop: Header=BB6_910 Depth=2
	s_sleep 1
	s_cbranch_execnz .LBB6_910
	s_branch .LBB6_912
	.p2align	6
.LBB6_909:                              ;   in Loop: Header=BB6_841 Depth=1
	s_branch .LBB6_912
.LBB6_910:                              ;   Parent Loop BB6_841 Depth=1
                                        ; =>  This Inner Loop Header: Depth=2
	v_mov_b32_e32 v4, 1
	s_and_saveexec_b32 s5, s4
	s_cbranch_execz .LBB6_907
; %bb.911:                              ;   in Loop: Header=BB6_910 Depth=2
	global_load_dword v4, v[29:30], off offset:20 glc dlc
	s_waitcnt vmcnt(0)
	buffer_gl1_inv
	buffer_gl0_inv
	v_and_b32_e32 v4, 1, v4
	s_branch .LBB6_907
.LBB6_912:                              ;   in Loop: Header=BB6_841 Depth=1
	global_load_dwordx4 v[2:5], v[2:3], off
	s_and_saveexec_b32 s5, s4
	s_cbranch_execz .LBB6_840
; %bb.913:                              ;   in Loop: Header=BB6_841 Depth=1
	s_clause 0x2
	global_load_dwordx2 v[4:5], v6, s[6:7] offset:40
	global_load_dwordx2 v[13:14], v6, s[6:7] offset:24 glc dlc
	global_load_dwordx2 v[11:12], v6, s[6:7]
	s_waitcnt vmcnt(2)
	v_add_co_u32 v15, vcc_lo, v4, 1
	v_add_co_ci_u32_e32 v16, vcc_lo, 0, v5, vcc_lo
	v_add_co_u32 v9, vcc_lo, v15, s20
	v_add_co_ci_u32_e32 v10, vcc_lo, s21, v16, vcc_lo
	v_cmp_eq_u64_e32 vcc_lo, 0, v[9:10]
	v_cndmask_b32_e32 v10, v10, v16, vcc_lo
	v_cndmask_b32_e32 v9, v9, v15, vcc_lo
	v_and_b32_e32 v5, v10, v5
	v_and_b32_e32 v4, v9, v4
	v_mul_lo_u32 v5, v5, 24
	v_mul_hi_u32 v15, v4, 24
	v_mul_lo_u32 v4, v4, 24
	v_add_nc_u32_e32 v5, v15, v5
	s_waitcnt vmcnt(0)
	v_add_co_u32 v4, vcc_lo, v11, v4
	v_mov_b32_e32 v11, v13
	v_add_co_ci_u32_e32 v5, vcc_lo, v12, v5, vcc_lo
	v_mov_b32_e32 v12, v14
	global_store_dwordx2 v[4:5], v[13:14], off
	s_waitcnt_vscnt null, 0x0
	global_atomic_cmpswap_x2 v[11:12], v6, v[9:12], s[6:7] offset:24 glc
	s_waitcnt vmcnt(0)
	v_cmp_ne_u64_e32 vcc_lo, v[11:12], v[13:14]
	s_and_b32 exec_lo, exec_lo, vcc_lo
	s_cbranch_execz .LBB6_840
; %bb.914:                              ;   in Loop: Header=BB6_841 Depth=1
	s_mov_b32 s4, 0
.LBB6_915:                              ;   Parent Loop BB6_841 Depth=1
                                        ; =>  This Inner Loop Header: Depth=2
	s_sleep 1
	global_store_dwordx2 v[4:5], v[11:12], off
	s_waitcnt_vscnt null, 0x0
	global_atomic_cmpswap_x2 v[13:14], v6, v[9:12], s[6:7] offset:24 glc
	s_waitcnt vmcnt(0)
	v_cmp_eq_u64_e32 vcc_lo, v[13:14], v[11:12]
	v_mov_b32_e32 v11, v13
	v_mov_b32_e32 v12, v14
	s_or_b32 s4, vcc_lo, s4
	s_andn2_b32 exec_lo, exec_lo, s4
	s_cbranch_execnz .LBB6_915
	s_branch .LBB6_840
.LBB6_916:
	s_branch .LBB6_945
.LBB6_917:
                                        ; implicit-def: $vgpr2_vgpr3
	s_cbranch_execz .LBB6_945
; %bb.918:
	v_readfirstlane_b32 s4, v32
	v_mov_b32_e32 v8, 0
	v_mov_b32_e32 v9, 0
	v_cmp_eq_u32_e64 s4, s4, v32
	s_and_saveexec_b32 s5, s4
	s_cbranch_execz .LBB6_924
; %bb.919:
	s_waitcnt vmcnt(0)
	v_mov_b32_e32 v2, 0
	s_mov_b32 s10, exec_lo
	global_load_dwordx2 v[5:6], v2, s[6:7] offset:24 glc dlc
	s_waitcnt vmcnt(0)
	buffer_gl1_inv
	buffer_gl0_inv
	s_clause 0x1
	global_load_dwordx2 v[3:4], v2, s[6:7] offset:40
	global_load_dwordx2 v[7:8], v2, s[6:7]
	s_waitcnt vmcnt(1)
	v_and_b32_e32 v4, v4, v6
	v_and_b32_e32 v3, v3, v5
	v_mul_lo_u32 v4, v4, 24
	v_mul_hi_u32 v9, v3, 24
	v_mul_lo_u32 v3, v3, 24
	v_add_nc_u32_e32 v4, v9, v4
	s_waitcnt vmcnt(0)
	v_add_co_u32 v3, vcc_lo, v7, v3
	v_add_co_ci_u32_e32 v4, vcc_lo, v8, v4, vcc_lo
	global_load_dwordx2 v[3:4], v[3:4], off glc dlc
	s_waitcnt vmcnt(0)
	global_atomic_cmpswap_x2 v[8:9], v2, v[3:6], s[6:7] offset:24 glc
	s_waitcnt vmcnt(0)
	buffer_gl1_inv
	buffer_gl0_inv
	v_cmpx_ne_u64_e64 v[8:9], v[5:6]
	s_cbranch_execz .LBB6_923
; %bb.920:
	s_mov_b32 s11, 0
	.p2align	6
.LBB6_921:                              ; =>This Inner Loop Header: Depth=1
	s_sleep 1
	s_clause 0x1
	global_load_dwordx2 v[3:4], v2, s[6:7] offset:40
	global_load_dwordx2 v[10:11], v2, s[6:7]
	v_mov_b32_e32 v5, v8
	v_mov_b32_e32 v6, v9
	s_waitcnt vmcnt(1)
	v_and_b32_e32 v3, v3, v5
	v_and_b32_e32 v4, v4, v6
	s_waitcnt vmcnt(0)
	v_mad_u64_u32 v[7:8], null, v3, 24, v[10:11]
	v_mov_b32_e32 v3, v8
	v_mad_u64_u32 v[3:4], null, v4, 24, v[3:4]
	v_mov_b32_e32 v8, v3
	global_load_dwordx2 v[3:4], v[7:8], off glc dlc
	s_waitcnt vmcnt(0)
	global_atomic_cmpswap_x2 v[8:9], v2, v[3:6], s[6:7] offset:24 glc
	s_waitcnt vmcnt(0)
	buffer_gl1_inv
	buffer_gl0_inv
	v_cmp_eq_u64_e32 vcc_lo, v[8:9], v[5:6]
	s_or_b32 s11, vcc_lo, s11
	s_andn2_b32 exec_lo, exec_lo, s11
	s_cbranch_execnz .LBB6_921
; %bb.922:
	s_or_b32 exec_lo, exec_lo, s11
.LBB6_923:
	s_or_b32 exec_lo, exec_lo, s10
.LBB6_924:
	s_or_b32 exec_lo, exec_lo, s5
	s_waitcnt vmcnt(0)
	v_mov_b32_e32 v2, 0
	v_readfirstlane_b32 s10, v8
	v_readfirstlane_b32 s11, v9
	s_mov_b32 s5, exec_lo
	s_clause 0x1
	global_load_dwordx2 v[10:11], v2, s[6:7] offset:40
	global_load_dwordx4 v[4:7], v2, s[6:7]
	s_waitcnt vmcnt(1)
	v_readfirstlane_b32 s16, v10
	v_readfirstlane_b32 s17, v11
	s_and_b64 s[16:17], s[10:11], s[16:17]
	s_mul_i32 s18, s17, 24
	s_mul_hi_u32 s19, s16, 24
	s_mul_i32 s20, s16, 24
	s_add_i32 s19, s19, s18
	s_waitcnt vmcnt(0)
	v_add_co_u32 v8, vcc_lo, v4, s20
	v_add_co_ci_u32_e32 v9, vcc_lo, s19, v5, vcc_lo
	s_and_saveexec_b32 s18, s4
	s_cbranch_execz .LBB6_926
; %bb.925:
	v_mov_b32_e32 v10, s5
	v_mov_b32_e32 v11, v2
	;; [unrolled: 1-line block ×4, first 2 shown]
	global_store_dwordx4 v[8:9], v[10:13], off offset:8
.LBB6_926:
	s_or_b32 exec_lo, exec_lo, s18
	s_lshl_b64 s[16:17], s[16:17], 12
	v_and_or_b32 v0, 0xffffff1f, v0, 32
	v_add_co_u32 v6, vcc_lo, v6, s16
	v_add_co_ci_u32_e32 v7, vcc_lo, s17, v7, vcc_lo
	s_mov_b32 s16, 0
	v_readfirstlane_b32 s20, v6
	v_add_co_u32 v6, vcc_lo, v6, v31
	s_mov_b32 s17, s16
	s_mov_b32 s18, s16
	;; [unrolled: 1-line block ×3, first 2 shown]
	v_mov_b32_e32 v3, v2
	v_readfirstlane_b32 s21, v7
	v_mov_b32_e32 v10, s16
	v_add_co_ci_u32_e32 v7, vcc_lo, 0, v7, vcc_lo
	v_mov_b32_e32 v11, s17
	v_mov_b32_e32 v12, s18
	;; [unrolled: 1-line block ×3, first 2 shown]
	global_store_dwordx4 v31, v[0:3], s[20:21]
	global_store_dwordx4 v31, v[10:13], s[20:21] offset:16
	global_store_dwordx4 v31, v[10:13], s[20:21] offset:32
	;; [unrolled: 1-line block ×3, first 2 shown]
	s_and_saveexec_b32 s5, s4
	s_cbranch_execz .LBB6_934
; %bb.927:
	v_mov_b32_e32 v10, 0
	v_mov_b32_e32 v11, s10
	;; [unrolled: 1-line block ×3, first 2 shown]
	s_clause 0x1
	global_load_dwordx2 v[13:14], v10, s[6:7] offset:32 glc dlc
	global_load_dwordx2 v[0:1], v10, s[6:7] offset:40
	s_waitcnt vmcnt(0)
	v_readfirstlane_b32 s16, v0
	v_readfirstlane_b32 s17, v1
	s_and_b64 s[16:17], s[16:17], s[10:11]
	s_mul_i32 s17, s17, 24
	s_mul_hi_u32 s18, s16, 24
	s_mul_i32 s16, s16, 24
	s_add_i32 s18, s18, s17
	v_add_co_u32 v4, vcc_lo, v4, s16
	v_add_co_ci_u32_e32 v5, vcc_lo, s18, v5, vcc_lo
	s_mov_b32 s16, exec_lo
	global_store_dwordx2 v[4:5], v[13:14], off
	s_waitcnt_vscnt null, 0x0
	global_atomic_cmpswap_x2 v[2:3], v10, v[11:14], s[6:7] offset:32 glc
	s_waitcnt vmcnt(0)
	v_cmpx_ne_u64_e64 v[2:3], v[13:14]
	s_cbranch_execz .LBB6_930
; %bb.928:
	s_mov_b32 s17, 0
.LBB6_929:                              ; =>This Inner Loop Header: Depth=1
	v_mov_b32_e32 v0, s10
	v_mov_b32_e32 v1, s11
	s_sleep 1
	global_store_dwordx2 v[4:5], v[2:3], off
	s_waitcnt_vscnt null, 0x0
	global_atomic_cmpswap_x2 v[0:1], v10, v[0:3], s[6:7] offset:32 glc
	s_waitcnt vmcnt(0)
	v_cmp_eq_u64_e32 vcc_lo, v[0:1], v[2:3]
	v_mov_b32_e32 v3, v1
	v_mov_b32_e32 v2, v0
	s_or_b32 s17, vcc_lo, s17
	s_andn2_b32 exec_lo, exec_lo, s17
	s_cbranch_execnz .LBB6_929
.LBB6_930:
	s_or_b32 exec_lo, exec_lo, s16
	v_mov_b32_e32 v3, 0
	s_mov_b32 s17, exec_lo
	s_mov_b32 s16, exec_lo
	v_mbcnt_lo_u32_b32 v2, s17, 0
	global_load_dwordx2 v[0:1], v3, s[6:7] offset:16
	v_cmpx_eq_u32_e32 0, v2
	s_cbranch_execz .LBB6_932
; %bb.931:
	s_bcnt1_i32_b32 s17, s17
	v_mov_b32_e32 v2, s17
	s_waitcnt vmcnt(0)
	global_atomic_add_x2 v[0:1], v[2:3], off offset:8
.LBB6_932:
	s_or_b32 exec_lo, exec_lo, s16
	s_waitcnt vmcnt(0)
	global_load_dwordx2 v[2:3], v[0:1], off offset:16
	s_waitcnt vmcnt(0)
	v_cmp_eq_u64_e32 vcc_lo, 0, v[2:3]
	s_cbranch_vccnz .LBB6_934
; %bb.933:
	global_load_dword v0, v[0:1], off offset:24
	v_mov_b32_e32 v1, 0
	s_waitcnt vmcnt(0)
	v_and_b32_e32 v4, 0x7fffff, v0
	s_waitcnt_vscnt null, 0x0
	global_store_dwordx2 v[2:3], v[0:1], off
	v_readfirstlane_b32 m0, v4
	s_sendmsg sendmsg(MSG_INTERRUPT)
.LBB6_934:
	s_or_b32 exec_lo, exec_lo, s5
	s_branch .LBB6_938
	.p2align	6
.LBB6_935:                              ;   in Loop: Header=BB6_938 Depth=1
	s_or_b32 exec_lo, exec_lo, s5
	v_readfirstlane_b32 s5, v0
	s_cmp_eq_u32 s5, 0
	s_cbranch_scc1 .LBB6_937
; %bb.936:                              ;   in Loop: Header=BB6_938 Depth=1
	s_sleep 1
	s_cbranch_execnz .LBB6_938
	s_branch .LBB6_940
	.p2align	6
.LBB6_937:
	s_branch .LBB6_940
.LBB6_938:                              ; =>This Inner Loop Header: Depth=1
	v_mov_b32_e32 v0, 1
	s_and_saveexec_b32 s5, s4
	s_cbranch_execz .LBB6_935
; %bb.939:                              ;   in Loop: Header=BB6_938 Depth=1
	global_load_dword v0, v[8:9], off offset:20 glc dlc
	s_waitcnt vmcnt(0)
	buffer_gl1_inv
	buffer_gl0_inv
	v_and_b32_e32 v0, 1, v0
	s_branch .LBB6_935
.LBB6_940:
	global_load_dwordx2 v[2:3], v[6:7], off
	s_and_saveexec_b32 s5, s4
	s_cbranch_execz .LBB6_944
; %bb.941:
	v_mov_b32_e32 v8, 0
	s_clause 0x2
	global_load_dwordx2 v[0:1], v8, s[6:7] offset:40
	global_load_dwordx2 v[9:10], v8, s[6:7] offset:24 glc dlc
	global_load_dwordx2 v[6:7], v8, s[6:7]
	s_waitcnt vmcnt(2)
	v_add_co_u32 v11, vcc_lo, v0, 1
	v_add_co_ci_u32_e32 v12, vcc_lo, 0, v1, vcc_lo
	v_add_co_u32 v4, vcc_lo, v11, s10
	v_add_co_ci_u32_e32 v5, vcc_lo, s11, v12, vcc_lo
	v_cmp_eq_u64_e32 vcc_lo, 0, v[4:5]
	v_cndmask_b32_e32 v5, v5, v12, vcc_lo
	v_cndmask_b32_e32 v4, v4, v11, vcc_lo
	v_and_b32_e32 v1, v5, v1
	v_and_b32_e32 v0, v4, v0
	v_mul_lo_u32 v1, v1, 24
	v_mul_hi_u32 v11, v0, 24
	v_mul_lo_u32 v0, v0, 24
	v_add_nc_u32_e32 v1, v11, v1
	s_waitcnt vmcnt(0)
	v_add_co_u32 v0, vcc_lo, v6, v0
	v_mov_b32_e32 v6, v9
	v_add_co_ci_u32_e32 v1, vcc_lo, v7, v1, vcc_lo
	v_mov_b32_e32 v7, v10
	global_store_dwordx2 v[0:1], v[9:10], off
	s_waitcnt_vscnt null, 0x0
	global_atomic_cmpswap_x2 v[6:7], v8, v[4:7], s[6:7] offset:24 glc
	s_waitcnt vmcnt(0)
	v_cmp_ne_u64_e32 vcc_lo, v[6:7], v[9:10]
	s_and_b32 exec_lo, exec_lo, vcc_lo
	s_cbranch_execz .LBB6_944
; %bb.942:
	s_mov_b32 s4, 0
.LBB6_943:                              ; =>This Inner Loop Header: Depth=1
	s_sleep 1
	global_store_dwordx2 v[0:1], v[6:7], off
	s_waitcnt_vscnt null, 0x0
	global_atomic_cmpswap_x2 v[9:10], v8, v[4:7], s[6:7] offset:24 glc
	s_waitcnt vmcnt(0)
	v_cmp_eq_u64_e32 vcc_lo, v[9:10], v[6:7]
	v_mov_b32_e32 v6, v9
	v_mov_b32_e32 v7, v10
	s_or_b32 s4, vcc_lo, s4
	s_andn2_b32 exec_lo, exec_lo, s4
	s_cbranch_execnz .LBB6_943
.LBB6_944:
	s_or_b32 exec_lo, exec_lo, s5
.LBB6_945:
	v_readfirstlane_b32 s4, v32
	s_waitcnt vmcnt(0)
	v_mov_b32_e32 v0, 0
	v_mov_b32_e32 v1, 0
	v_cmp_eq_u32_e64 s4, s4, v32
	s_and_saveexec_b32 s5, s4
	s_cbranch_execz .LBB6_951
; %bb.946:
	v_mov_b32_e32 v4, 0
	s_mov_b32 s10, exec_lo
	global_load_dwordx2 v[7:8], v4, s[6:7] offset:24 glc dlc
	s_waitcnt vmcnt(0)
	buffer_gl1_inv
	buffer_gl0_inv
	s_clause 0x1
	global_load_dwordx2 v[0:1], v4, s[6:7] offset:40
	global_load_dwordx2 v[5:6], v4, s[6:7]
	s_waitcnt vmcnt(1)
	v_and_b32_e32 v1, v1, v8
	v_and_b32_e32 v0, v0, v7
	v_mul_lo_u32 v1, v1, 24
	v_mul_hi_u32 v9, v0, 24
	v_mul_lo_u32 v0, v0, 24
	v_add_nc_u32_e32 v1, v9, v1
	s_waitcnt vmcnt(0)
	v_add_co_u32 v0, vcc_lo, v5, v0
	v_add_co_ci_u32_e32 v1, vcc_lo, v6, v1, vcc_lo
	global_load_dwordx2 v[5:6], v[0:1], off glc dlc
	s_waitcnt vmcnt(0)
	global_atomic_cmpswap_x2 v[0:1], v4, v[5:8], s[6:7] offset:24 glc
	s_waitcnt vmcnt(0)
	buffer_gl1_inv
	buffer_gl0_inv
	v_cmpx_ne_u64_e64 v[0:1], v[7:8]
	s_cbranch_execz .LBB6_950
; %bb.947:
	s_mov_b32 s11, 0
	.p2align	6
.LBB6_948:                              ; =>This Inner Loop Header: Depth=1
	s_sleep 1
	s_clause 0x1
	global_load_dwordx2 v[5:6], v4, s[6:7] offset:40
	global_load_dwordx2 v[9:10], v4, s[6:7]
	v_mov_b32_e32 v8, v1
	v_mov_b32_e32 v7, v0
	s_waitcnt vmcnt(1)
	v_and_b32_e32 v0, v5, v7
	v_and_b32_e32 v5, v6, v8
	s_waitcnt vmcnt(0)
	v_mad_u64_u32 v[0:1], null, v0, 24, v[9:10]
	v_mad_u64_u32 v[5:6], null, v5, 24, v[1:2]
	v_mov_b32_e32 v1, v5
	global_load_dwordx2 v[5:6], v[0:1], off glc dlc
	s_waitcnt vmcnt(0)
	global_atomic_cmpswap_x2 v[0:1], v4, v[5:8], s[6:7] offset:24 glc
	s_waitcnt vmcnt(0)
	buffer_gl1_inv
	buffer_gl0_inv
	v_cmp_eq_u64_e32 vcc_lo, v[0:1], v[7:8]
	s_or_b32 s11, vcc_lo, s11
	s_andn2_b32 exec_lo, exec_lo, s11
	s_cbranch_execnz .LBB6_948
; %bb.949:
	s_or_b32 exec_lo, exec_lo, s11
.LBB6_950:
	s_or_b32 exec_lo, exec_lo, s10
.LBB6_951:
	s_or_b32 exec_lo, exec_lo, s5
	v_mov_b32_e32 v5, 0
	v_readfirstlane_b32 s10, v0
	v_readfirstlane_b32 s11, v1
	s_mov_b32 s5, exec_lo
	s_clause 0x1
	global_load_dwordx2 v[10:11], v5, s[6:7] offset:40
	global_load_dwordx4 v[6:9], v5, s[6:7]
	s_waitcnt vmcnt(1)
	v_readfirstlane_b32 s16, v10
	v_readfirstlane_b32 s17, v11
	s_and_b64 s[16:17], s[10:11], s[16:17]
	s_mul_i32 s18, s17, 24
	s_mul_hi_u32 s19, s16, 24
	s_mul_i32 s20, s16, 24
	s_add_i32 s19, s19, s18
	s_waitcnt vmcnt(0)
	v_add_co_u32 v10, vcc_lo, v6, s20
	v_add_co_ci_u32_e32 v11, vcc_lo, s19, v7, vcc_lo
	s_and_saveexec_b32 s18, s4
	s_cbranch_execz .LBB6_953
; %bb.952:
	v_mov_b32_e32 v4, s5
	v_mov_b32_e32 v13, v5
	;; [unrolled: 1-line block ×5, first 2 shown]
	global_store_dwordx4 v[10:11], v[12:15], off offset:8
.LBB6_953:
	s_or_b32 exec_lo, exec_lo, s18
	s_lshl_b64 s[16:17], s[16:17], 12
	v_and_or_b32 v2, 0xffffff1d, v2, 34
	v_add_co_u32 v0, vcc_lo, v8, s16
	v_add_co_ci_u32_e32 v1, vcc_lo, s17, v9, vcc_lo
	s_mov_b32 s16, 0
	v_mov_b32_e32 v4, 0x41e
	s_mov_b32 s17, s16
	s_mov_b32 s18, s16
	;; [unrolled: 1-line block ×3, first 2 shown]
	v_readfirstlane_b32 s20, v0
	v_readfirstlane_b32 s21, v1
	v_mov_b32_e32 v12, s16
	v_mov_b32_e32 v13, s17
	;; [unrolled: 1-line block ×4, first 2 shown]
	global_store_dwordx4 v31, v[2:5], s[20:21]
	global_store_dwordx4 v31, v[12:15], s[20:21] offset:16
	global_store_dwordx4 v31, v[12:15], s[20:21] offset:32
	;; [unrolled: 1-line block ×3, first 2 shown]
	s_and_saveexec_b32 s5, s4
	s_cbranch_execz .LBB6_961
; %bb.954:
	v_mov_b32_e32 v8, 0
	v_mov_b32_e32 v12, s10
	;; [unrolled: 1-line block ×3, first 2 shown]
	s_clause 0x1
	global_load_dwordx2 v[14:15], v8, s[6:7] offset:32 glc dlc
	global_load_dwordx2 v[0:1], v8, s[6:7] offset:40
	s_waitcnt vmcnt(0)
	v_readfirstlane_b32 s16, v0
	v_readfirstlane_b32 s17, v1
	s_and_b64 s[16:17], s[16:17], s[10:11]
	s_mul_i32 s17, s17, 24
	s_mul_hi_u32 s18, s16, 24
	s_mul_i32 s16, s16, 24
	s_add_i32 s18, s18, s17
	v_add_co_u32 v4, vcc_lo, v6, s16
	v_add_co_ci_u32_e32 v5, vcc_lo, s18, v7, vcc_lo
	s_mov_b32 s16, exec_lo
	global_store_dwordx2 v[4:5], v[14:15], off
	s_waitcnt_vscnt null, 0x0
	global_atomic_cmpswap_x2 v[2:3], v8, v[12:15], s[6:7] offset:32 glc
	s_waitcnt vmcnt(0)
	v_cmpx_ne_u64_e64 v[2:3], v[14:15]
	s_cbranch_execz .LBB6_957
; %bb.955:
	s_mov_b32 s17, 0
.LBB6_956:                              ; =>This Inner Loop Header: Depth=1
	v_mov_b32_e32 v0, s10
	v_mov_b32_e32 v1, s11
	s_sleep 1
	global_store_dwordx2 v[4:5], v[2:3], off
	s_waitcnt_vscnt null, 0x0
	global_atomic_cmpswap_x2 v[0:1], v8, v[0:3], s[6:7] offset:32 glc
	s_waitcnt vmcnt(0)
	v_cmp_eq_u64_e32 vcc_lo, v[0:1], v[2:3]
	v_mov_b32_e32 v3, v1
	v_mov_b32_e32 v2, v0
	s_or_b32 s17, vcc_lo, s17
	s_andn2_b32 exec_lo, exec_lo, s17
	s_cbranch_execnz .LBB6_956
.LBB6_957:
	s_or_b32 exec_lo, exec_lo, s16
	v_mov_b32_e32 v3, 0
	s_mov_b32 s17, exec_lo
	s_mov_b32 s16, exec_lo
	v_mbcnt_lo_u32_b32 v2, s17, 0
	global_load_dwordx2 v[0:1], v3, s[6:7] offset:16
	v_cmpx_eq_u32_e32 0, v2
	s_cbranch_execz .LBB6_959
; %bb.958:
	s_bcnt1_i32_b32 s17, s17
	v_mov_b32_e32 v2, s17
	s_waitcnt vmcnt(0)
	global_atomic_add_x2 v[0:1], v[2:3], off offset:8
.LBB6_959:
	s_or_b32 exec_lo, exec_lo, s16
	s_waitcnt vmcnt(0)
	global_load_dwordx2 v[2:3], v[0:1], off offset:16
	s_waitcnt vmcnt(0)
	v_cmp_eq_u64_e32 vcc_lo, 0, v[2:3]
	s_cbranch_vccnz .LBB6_961
; %bb.960:
	global_load_dword v0, v[0:1], off offset:24
	v_mov_b32_e32 v1, 0
	s_waitcnt vmcnt(0)
	v_and_b32_e32 v4, 0x7fffff, v0
	s_waitcnt_vscnt null, 0x0
	global_store_dwordx2 v[2:3], v[0:1], off
	v_readfirstlane_b32 m0, v4
	s_sendmsg sendmsg(MSG_INTERRUPT)
.LBB6_961:
	s_or_b32 exec_lo, exec_lo, s5
	s_branch .LBB6_965
	.p2align	6
.LBB6_962:                              ;   in Loop: Header=BB6_965 Depth=1
	s_or_b32 exec_lo, exec_lo, s5
	v_readfirstlane_b32 s5, v0
	s_cmp_eq_u32 s5, 0
	s_cbranch_scc1 .LBB6_964
; %bb.963:                              ;   in Loop: Header=BB6_965 Depth=1
	s_sleep 1
	s_cbranch_execnz .LBB6_965
	s_branch .LBB6_967
	.p2align	6
.LBB6_964:
	s_branch .LBB6_967
.LBB6_965:                              ; =>This Inner Loop Header: Depth=1
	v_mov_b32_e32 v0, 1
	s_and_saveexec_b32 s5, s4
	s_cbranch_execz .LBB6_962
; %bb.966:                              ;   in Loop: Header=BB6_965 Depth=1
	global_load_dword v0, v[10:11], off offset:20 glc dlc
	s_waitcnt vmcnt(0)
	buffer_gl1_inv
	buffer_gl0_inv
	v_and_b32_e32 v0, 1, v0
	s_branch .LBB6_962
.LBB6_967:
	s_and_saveexec_b32 s5, s4
	s_cbranch_execz .LBB6_971
; %bb.968:
	v_mov_b32_e32 v6, 0
	s_clause 0x2
	global_load_dwordx2 v[2:3], v6, s[6:7] offset:40
	global_load_dwordx2 v[7:8], v6, s[6:7] offset:24 glc dlc
	global_load_dwordx2 v[4:5], v6, s[6:7]
	s_waitcnt vmcnt(2)
	v_add_co_u32 v9, vcc_lo, v2, 1
	v_add_co_ci_u32_e32 v10, vcc_lo, 0, v3, vcc_lo
	v_add_co_u32 v0, vcc_lo, v9, s10
	v_add_co_ci_u32_e32 v1, vcc_lo, s11, v10, vcc_lo
	v_cmp_eq_u64_e32 vcc_lo, 0, v[0:1]
	v_cndmask_b32_e32 v1, v1, v10, vcc_lo
	v_cndmask_b32_e32 v0, v0, v9, vcc_lo
	v_and_b32_e32 v3, v1, v3
	v_and_b32_e32 v2, v0, v2
	v_mul_lo_u32 v3, v3, 24
	v_mul_hi_u32 v9, v2, 24
	v_mul_lo_u32 v2, v2, 24
	v_add_nc_u32_e32 v3, v9, v3
	s_waitcnt vmcnt(0)
	v_add_co_u32 v4, vcc_lo, v4, v2
	v_mov_b32_e32 v2, v7
	v_add_co_ci_u32_e32 v5, vcc_lo, v5, v3, vcc_lo
	v_mov_b32_e32 v3, v8
	global_store_dwordx2 v[4:5], v[7:8], off
	s_waitcnt_vscnt null, 0x0
	global_atomic_cmpswap_x2 v[2:3], v6, v[0:3], s[6:7] offset:24 glc
	s_waitcnt vmcnt(0)
	v_cmp_ne_u64_e32 vcc_lo, v[2:3], v[7:8]
	s_and_b32 exec_lo, exec_lo, vcc_lo
	s_cbranch_execz .LBB6_971
; %bb.969:
	s_mov_b32 s4, 0
.LBB6_970:                              ; =>This Inner Loop Header: Depth=1
	s_sleep 1
	global_store_dwordx2 v[4:5], v[2:3], off
	s_waitcnt_vscnt null, 0x0
	global_atomic_cmpswap_x2 v[7:8], v6, v[0:3], s[6:7] offset:24 glc
	s_waitcnt vmcnt(0)
	v_cmp_eq_u64_e32 vcc_lo, v[7:8], v[2:3]
	v_mov_b32_e32 v2, v7
	v_mov_b32_e32 v3, v8
	s_or_b32 s4, vcc_lo, s4
	s_andn2_b32 exec_lo, exec_lo, s4
	s_cbranch_execnz .LBB6_970
.LBB6_971:
	s_or_b32 exec_lo, exec_lo, s5
	v_readfirstlane_b32 s4, v32
	v_mov_b32_e32 v6, 0
	v_mov_b32_e32 v7, 0
	v_cmp_eq_u32_e64 s4, s4, v32
	s_and_saveexec_b32 s5, s4
	s_cbranch_execz .LBB6_977
; %bb.972:
	v_mov_b32_e32 v0, 0
	s_mov_b32 s10, exec_lo
	global_load_dwordx2 v[3:4], v0, s[6:7] offset:24 glc dlc
	s_waitcnt vmcnt(0)
	buffer_gl1_inv
	buffer_gl0_inv
	s_clause 0x1
	global_load_dwordx2 v[1:2], v0, s[6:7] offset:40
	global_load_dwordx2 v[5:6], v0, s[6:7]
	s_waitcnt vmcnt(1)
	v_and_b32_e32 v2, v2, v4
	v_and_b32_e32 v1, v1, v3
	v_mul_lo_u32 v2, v2, 24
	v_mul_hi_u32 v7, v1, 24
	v_mul_lo_u32 v1, v1, 24
	v_add_nc_u32_e32 v2, v7, v2
	s_waitcnt vmcnt(0)
	v_add_co_u32 v1, vcc_lo, v5, v1
	v_add_co_ci_u32_e32 v2, vcc_lo, v6, v2, vcc_lo
	global_load_dwordx2 v[1:2], v[1:2], off glc dlc
	s_waitcnt vmcnt(0)
	global_atomic_cmpswap_x2 v[6:7], v0, v[1:4], s[6:7] offset:24 glc
	s_waitcnt vmcnt(0)
	buffer_gl1_inv
	buffer_gl0_inv
	v_cmpx_ne_u64_e64 v[6:7], v[3:4]
	s_cbranch_execz .LBB6_976
; %bb.973:
	s_mov_b32 s11, 0
	.p2align	6
.LBB6_974:                              ; =>This Inner Loop Header: Depth=1
	s_sleep 1
	s_clause 0x1
	global_load_dwordx2 v[1:2], v0, s[6:7] offset:40
	global_load_dwordx2 v[8:9], v0, s[6:7]
	v_mov_b32_e32 v3, v6
	v_mov_b32_e32 v4, v7
	s_waitcnt vmcnt(1)
	v_and_b32_e32 v1, v1, v3
	v_and_b32_e32 v2, v2, v4
	s_waitcnt vmcnt(0)
	v_mad_u64_u32 v[5:6], null, v1, 24, v[8:9]
	v_mov_b32_e32 v1, v6
	v_mad_u64_u32 v[1:2], null, v2, 24, v[1:2]
	v_mov_b32_e32 v6, v1
	global_load_dwordx2 v[1:2], v[5:6], off glc dlc
	s_waitcnt vmcnt(0)
	global_atomic_cmpswap_x2 v[6:7], v0, v[1:4], s[6:7] offset:24 glc
	s_waitcnt vmcnt(0)
	buffer_gl1_inv
	buffer_gl0_inv
	v_cmp_eq_u64_e32 vcc_lo, v[6:7], v[3:4]
	s_or_b32 s11, vcc_lo, s11
	s_andn2_b32 exec_lo, exec_lo, s11
	s_cbranch_execnz .LBB6_974
; %bb.975:
	s_or_b32 exec_lo, exec_lo, s11
.LBB6_976:
	s_or_b32 exec_lo, exec_lo, s10
.LBB6_977:
	s_or_b32 exec_lo, exec_lo, s5
	v_mov_b32_e32 v5, 0
	v_readfirstlane_b32 s10, v6
	v_readfirstlane_b32 s11, v7
	s_mov_b32 s5, exec_lo
	s_clause 0x1
	global_load_dwordx2 v[8:9], v5, s[6:7] offset:40
	global_load_dwordx4 v[0:3], v5, s[6:7]
	s_waitcnt vmcnt(1)
	v_readfirstlane_b32 s16, v8
	v_readfirstlane_b32 s17, v9
	s_and_b64 s[16:17], s[10:11], s[16:17]
	s_mul_i32 s18, s17, 24
	s_mul_hi_u32 s19, s16, 24
	s_mul_i32 s20, s16, 24
	s_add_i32 s19, s19, s18
	s_waitcnt vmcnt(0)
	v_add_co_u32 v8, vcc_lo, v0, s20
	v_add_co_ci_u32_e32 v9, vcc_lo, s19, v1, vcc_lo
	s_and_saveexec_b32 s18, s4
	s_cbranch_execz .LBB6_979
; %bb.978:
	v_mov_b32_e32 v4, s5
	v_mov_b32_e32 v6, 2
	;; [unrolled: 1-line block ×3, first 2 shown]
	global_store_dwordx4 v[8:9], v[4:7], off offset:8
.LBB6_979:
	s_or_b32 exec_lo, exec_lo, s18
	s_lshl_b64 s[16:17], s[16:17], 12
	v_mov_b32_e32 v4, 33
	v_add_co_u32 v2, vcc_lo, v2, s16
	v_add_co_ci_u32_e32 v3, vcc_lo, s17, v3, vcc_lo
	s_mov_b32 s16, 0
	v_add_co_u32 v10, vcc_lo, v2, v31
	s_mov_b32 s17, s16
	s_mov_b32 s18, s16
	;; [unrolled: 1-line block ×3, first 2 shown]
	v_mov_b32_e32 v6, v5
	v_mov_b32_e32 v7, v5
	v_readfirstlane_b32 s20, v2
	v_readfirstlane_b32 s21, v3
	v_mov_b32_e32 v12, s16
	v_add_co_ci_u32_e32 v11, vcc_lo, 0, v3, vcc_lo
	v_mov_b32_e32 v13, s17
	v_mov_b32_e32 v14, s18
	v_mov_b32_e32 v15, s19
	global_store_dwordx4 v31, v[4:7], s[20:21]
	global_store_dwordx4 v31, v[12:15], s[20:21] offset:16
	global_store_dwordx4 v31, v[12:15], s[20:21] offset:32
	;; [unrolled: 1-line block ×3, first 2 shown]
	s_and_saveexec_b32 s5, s4
	s_cbranch_execz .LBB6_987
; %bb.980:
	v_mov_b32_e32 v6, 0
	v_mov_b32_e32 v12, s10
	;; [unrolled: 1-line block ×3, first 2 shown]
	s_clause 0x1
	global_load_dwordx2 v[14:15], v6, s[6:7] offset:32 glc dlc
	global_load_dwordx2 v[2:3], v6, s[6:7] offset:40
	s_waitcnt vmcnt(0)
	v_readfirstlane_b32 s16, v2
	v_readfirstlane_b32 s17, v3
	s_and_b64 s[16:17], s[16:17], s[10:11]
	s_mul_i32 s17, s17, 24
	s_mul_hi_u32 s18, s16, 24
	s_mul_i32 s16, s16, 24
	s_add_i32 s18, s18, s17
	v_add_co_u32 v4, vcc_lo, v0, s16
	v_add_co_ci_u32_e32 v5, vcc_lo, s18, v1, vcc_lo
	s_mov_b32 s16, exec_lo
	global_store_dwordx2 v[4:5], v[14:15], off
	s_waitcnt_vscnt null, 0x0
	global_atomic_cmpswap_x2 v[2:3], v6, v[12:15], s[6:7] offset:32 glc
	s_waitcnt vmcnt(0)
	v_cmpx_ne_u64_e64 v[2:3], v[14:15]
	s_cbranch_execz .LBB6_983
; %bb.981:
	s_mov_b32 s17, 0
.LBB6_982:                              ; =>This Inner Loop Header: Depth=1
	v_mov_b32_e32 v0, s10
	v_mov_b32_e32 v1, s11
	s_sleep 1
	global_store_dwordx2 v[4:5], v[2:3], off
	s_waitcnt_vscnt null, 0x0
	global_atomic_cmpswap_x2 v[0:1], v6, v[0:3], s[6:7] offset:32 glc
	s_waitcnt vmcnt(0)
	v_cmp_eq_u64_e32 vcc_lo, v[0:1], v[2:3]
	v_mov_b32_e32 v3, v1
	v_mov_b32_e32 v2, v0
	s_or_b32 s17, vcc_lo, s17
	s_andn2_b32 exec_lo, exec_lo, s17
	s_cbranch_execnz .LBB6_982
.LBB6_983:
	s_or_b32 exec_lo, exec_lo, s16
	v_mov_b32_e32 v3, 0
	s_mov_b32 s17, exec_lo
	s_mov_b32 s16, exec_lo
	v_mbcnt_lo_u32_b32 v2, s17, 0
	global_load_dwordx2 v[0:1], v3, s[6:7] offset:16
	v_cmpx_eq_u32_e32 0, v2
	s_cbranch_execz .LBB6_985
; %bb.984:
	s_bcnt1_i32_b32 s17, s17
	v_mov_b32_e32 v2, s17
	s_waitcnt vmcnt(0)
	global_atomic_add_x2 v[0:1], v[2:3], off offset:8
.LBB6_985:
	s_or_b32 exec_lo, exec_lo, s16
	s_waitcnt vmcnt(0)
	global_load_dwordx2 v[2:3], v[0:1], off offset:16
	s_waitcnt vmcnt(0)
	v_cmp_eq_u64_e32 vcc_lo, 0, v[2:3]
	s_cbranch_vccnz .LBB6_987
; %bb.986:
	global_load_dword v0, v[0:1], off offset:24
	v_mov_b32_e32 v1, 0
	s_waitcnt vmcnt(0)
	v_and_b32_e32 v4, 0x7fffff, v0
	s_waitcnt_vscnt null, 0x0
	global_store_dwordx2 v[2:3], v[0:1], off
	v_readfirstlane_b32 m0, v4
	s_sendmsg sendmsg(MSG_INTERRUPT)
.LBB6_987:
	s_or_b32 exec_lo, exec_lo, s5
	s_branch .LBB6_991
	.p2align	6
.LBB6_988:                              ;   in Loop: Header=BB6_991 Depth=1
	s_or_b32 exec_lo, exec_lo, s5
	v_readfirstlane_b32 s5, v0
	s_cmp_eq_u32 s5, 0
	s_cbranch_scc1 .LBB6_990
; %bb.989:                              ;   in Loop: Header=BB6_991 Depth=1
	s_sleep 1
	s_cbranch_execnz .LBB6_991
	s_branch .LBB6_993
	.p2align	6
.LBB6_990:
	s_branch .LBB6_993
.LBB6_991:                              ; =>This Inner Loop Header: Depth=1
	v_mov_b32_e32 v0, 1
	s_and_saveexec_b32 s5, s4
	s_cbranch_execz .LBB6_988
; %bb.992:                              ;   in Loop: Header=BB6_991 Depth=1
	global_load_dword v0, v[8:9], off offset:20 glc dlc
	s_waitcnt vmcnt(0)
	buffer_gl1_inv
	buffer_gl0_inv
	v_and_b32_e32 v0, 1, v0
	s_branch .LBB6_988
.LBB6_993:
	global_load_dwordx2 v[0:1], v[10:11], off
	s_and_saveexec_b32 s5, s4
	s_cbranch_execz .LBB6_997
; %bb.994:
	v_mov_b32_e32 v8, 0
	s_clause 0x2
	global_load_dwordx2 v[4:5], v8, s[6:7] offset:40
	global_load_dwordx2 v[9:10], v8, s[6:7] offset:24 glc dlc
	global_load_dwordx2 v[6:7], v8, s[6:7]
	s_waitcnt vmcnt(2)
	v_add_co_u32 v11, vcc_lo, v4, 1
	v_add_co_ci_u32_e32 v12, vcc_lo, 0, v5, vcc_lo
	v_add_co_u32 v2, vcc_lo, v11, s10
	v_add_co_ci_u32_e32 v3, vcc_lo, s11, v12, vcc_lo
	v_cmp_eq_u64_e32 vcc_lo, 0, v[2:3]
	v_cndmask_b32_e32 v3, v3, v12, vcc_lo
	v_cndmask_b32_e32 v2, v2, v11, vcc_lo
	v_and_b32_e32 v5, v3, v5
	v_and_b32_e32 v4, v2, v4
	v_mul_lo_u32 v5, v5, 24
	v_mul_hi_u32 v11, v4, 24
	v_mul_lo_u32 v4, v4, 24
	v_add_nc_u32_e32 v5, v11, v5
	s_waitcnt vmcnt(0)
	v_add_co_u32 v6, vcc_lo, v6, v4
	v_mov_b32_e32 v4, v9
	v_add_co_ci_u32_e32 v7, vcc_lo, v7, v5, vcc_lo
	v_mov_b32_e32 v5, v10
	global_store_dwordx2 v[6:7], v[9:10], off
	s_waitcnt_vscnt null, 0x0
	global_atomic_cmpswap_x2 v[4:5], v8, v[2:5], s[6:7] offset:24 glc
	s_waitcnt vmcnt(0)
	v_cmp_ne_u64_e32 vcc_lo, v[4:5], v[9:10]
	s_and_b32 exec_lo, exec_lo, vcc_lo
	s_cbranch_execz .LBB6_997
; %bb.995:
	s_mov_b32 s4, 0
.LBB6_996:                              ; =>This Inner Loop Header: Depth=1
	s_sleep 1
	global_store_dwordx2 v[6:7], v[4:5], off
	s_waitcnt_vscnt null, 0x0
	global_atomic_cmpswap_x2 v[9:10], v8, v[2:5], s[6:7] offset:24 glc
	s_waitcnt vmcnt(0)
	v_cmp_eq_u64_e32 vcc_lo, v[9:10], v[4:5]
	v_mov_b32_e32 v4, v9
	v_mov_b32_e32 v5, v10
	s_or_b32 s4, vcc_lo, s4
	s_andn2_b32 exec_lo, exec_lo, s4
	s_cbranch_execnz .LBB6_996
.LBB6_997:
	s_or_b32 exec_lo, exec_lo, s5
	s_and_b32 vcc_lo, exec_lo, s24
	s_cbranch_vccz .LBB6_1076
; %bb.998:
	s_waitcnt vmcnt(0)
	v_and_b32_e32 v33, 2, v0
	v_mov_b32_e32 v6, 0
	v_and_b32_e32 v2, -3, v0
	v_mov_b32_e32 v3, v1
	v_mov_b32_e32 v7, 2
	;; [unrolled: 1-line block ×3, first 2 shown]
	s_mov_b64 s[16:17], 3
	s_getpc_b64 s[10:11]
	s_add_u32 s10, s10, .str.6@rel32@lo+4
	s_addc_u32 s11, s11, .str.6@rel32@hi+12
	s_branch .LBB6_1000
.LBB6_999:                              ;   in Loop: Header=BB6_1000 Depth=1
	s_or_b32 exec_lo, exec_lo, s5
	s_sub_u32 s16, s16, s18
	s_subb_u32 s17, s17, s19
	s_add_u32 s10, s10, s18
	s_addc_u32 s11, s11, s19
	s_cmp_lg_u64 s[16:17], 0
	s_cbranch_scc0 .LBB6_1075
.LBB6_1000:                             ; =>This Loop Header: Depth=1
                                        ;     Child Loop BB6_1009 Depth 2
                                        ;     Child Loop BB6_1005 Depth 2
	;; [unrolled: 1-line block ×11, first 2 shown]
	v_cmp_lt_u64_e64 s4, s[16:17], 56
	v_cmp_gt_u64_e64 s5, s[16:17], 7
                                        ; implicit-def: $vgpr11_vgpr12
                                        ; implicit-def: $sgpr25
	s_and_b32 s4, s4, exec_lo
	s_cselect_b32 s19, s17, 0
	s_cselect_b32 s18, s16, 56
	s_and_b32 vcc_lo, exec_lo, s5
	s_mov_b32 s4, -1
	s_cbranch_vccz .LBB6_1007
; %bb.1001:                             ;   in Loop: Header=BB6_1000 Depth=1
	s_andn2_b32 vcc_lo, exec_lo, s4
	s_mov_b64 s[4:5], s[10:11]
	s_cbranch_vccz .LBB6_1011
.LBB6_1002:                             ;   in Loop: Header=BB6_1000 Depth=1
	s_cmp_gt_u32 s25, 7
	s_cbranch_scc1 .LBB6_1012
.LBB6_1003:                             ;   in Loop: Header=BB6_1000 Depth=1
	v_mov_b32_e32 v13, 0
	v_mov_b32_e32 v14, 0
	s_cmp_eq_u32 s25, 0
	s_cbranch_scc1 .LBB6_1006
; %bb.1004:                             ;   in Loop: Header=BB6_1000 Depth=1
	s_mov_b64 s[20:21], 0
	s_mov_b64 s[22:23], 0
.LBB6_1005:                             ;   Parent Loop BB6_1000 Depth=1
                                        ; =>  This Inner Loop Header: Depth=2
	s_add_u32 s26, s4, s22
	s_addc_u32 s27, s5, s23
	s_add_u32 s22, s22, 1
	global_load_ubyte v4, v6, s[26:27]
	s_addc_u32 s23, s23, 0
	s_waitcnt vmcnt(0)
	v_and_b32_e32 v5, 0xffff, v4
	v_lshlrev_b64 v[4:5], s20, v[5:6]
	s_add_u32 s20, s20, 8
	s_addc_u32 s21, s21, 0
	s_cmp_lg_u32 s25, s22
	v_or_b32_e32 v13, v4, v13
	v_or_b32_e32 v14, v5, v14
	s_cbranch_scc1 .LBB6_1005
.LBB6_1006:                             ;   in Loop: Header=BB6_1000 Depth=1
	s_mov_b32 s26, 0
	s_cbranch_execz .LBB6_1013
	s_branch .LBB6_1014
.LBB6_1007:                             ;   in Loop: Header=BB6_1000 Depth=1
	v_mov_b32_e32 v11, 0
	v_mov_b32_e32 v12, 0
	s_cmp_eq_u64 s[16:17], 0
	s_mov_b64 s[4:5], 0
	s_cbranch_scc1 .LBB6_1010
; %bb.1008:                             ;   in Loop: Header=BB6_1000 Depth=1
	v_mov_b32_e32 v11, 0
	v_mov_b32_e32 v12, 0
	s_lshl_b64 s[20:21], s[18:19], 3
	s_mov_b64 s[22:23], s[10:11]
.LBB6_1009:                             ;   Parent Loop BB6_1000 Depth=1
                                        ; =>  This Inner Loop Header: Depth=2
	global_load_ubyte v4, v6, s[22:23]
	s_waitcnt vmcnt(0)
	v_and_b32_e32 v5, 0xffff, v4
	v_lshlrev_b64 v[4:5], s4, v[5:6]
	s_add_u32 s4, s4, 8
	s_addc_u32 s5, s5, 0
	s_add_u32 s22, s22, 1
	s_addc_u32 s23, s23, 0
	s_cmp_lg_u32 s20, s4
	v_or_b32_e32 v11, v4, v11
	v_or_b32_e32 v12, v5, v12
	s_cbranch_scc1 .LBB6_1009
.LBB6_1010:                             ;   in Loop: Header=BB6_1000 Depth=1
	s_mov_b32 s25, 0
	s_mov_b64 s[4:5], s[10:11]
	s_cbranch_execnz .LBB6_1002
.LBB6_1011:                             ;   in Loop: Header=BB6_1000 Depth=1
	global_load_dwordx2 v[11:12], v6, s[10:11]
	s_add_i32 s25, s18, -8
	s_add_u32 s4, s10, 8
	s_addc_u32 s5, s11, 0
	s_cmp_gt_u32 s25, 7
	s_cbranch_scc0 .LBB6_1003
.LBB6_1012:                             ;   in Loop: Header=BB6_1000 Depth=1
                                        ; implicit-def: $vgpr13_vgpr14
                                        ; implicit-def: $sgpr26
.LBB6_1013:                             ;   in Loop: Header=BB6_1000 Depth=1
	global_load_dwordx2 v[13:14], v6, s[4:5]
	s_add_i32 s26, s25, -8
	s_add_u32 s4, s4, 8
	s_addc_u32 s5, s5, 0
.LBB6_1014:                             ;   in Loop: Header=BB6_1000 Depth=1
	s_cmp_gt_u32 s26, 7
	s_cbranch_scc1 .LBB6_1019
; %bb.1015:                             ;   in Loop: Header=BB6_1000 Depth=1
	v_mov_b32_e32 v15, 0
	v_mov_b32_e32 v16, 0
	s_cmp_eq_u32 s26, 0
	s_cbranch_scc1 .LBB6_1018
; %bb.1016:                             ;   in Loop: Header=BB6_1000 Depth=1
	s_mov_b64 s[20:21], 0
	s_mov_b64 s[22:23], 0
.LBB6_1017:                             ;   Parent Loop BB6_1000 Depth=1
                                        ; =>  This Inner Loop Header: Depth=2
	s_add_u32 s28, s4, s22
	s_addc_u32 s29, s5, s23
	s_add_u32 s22, s22, 1
	global_load_ubyte v4, v6, s[28:29]
	s_addc_u32 s23, s23, 0
	s_waitcnt vmcnt(0)
	v_and_b32_e32 v5, 0xffff, v4
	v_lshlrev_b64 v[4:5], s20, v[5:6]
	s_add_u32 s20, s20, 8
	s_addc_u32 s21, s21, 0
	s_cmp_lg_u32 s26, s22
	v_or_b32_e32 v15, v4, v15
	v_or_b32_e32 v16, v5, v16
	s_cbranch_scc1 .LBB6_1017
.LBB6_1018:                             ;   in Loop: Header=BB6_1000 Depth=1
	s_mov_b32 s25, 0
	s_cbranch_execz .LBB6_1020
	s_branch .LBB6_1021
.LBB6_1019:                             ;   in Loop: Header=BB6_1000 Depth=1
                                        ; implicit-def: $sgpr25
.LBB6_1020:                             ;   in Loop: Header=BB6_1000 Depth=1
	global_load_dwordx2 v[15:16], v6, s[4:5]
	s_add_i32 s25, s26, -8
	s_add_u32 s4, s4, 8
	s_addc_u32 s5, s5, 0
.LBB6_1021:                             ;   in Loop: Header=BB6_1000 Depth=1
	s_cmp_gt_u32 s25, 7
	s_cbranch_scc1 .LBB6_1026
; %bb.1022:                             ;   in Loop: Header=BB6_1000 Depth=1
	v_mov_b32_e32 v17, 0
	v_mov_b32_e32 v18, 0
	s_cmp_eq_u32 s25, 0
	s_cbranch_scc1 .LBB6_1025
; %bb.1023:                             ;   in Loop: Header=BB6_1000 Depth=1
	s_mov_b64 s[20:21], 0
	s_mov_b64 s[22:23], 0
.LBB6_1024:                             ;   Parent Loop BB6_1000 Depth=1
                                        ; =>  This Inner Loop Header: Depth=2
	s_add_u32 s26, s4, s22
	s_addc_u32 s27, s5, s23
	s_add_u32 s22, s22, 1
	global_load_ubyte v4, v6, s[26:27]
	s_addc_u32 s23, s23, 0
	s_waitcnt vmcnt(0)
	v_and_b32_e32 v5, 0xffff, v4
	v_lshlrev_b64 v[4:5], s20, v[5:6]
	s_add_u32 s20, s20, 8
	s_addc_u32 s21, s21, 0
	s_cmp_lg_u32 s25, s22
	v_or_b32_e32 v17, v4, v17
	v_or_b32_e32 v18, v5, v18
	s_cbranch_scc1 .LBB6_1024
.LBB6_1025:                             ;   in Loop: Header=BB6_1000 Depth=1
	s_mov_b32 s26, 0
	s_cbranch_execz .LBB6_1027
	s_branch .LBB6_1028
.LBB6_1026:                             ;   in Loop: Header=BB6_1000 Depth=1
                                        ; implicit-def: $vgpr17_vgpr18
                                        ; implicit-def: $sgpr26
.LBB6_1027:                             ;   in Loop: Header=BB6_1000 Depth=1
	global_load_dwordx2 v[17:18], v6, s[4:5]
	s_add_i32 s26, s25, -8
	s_add_u32 s4, s4, 8
	s_addc_u32 s5, s5, 0
.LBB6_1028:                             ;   in Loop: Header=BB6_1000 Depth=1
	s_cmp_gt_u32 s26, 7
	s_cbranch_scc1 .LBB6_1033
; %bb.1029:                             ;   in Loop: Header=BB6_1000 Depth=1
	v_mov_b32_e32 v19, 0
	v_mov_b32_e32 v20, 0
	s_cmp_eq_u32 s26, 0
	s_cbranch_scc1 .LBB6_1032
; %bb.1030:                             ;   in Loop: Header=BB6_1000 Depth=1
	s_mov_b64 s[20:21], 0
	s_mov_b64 s[22:23], 0
.LBB6_1031:                             ;   Parent Loop BB6_1000 Depth=1
                                        ; =>  This Inner Loop Header: Depth=2
	s_add_u32 s28, s4, s22
	s_addc_u32 s29, s5, s23
	s_add_u32 s22, s22, 1
	global_load_ubyte v4, v6, s[28:29]
	s_addc_u32 s23, s23, 0
	s_waitcnt vmcnt(0)
	v_and_b32_e32 v5, 0xffff, v4
	v_lshlrev_b64 v[4:5], s20, v[5:6]
	s_add_u32 s20, s20, 8
	s_addc_u32 s21, s21, 0
	s_cmp_lg_u32 s26, s22
	v_or_b32_e32 v19, v4, v19
	v_or_b32_e32 v20, v5, v20
	s_cbranch_scc1 .LBB6_1031
.LBB6_1032:                             ;   in Loop: Header=BB6_1000 Depth=1
	s_mov_b32 s25, 0
	s_cbranch_execz .LBB6_1034
	s_branch .LBB6_1035
.LBB6_1033:                             ;   in Loop: Header=BB6_1000 Depth=1
                                        ; implicit-def: $sgpr25
.LBB6_1034:                             ;   in Loop: Header=BB6_1000 Depth=1
	global_load_dwordx2 v[19:20], v6, s[4:5]
	s_add_i32 s25, s26, -8
	s_add_u32 s4, s4, 8
	s_addc_u32 s5, s5, 0
.LBB6_1035:                             ;   in Loop: Header=BB6_1000 Depth=1
	s_cmp_gt_u32 s25, 7
	s_cbranch_scc1 .LBB6_1040
; %bb.1036:                             ;   in Loop: Header=BB6_1000 Depth=1
	v_mov_b32_e32 v21, 0
	v_mov_b32_e32 v22, 0
	s_cmp_eq_u32 s25, 0
	s_cbranch_scc1 .LBB6_1039
; %bb.1037:                             ;   in Loop: Header=BB6_1000 Depth=1
	s_mov_b64 s[20:21], 0
	s_mov_b64 s[22:23], 0
.LBB6_1038:                             ;   Parent Loop BB6_1000 Depth=1
                                        ; =>  This Inner Loop Header: Depth=2
	s_add_u32 s26, s4, s22
	s_addc_u32 s27, s5, s23
	s_add_u32 s22, s22, 1
	global_load_ubyte v4, v6, s[26:27]
	s_addc_u32 s23, s23, 0
	s_waitcnt vmcnt(0)
	v_and_b32_e32 v5, 0xffff, v4
	v_lshlrev_b64 v[4:5], s20, v[5:6]
	s_add_u32 s20, s20, 8
	s_addc_u32 s21, s21, 0
	s_cmp_lg_u32 s25, s22
	v_or_b32_e32 v21, v4, v21
	v_or_b32_e32 v22, v5, v22
	s_cbranch_scc1 .LBB6_1038
.LBB6_1039:                             ;   in Loop: Header=BB6_1000 Depth=1
	s_mov_b32 s26, 0
	s_cbranch_execz .LBB6_1041
	s_branch .LBB6_1042
.LBB6_1040:                             ;   in Loop: Header=BB6_1000 Depth=1
                                        ; implicit-def: $vgpr21_vgpr22
                                        ; implicit-def: $sgpr26
.LBB6_1041:                             ;   in Loop: Header=BB6_1000 Depth=1
	global_load_dwordx2 v[21:22], v6, s[4:5]
	s_add_i32 s26, s25, -8
	s_add_u32 s4, s4, 8
	s_addc_u32 s5, s5, 0
.LBB6_1042:                             ;   in Loop: Header=BB6_1000 Depth=1
	s_cmp_gt_u32 s26, 7
	s_cbranch_scc1 .LBB6_1047
; %bb.1043:                             ;   in Loop: Header=BB6_1000 Depth=1
	v_mov_b32_e32 v23, 0
	v_mov_b32_e32 v24, 0
	s_cmp_eq_u32 s26, 0
	s_cbranch_scc1 .LBB6_1046
; %bb.1044:                             ;   in Loop: Header=BB6_1000 Depth=1
	s_mov_b64 s[20:21], 0
	s_mov_b64 s[22:23], s[4:5]
.LBB6_1045:                             ;   Parent Loop BB6_1000 Depth=1
                                        ; =>  This Inner Loop Header: Depth=2
	global_load_ubyte v4, v6, s[22:23]
	s_add_i32 s26, s26, -1
	s_waitcnt vmcnt(0)
	v_and_b32_e32 v5, 0xffff, v4
	v_lshlrev_b64 v[4:5], s20, v[5:6]
	s_add_u32 s20, s20, 8
	s_addc_u32 s21, s21, 0
	s_add_u32 s22, s22, 1
	s_addc_u32 s23, s23, 0
	s_cmp_lg_u32 s26, 0
	v_or_b32_e32 v23, v4, v23
	v_or_b32_e32 v24, v5, v24
	s_cbranch_scc1 .LBB6_1045
.LBB6_1046:                             ;   in Loop: Header=BB6_1000 Depth=1
	s_cbranch_execz .LBB6_1048
	s_branch .LBB6_1049
.LBB6_1047:                             ;   in Loop: Header=BB6_1000 Depth=1
.LBB6_1048:                             ;   in Loop: Header=BB6_1000 Depth=1
	global_load_dwordx2 v[23:24], v6, s[4:5]
.LBB6_1049:                             ;   in Loop: Header=BB6_1000 Depth=1
	v_readfirstlane_b32 s4, v32
	s_waitcnt vmcnt(0)
	v_mov_b32_e32 v4, 0
	v_mov_b32_e32 v5, 0
	v_cmp_eq_u32_e64 s4, s4, v32
	s_and_saveexec_b32 s5, s4
	s_cbranch_execz .LBB6_1055
; %bb.1050:                             ;   in Loop: Header=BB6_1000 Depth=1
	global_load_dwordx2 v[27:28], v6, s[6:7] offset:24 glc dlc
	s_waitcnt vmcnt(0)
	buffer_gl1_inv
	buffer_gl0_inv
	s_clause 0x1
	global_load_dwordx2 v[4:5], v6, s[6:7] offset:40
	global_load_dwordx2 v[9:10], v6, s[6:7]
	s_mov_b32 s20, exec_lo
	s_waitcnt vmcnt(1)
	v_and_b32_e32 v5, v5, v28
	v_and_b32_e32 v4, v4, v27
	v_mul_lo_u32 v5, v5, 24
	v_mul_hi_u32 v25, v4, 24
	v_mul_lo_u32 v4, v4, 24
	v_add_nc_u32_e32 v5, v25, v5
	s_waitcnt vmcnt(0)
	v_add_co_u32 v4, vcc_lo, v9, v4
	v_add_co_ci_u32_e32 v5, vcc_lo, v10, v5, vcc_lo
	global_load_dwordx2 v[25:26], v[4:5], off glc dlc
	s_waitcnt vmcnt(0)
	global_atomic_cmpswap_x2 v[4:5], v6, v[25:28], s[6:7] offset:24 glc
	s_waitcnt vmcnt(0)
	buffer_gl1_inv
	buffer_gl0_inv
	v_cmpx_ne_u64_e64 v[4:5], v[27:28]
	s_cbranch_execz .LBB6_1054
; %bb.1051:                             ;   in Loop: Header=BB6_1000 Depth=1
	s_mov_b32 s21, 0
	.p2align	6
.LBB6_1052:                             ;   Parent Loop BB6_1000 Depth=1
                                        ; =>  This Inner Loop Header: Depth=2
	s_sleep 1
	s_clause 0x1
	global_load_dwordx2 v[9:10], v6, s[6:7] offset:40
	global_load_dwordx2 v[25:26], v6, s[6:7]
	v_mov_b32_e32 v28, v5
	v_mov_b32_e32 v27, v4
	s_waitcnt vmcnt(1)
	v_and_b32_e32 v4, v9, v27
	v_and_b32_e32 v9, v10, v28
	s_waitcnt vmcnt(0)
	v_mad_u64_u32 v[4:5], null, v4, 24, v[25:26]
	v_mad_u64_u32 v[9:10], null, v9, 24, v[5:6]
	v_mov_b32_e32 v5, v9
	global_load_dwordx2 v[25:26], v[4:5], off glc dlc
	s_waitcnt vmcnt(0)
	global_atomic_cmpswap_x2 v[4:5], v6, v[25:28], s[6:7] offset:24 glc
	s_waitcnt vmcnt(0)
	buffer_gl1_inv
	buffer_gl0_inv
	v_cmp_eq_u64_e32 vcc_lo, v[4:5], v[27:28]
	s_or_b32 s21, vcc_lo, s21
	s_andn2_b32 exec_lo, exec_lo, s21
	s_cbranch_execnz .LBB6_1052
; %bb.1053:                             ;   in Loop: Header=BB6_1000 Depth=1
	s_or_b32 exec_lo, exec_lo, s21
.LBB6_1054:                             ;   in Loop: Header=BB6_1000 Depth=1
	s_or_b32 exec_lo, exec_lo, s20
.LBB6_1055:                             ;   in Loop: Header=BB6_1000 Depth=1
	s_or_b32 exec_lo, exec_lo, s5
	s_clause 0x1
	global_load_dwordx2 v[9:10], v6, s[6:7] offset:40
	global_load_dwordx4 v[25:28], v6, s[6:7]
	v_readfirstlane_b32 s20, v4
	v_readfirstlane_b32 s21, v5
	s_mov_b32 s5, exec_lo
	s_waitcnt vmcnt(1)
	v_readfirstlane_b32 s22, v9
	v_readfirstlane_b32 s23, v10
	s_and_b64 s[22:23], s[20:21], s[22:23]
	s_mul_i32 s25, s23, 24
	s_mul_hi_u32 s26, s22, 24
	s_mul_i32 s27, s22, 24
	s_add_i32 s26, s26, s25
	s_waitcnt vmcnt(0)
	v_add_co_u32 v29, vcc_lo, v25, s27
	v_add_co_ci_u32_e32 v30, vcc_lo, s26, v26, vcc_lo
	s_and_saveexec_b32 s25, s4
	s_cbranch_execz .LBB6_1057
; %bb.1056:                             ;   in Loop: Header=BB6_1000 Depth=1
	v_mov_b32_e32 v5, s5
	global_store_dwordx4 v[29:30], v[5:8], off offset:8
.LBB6_1057:                             ;   in Loop: Header=BB6_1000 Depth=1
	s_or_b32 exec_lo, exec_lo, s25
	s_lshl_b64 s[22:23], s[22:23], 12
	v_cmp_gt_u64_e64 vcc_lo, s[16:17], 56
	v_or_b32_e32 v5, v2, v33
	v_add_co_u32 v27, s5, v27, s22
	v_add_co_ci_u32_e64 v28, s5, s23, v28, s5
	s_lshl_b32 s5, s18, 2
	v_or_b32_e32 v4, 0, v3
	v_cndmask_b32_e32 v2, v5, v2, vcc_lo
	s_add_i32 s5, s5, 28
	v_readfirstlane_b32 s22, v27
	s_and_b32 s5, s5, 0x1e0
	v_cndmask_b32_e32 v10, v4, v3, vcc_lo
	v_readfirstlane_b32 s23, v28
	v_and_or_b32 v9, 0xffffff1f, v2, s5
	global_store_dwordx4 v31, v[9:12], s[22:23]
	global_store_dwordx4 v31, v[13:16], s[22:23] offset:16
	global_store_dwordx4 v31, v[17:20], s[22:23] offset:32
	global_store_dwordx4 v31, v[21:24], s[22:23] offset:48
	s_and_saveexec_b32 s5, s4
	s_cbranch_execz .LBB6_1065
; %bb.1058:                             ;   in Loop: Header=BB6_1000 Depth=1
	s_clause 0x1
	global_load_dwordx2 v[13:14], v6, s[6:7] offset:32 glc dlc
	global_load_dwordx2 v[2:3], v6, s[6:7] offset:40
	v_mov_b32_e32 v11, s20
	v_mov_b32_e32 v12, s21
	s_waitcnt vmcnt(0)
	v_readfirstlane_b32 s22, v2
	v_readfirstlane_b32 s23, v3
	s_and_b64 s[22:23], s[22:23], s[20:21]
	s_mul_i32 s23, s23, 24
	s_mul_hi_u32 s25, s22, 24
	s_mul_i32 s22, s22, 24
	s_add_i32 s25, s25, s23
	v_add_co_u32 v9, vcc_lo, v25, s22
	v_add_co_ci_u32_e32 v10, vcc_lo, s25, v26, vcc_lo
	s_mov_b32 s22, exec_lo
	global_store_dwordx2 v[9:10], v[13:14], off
	s_waitcnt_vscnt null, 0x0
	global_atomic_cmpswap_x2 v[4:5], v6, v[11:14], s[6:7] offset:32 glc
	s_waitcnt vmcnt(0)
	v_cmpx_ne_u64_e64 v[4:5], v[13:14]
	s_cbranch_execz .LBB6_1061
; %bb.1059:                             ;   in Loop: Header=BB6_1000 Depth=1
	s_mov_b32 s23, 0
.LBB6_1060:                             ;   Parent Loop BB6_1000 Depth=1
                                        ; =>  This Inner Loop Header: Depth=2
	v_mov_b32_e32 v2, s20
	v_mov_b32_e32 v3, s21
	s_sleep 1
	global_store_dwordx2 v[9:10], v[4:5], off
	s_waitcnt_vscnt null, 0x0
	global_atomic_cmpswap_x2 v[2:3], v6, v[2:5], s[6:7] offset:32 glc
	s_waitcnt vmcnt(0)
	v_cmp_eq_u64_e32 vcc_lo, v[2:3], v[4:5]
	v_mov_b32_e32 v5, v3
	v_mov_b32_e32 v4, v2
	s_or_b32 s23, vcc_lo, s23
	s_andn2_b32 exec_lo, exec_lo, s23
	s_cbranch_execnz .LBB6_1060
.LBB6_1061:                             ;   in Loop: Header=BB6_1000 Depth=1
	s_or_b32 exec_lo, exec_lo, s22
	global_load_dwordx2 v[2:3], v6, s[6:7] offset:16
	s_mov_b32 s23, exec_lo
	s_mov_b32 s22, exec_lo
	v_mbcnt_lo_u32_b32 v4, s23, 0
	v_cmpx_eq_u32_e32 0, v4
	s_cbranch_execz .LBB6_1063
; %bb.1062:                             ;   in Loop: Header=BB6_1000 Depth=1
	s_bcnt1_i32_b32 s23, s23
	v_mov_b32_e32 v5, s23
	s_waitcnt vmcnt(0)
	global_atomic_add_x2 v[2:3], v[5:6], off offset:8
.LBB6_1063:                             ;   in Loop: Header=BB6_1000 Depth=1
	s_or_b32 exec_lo, exec_lo, s22
	s_waitcnt vmcnt(0)
	global_load_dwordx2 v[9:10], v[2:3], off offset:16
	s_waitcnt vmcnt(0)
	v_cmp_eq_u64_e32 vcc_lo, 0, v[9:10]
	s_cbranch_vccnz .LBB6_1065
; %bb.1064:                             ;   in Loop: Header=BB6_1000 Depth=1
	global_load_dword v5, v[2:3], off offset:24
	s_waitcnt vmcnt(0)
	v_and_b32_e32 v2, 0x7fffff, v5
	s_waitcnt_vscnt null, 0x0
	global_store_dwordx2 v[9:10], v[5:6], off
	v_readfirstlane_b32 m0, v2
	s_sendmsg sendmsg(MSG_INTERRUPT)
.LBB6_1065:                             ;   in Loop: Header=BB6_1000 Depth=1
	s_or_b32 exec_lo, exec_lo, s5
	v_add_co_u32 v2, vcc_lo, v27, v31
	v_add_co_ci_u32_e32 v3, vcc_lo, 0, v28, vcc_lo
	s_branch .LBB6_1069
	.p2align	6
.LBB6_1066:                             ;   in Loop: Header=BB6_1069 Depth=2
	s_or_b32 exec_lo, exec_lo, s5
	v_readfirstlane_b32 s5, v4
	s_cmp_eq_u32 s5, 0
	s_cbranch_scc1 .LBB6_1068
; %bb.1067:                             ;   in Loop: Header=BB6_1069 Depth=2
	s_sleep 1
	s_cbranch_execnz .LBB6_1069
	s_branch .LBB6_1071
	.p2align	6
.LBB6_1068:                             ;   in Loop: Header=BB6_1000 Depth=1
	s_branch .LBB6_1071
.LBB6_1069:                             ;   Parent Loop BB6_1000 Depth=1
                                        ; =>  This Inner Loop Header: Depth=2
	v_mov_b32_e32 v4, 1
	s_and_saveexec_b32 s5, s4
	s_cbranch_execz .LBB6_1066
; %bb.1070:                             ;   in Loop: Header=BB6_1069 Depth=2
	global_load_dword v4, v[29:30], off offset:20 glc dlc
	s_waitcnt vmcnt(0)
	buffer_gl1_inv
	buffer_gl0_inv
	v_and_b32_e32 v4, 1, v4
	s_branch .LBB6_1066
.LBB6_1071:                             ;   in Loop: Header=BB6_1000 Depth=1
	global_load_dwordx4 v[2:5], v[2:3], off
	s_and_saveexec_b32 s5, s4
	s_cbranch_execz .LBB6_999
; %bb.1072:                             ;   in Loop: Header=BB6_1000 Depth=1
	s_clause 0x2
	global_load_dwordx2 v[4:5], v6, s[6:7] offset:40
	global_load_dwordx2 v[13:14], v6, s[6:7] offset:24 glc dlc
	global_load_dwordx2 v[11:12], v6, s[6:7]
	s_waitcnt vmcnt(2)
	v_add_co_u32 v15, vcc_lo, v4, 1
	v_add_co_ci_u32_e32 v16, vcc_lo, 0, v5, vcc_lo
	v_add_co_u32 v9, vcc_lo, v15, s20
	v_add_co_ci_u32_e32 v10, vcc_lo, s21, v16, vcc_lo
	v_cmp_eq_u64_e32 vcc_lo, 0, v[9:10]
	v_cndmask_b32_e32 v10, v10, v16, vcc_lo
	v_cndmask_b32_e32 v9, v9, v15, vcc_lo
	v_and_b32_e32 v5, v10, v5
	v_and_b32_e32 v4, v9, v4
	v_mul_lo_u32 v5, v5, 24
	v_mul_hi_u32 v15, v4, 24
	v_mul_lo_u32 v4, v4, 24
	v_add_nc_u32_e32 v5, v15, v5
	s_waitcnt vmcnt(0)
	v_add_co_u32 v4, vcc_lo, v11, v4
	v_mov_b32_e32 v11, v13
	v_add_co_ci_u32_e32 v5, vcc_lo, v12, v5, vcc_lo
	v_mov_b32_e32 v12, v14
	global_store_dwordx2 v[4:5], v[13:14], off
	s_waitcnt_vscnt null, 0x0
	global_atomic_cmpswap_x2 v[11:12], v6, v[9:12], s[6:7] offset:24 glc
	s_waitcnt vmcnt(0)
	v_cmp_ne_u64_e32 vcc_lo, v[11:12], v[13:14]
	s_and_b32 exec_lo, exec_lo, vcc_lo
	s_cbranch_execz .LBB6_999
; %bb.1073:                             ;   in Loop: Header=BB6_1000 Depth=1
	s_mov_b32 s4, 0
.LBB6_1074:                             ;   Parent Loop BB6_1000 Depth=1
                                        ; =>  This Inner Loop Header: Depth=2
	s_sleep 1
	global_store_dwordx2 v[4:5], v[11:12], off
	s_waitcnt_vscnt null, 0x0
	global_atomic_cmpswap_x2 v[13:14], v6, v[9:12], s[6:7] offset:24 glc
	s_waitcnt vmcnt(0)
	v_cmp_eq_u64_e32 vcc_lo, v[13:14], v[11:12]
	v_mov_b32_e32 v11, v13
	v_mov_b32_e32 v12, v14
	s_or_b32 s4, vcc_lo, s4
	s_andn2_b32 exec_lo, exec_lo, s4
	s_cbranch_execnz .LBB6_1074
	s_branch .LBB6_999
.LBB6_1075:
	s_branch .LBB6_1104
.LBB6_1076:
                                        ; implicit-def: $vgpr2_vgpr3
	s_cbranch_execz .LBB6_1104
; %bb.1077:
	v_readfirstlane_b32 s4, v32
	v_mov_b32_e32 v8, 0
	v_mov_b32_e32 v9, 0
	v_cmp_eq_u32_e64 s4, s4, v32
	s_and_saveexec_b32 s5, s4
	s_cbranch_execz .LBB6_1083
; %bb.1078:
	s_waitcnt vmcnt(0)
	v_mov_b32_e32 v2, 0
	s_mov_b32 s10, exec_lo
	global_load_dwordx2 v[5:6], v2, s[6:7] offset:24 glc dlc
	s_waitcnt vmcnt(0)
	buffer_gl1_inv
	buffer_gl0_inv
	s_clause 0x1
	global_load_dwordx2 v[3:4], v2, s[6:7] offset:40
	global_load_dwordx2 v[7:8], v2, s[6:7]
	s_waitcnt vmcnt(1)
	v_and_b32_e32 v4, v4, v6
	v_and_b32_e32 v3, v3, v5
	v_mul_lo_u32 v4, v4, 24
	v_mul_hi_u32 v9, v3, 24
	v_mul_lo_u32 v3, v3, 24
	v_add_nc_u32_e32 v4, v9, v4
	s_waitcnt vmcnt(0)
	v_add_co_u32 v3, vcc_lo, v7, v3
	v_add_co_ci_u32_e32 v4, vcc_lo, v8, v4, vcc_lo
	global_load_dwordx2 v[3:4], v[3:4], off glc dlc
	s_waitcnt vmcnt(0)
	global_atomic_cmpswap_x2 v[8:9], v2, v[3:6], s[6:7] offset:24 glc
	s_waitcnt vmcnt(0)
	buffer_gl1_inv
	buffer_gl0_inv
	v_cmpx_ne_u64_e64 v[8:9], v[5:6]
	s_cbranch_execz .LBB6_1082
; %bb.1079:
	s_mov_b32 s11, 0
	.p2align	6
.LBB6_1080:                             ; =>This Inner Loop Header: Depth=1
	s_sleep 1
	s_clause 0x1
	global_load_dwordx2 v[3:4], v2, s[6:7] offset:40
	global_load_dwordx2 v[10:11], v2, s[6:7]
	v_mov_b32_e32 v5, v8
	v_mov_b32_e32 v6, v9
	s_waitcnt vmcnt(1)
	v_and_b32_e32 v3, v3, v5
	v_and_b32_e32 v4, v4, v6
	s_waitcnt vmcnt(0)
	v_mad_u64_u32 v[7:8], null, v3, 24, v[10:11]
	v_mov_b32_e32 v3, v8
	v_mad_u64_u32 v[3:4], null, v4, 24, v[3:4]
	v_mov_b32_e32 v8, v3
	global_load_dwordx2 v[3:4], v[7:8], off glc dlc
	s_waitcnt vmcnt(0)
	global_atomic_cmpswap_x2 v[8:9], v2, v[3:6], s[6:7] offset:24 glc
	s_waitcnt vmcnt(0)
	buffer_gl1_inv
	buffer_gl0_inv
	v_cmp_eq_u64_e32 vcc_lo, v[8:9], v[5:6]
	s_or_b32 s11, vcc_lo, s11
	s_andn2_b32 exec_lo, exec_lo, s11
	s_cbranch_execnz .LBB6_1080
; %bb.1081:
	s_or_b32 exec_lo, exec_lo, s11
.LBB6_1082:
	s_or_b32 exec_lo, exec_lo, s10
.LBB6_1083:
	s_or_b32 exec_lo, exec_lo, s5
	s_waitcnt vmcnt(0)
	v_mov_b32_e32 v2, 0
	v_readfirstlane_b32 s10, v8
	v_readfirstlane_b32 s11, v9
	s_mov_b32 s5, exec_lo
	s_clause 0x1
	global_load_dwordx2 v[10:11], v2, s[6:7] offset:40
	global_load_dwordx4 v[4:7], v2, s[6:7]
	s_waitcnt vmcnt(1)
	v_readfirstlane_b32 s16, v10
	v_readfirstlane_b32 s17, v11
	s_and_b64 s[16:17], s[10:11], s[16:17]
	s_mul_i32 s18, s17, 24
	s_mul_hi_u32 s19, s16, 24
	s_mul_i32 s20, s16, 24
	s_add_i32 s19, s19, s18
	s_waitcnt vmcnt(0)
	v_add_co_u32 v8, vcc_lo, v4, s20
	v_add_co_ci_u32_e32 v9, vcc_lo, s19, v5, vcc_lo
	s_and_saveexec_b32 s18, s4
	s_cbranch_execz .LBB6_1085
; %bb.1084:
	v_mov_b32_e32 v10, s5
	v_mov_b32_e32 v11, v2
	;; [unrolled: 1-line block ×4, first 2 shown]
	global_store_dwordx4 v[8:9], v[10:13], off offset:8
.LBB6_1085:
	s_or_b32 exec_lo, exec_lo, s18
	s_lshl_b64 s[16:17], s[16:17], 12
	v_and_or_b32 v0, 0xffffff1f, v0, 32
	v_add_co_u32 v6, vcc_lo, v6, s16
	v_add_co_ci_u32_e32 v7, vcc_lo, s17, v7, vcc_lo
	s_mov_b32 s16, 0
	v_readfirstlane_b32 s20, v6
	v_add_co_u32 v6, vcc_lo, v6, v31
	s_mov_b32 s17, s16
	s_mov_b32 s18, s16
	;; [unrolled: 1-line block ×3, first 2 shown]
	v_mov_b32_e32 v3, v2
	v_readfirstlane_b32 s21, v7
	v_mov_b32_e32 v10, s16
	v_add_co_ci_u32_e32 v7, vcc_lo, 0, v7, vcc_lo
	v_mov_b32_e32 v11, s17
	v_mov_b32_e32 v12, s18
	;; [unrolled: 1-line block ×3, first 2 shown]
	global_store_dwordx4 v31, v[0:3], s[20:21]
	global_store_dwordx4 v31, v[10:13], s[20:21] offset:16
	global_store_dwordx4 v31, v[10:13], s[20:21] offset:32
	;; [unrolled: 1-line block ×3, first 2 shown]
	s_and_saveexec_b32 s5, s4
	s_cbranch_execz .LBB6_1093
; %bb.1086:
	v_mov_b32_e32 v10, 0
	v_mov_b32_e32 v11, s10
	;; [unrolled: 1-line block ×3, first 2 shown]
	s_clause 0x1
	global_load_dwordx2 v[13:14], v10, s[6:7] offset:32 glc dlc
	global_load_dwordx2 v[0:1], v10, s[6:7] offset:40
	s_waitcnt vmcnt(0)
	v_readfirstlane_b32 s16, v0
	v_readfirstlane_b32 s17, v1
	s_and_b64 s[16:17], s[16:17], s[10:11]
	s_mul_i32 s17, s17, 24
	s_mul_hi_u32 s18, s16, 24
	s_mul_i32 s16, s16, 24
	s_add_i32 s18, s18, s17
	v_add_co_u32 v4, vcc_lo, v4, s16
	v_add_co_ci_u32_e32 v5, vcc_lo, s18, v5, vcc_lo
	s_mov_b32 s16, exec_lo
	global_store_dwordx2 v[4:5], v[13:14], off
	s_waitcnt_vscnt null, 0x0
	global_atomic_cmpswap_x2 v[2:3], v10, v[11:14], s[6:7] offset:32 glc
	s_waitcnt vmcnt(0)
	v_cmpx_ne_u64_e64 v[2:3], v[13:14]
	s_cbranch_execz .LBB6_1089
; %bb.1087:
	s_mov_b32 s17, 0
.LBB6_1088:                             ; =>This Inner Loop Header: Depth=1
	v_mov_b32_e32 v0, s10
	v_mov_b32_e32 v1, s11
	s_sleep 1
	global_store_dwordx2 v[4:5], v[2:3], off
	s_waitcnt_vscnt null, 0x0
	global_atomic_cmpswap_x2 v[0:1], v10, v[0:3], s[6:7] offset:32 glc
	s_waitcnt vmcnt(0)
	v_cmp_eq_u64_e32 vcc_lo, v[0:1], v[2:3]
	v_mov_b32_e32 v3, v1
	v_mov_b32_e32 v2, v0
	s_or_b32 s17, vcc_lo, s17
	s_andn2_b32 exec_lo, exec_lo, s17
	s_cbranch_execnz .LBB6_1088
.LBB6_1089:
	s_or_b32 exec_lo, exec_lo, s16
	v_mov_b32_e32 v3, 0
	s_mov_b32 s17, exec_lo
	s_mov_b32 s16, exec_lo
	v_mbcnt_lo_u32_b32 v2, s17, 0
	global_load_dwordx2 v[0:1], v3, s[6:7] offset:16
	v_cmpx_eq_u32_e32 0, v2
	s_cbranch_execz .LBB6_1091
; %bb.1090:
	s_bcnt1_i32_b32 s17, s17
	v_mov_b32_e32 v2, s17
	s_waitcnt vmcnt(0)
	global_atomic_add_x2 v[0:1], v[2:3], off offset:8
.LBB6_1091:
	s_or_b32 exec_lo, exec_lo, s16
	s_waitcnt vmcnt(0)
	global_load_dwordx2 v[2:3], v[0:1], off offset:16
	s_waitcnt vmcnt(0)
	v_cmp_eq_u64_e32 vcc_lo, 0, v[2:3]
	s_cbranch_vccnz .LBB6_1093
; %bb.1092:
	global_load_dword v0, v[0:1], off offset:24
	v_mov_b32_e32 v1, 0
	s_waitcnt vmcnt(0)
	v_and_b32_e32 v4, 0x7fffff, v0
	s_waitcnt_vscnt null, 0x0
	global_store_dwordx2 v[2:3], v[0:1], off
	v_readfirstlane_b32 m0, v4
	s_sendmsg sendmsg(MSG_INTERRUPT)
.LBB6_1093:
	s_or_b32 exec_lo, exec_lo, s5
	s_branch .LBB6_1097
	.p2align	6
.LBB6_1094:                             ;   in Loop: Header=BB6_1097 Depth=1
	s_or_b32 exec_lo, exec_lo, s5
	v_readfirstlane_b32 s5, v0
	s_cmp_eq_u32 s5, 0
	s_cbranch_scc1 .LBB6_1096
; %bb.1095:                             ;   in Loop: Header=BB6_1097 Depth=1
	s_sleep 1
	s_cbranch_execnz .LBB6_1097
	s_branch .LBB6_1099
	.p2align	6
.LBB6_1096:
	s_branch .LBB6_1099
.LBB6_1097:                             ; =>This Inner Loop Header: Depth=1
	v_mov_b32_e32 v0, 1
	s_and_saveexec_b32 s5, s4
	s_cbranch_execz .LBB6_1094
; %bb.1098:                             ;   in Loop: Header=BB6_1097 Depth=1
	global_load_dword v0, v[8:9], off offset:20 glc dlc
	s_waitcnt vmcnt(0)
	buffer_gl1_inv
	buffer_gl0_inv
	v_and_b32_e32 v0, 1, v0
	s_branch .LBB6_1094
.LBB6_1099:
	global_load_dwordx2 v[2:3], v[6:7], off
	s_and_saveexec_b32 s5, s4
	s_cbranch_execz .LBB6_1103
; %bb.1100:
	v_mov_b32_e32 v8, 0
	s_clause 0x2
	global_load_dwordx2 v[0:1], v8, s[6:7] offset:40
	global_load_dwordx2 v[9:10], v8, s[6:7] offset:24 glc dlc
	global_load_dwordx2 v[6:7], v8, s[6:7]
	s_waitcnt vmcnt(2)
	v_add_co_u32 v11, vcc_lo, v0, 1
	v_add_co_ci_u32_e32 v12, vcc_lo, 0, v1, vcc_lo
	v_add_co_u32 v4, vcc_lo, v11, s10
	v_add_co_ci_u32_e32 v5, vcc_lo, s11, v12, vcc_lo
	v_cmp_eq_u64_e32 vcc_lo, 0, v[4:5]
	v_cndmask_b32_e32 v5, v5, v12, vcc_lo
	v_cndmask_b32_e32 v4, v4, v11, vcc_lo
	v_and_b32_e32 v1, v5, v1
	v_and_b32_e32 v0, v4, v0
	v_mul_lo_u32 v1, v1, 24
	v_mul_hi_u32 v11, v0, 24
	v_mul_lo_u32 v0, v0, 24
	v_add_nc_u32_e32 v1, v11, v1
	s_waitcnt vmcnt(0)
	v_add_co_u32 v0, vcc_lo, v6, v0
	v_mov_b32_e32 v6, v9
	v_add_co_ci_u32_e32 v1, vcc_lo, v7, v1, vcc_lo
	v_mov_b32_e32 v7, v10
	global_store_dwordx2 v[0:1], v[9:10], off
	s_waitcnt_vscnt null, 0x0
	global_atomic_cmpswap_x2 v[6:7], v8, v[4:7], s[6:7] offset:24 glc
	s_waitcnt vmcnt(0)
	v_cmp_ne_u64_e32 vcc_lo, v[6:7], v[9:10]
	s_and_b32 exec_lo, exec_lo, vcc_lo
	s_cbranch_execz .LBB6_1103
; %bb.1101:
	s_mov_b32 s4, 0
.LBB6_1102:                             ; =>This Inner Loop Header: Depth=1
	s_sleep 1
	global_store_dwordx2 v[0:1], v[6:7], off
	s_waitcnt_vscnt null, 0x0
	global_atomic_cmpswap_x2 v[9:10], v8, v[4:7], s[6:7] offset:24 glc
	s_waitcnt vmcnt(0)
	v_cmp_eq_u64_e32 vcc_lo, v[9:10], v[6:7]
	v_mov_b32_e32 v6, v9
	v_mov_b32_e32 v7, v10
	s_or_b32 s4, vcc_lo, s4
	s_andn2_b32 exec_lo, exec_lo, s4
	s_cbranch_execnz .LBB6_1102
.LBB6_1103:
	s_or_b32 exec_lo, exec_lo, s5
.LBB6_1104:
	v_readfirstlane_b32 s4, v32
	s_waitcnt vmcnt(0)
	v_mov_b32_e32 v0, 0
	v_mov_b32_e32 v1, 0
	v_cmp_eq_u32_e64 s4, s4, v32
	s_and_saveexec_b32 s5, s4
	s_cbranch_execz .LBB6_1110
; %bb.1105:
	v_mov_b32_e32 v4, 0
	s_mov_b32 s10, exec_lo
	global_load_dwordx2 v[7:8], v4, s[6:7] offset:24 glc dlc
	s_waitcnt vmcnt(0)
	buffer_gl1_inv
	buffer_gl0_inv
	s_clause 0x1
	global_load_dwordx2 v[0:1], v4, s[6:7] offset:40
	global_load_dwordx2 v[5:6], v4, s[6:7]
	s_waitcnt vmcnt(1)
	v_and_b32_e32 v1, v1, v8
	v_and_b32_e32 v0, v0, v7
	v_mul_lo_u32 v1, v1, 24
	v_mul_hi_u32 v9, v0, 24
	v_mul_lo_u32 v0, v0, 24
	v_add_nc_u32_e32 v1, v9, v1
	s_waitcnt vmcnt(0)
	v_add_co_u32 v0, vcc_lo, v5, v0
	v_add_co_ci_u32_e32 v1, vcc_lo, v6, v1, vcc_lo
	global_load_dwordx2 v[5:6], v[0:1], off glc dlc
	s_waitcnt vmcnt(0)
	global_atomic_cmpswap_x2 v[0:1], v4, v[5:8], s[6:7] offset:24 glc
	s_waitcnt vmcnt(0)
	buffer_gl1_inv
	buffer_gl0_inv
	v_cmpx_ne_u64_e64 v[0:1], v[7:8]
	s_cbranch_execz .LBB6_1109
; %bb.1106:
	s_mov_b32 s11, 0
	.p2align	6
.LBB6_1107:                             ; =>This Inner Loop Header: Depth=1
	s_sleep 1
	s_clause 0x1
	global_load_dwordx2 v[5:6], v4, s[6:7] offset:40
	global_load_dwordx2 v[9:10], v4, s[6:7]
	v_mov_b32_e32 v8, v1
	v_mov_b32_e32 v7, v0
	s_waitcnt vmcnt(1)
	v_and_b32_e32 v0, v5, v7
	v_and_b32_e32 v5, v6, v8
	s_waitcnt vmcnt(0)
	v_mad_u64_u32 v[0:1], null, v0, 24, v[9:10]
	v_mad_u64_u32 v[5:6], null, v5, 24, v[1:2]
	v_mov_b32_e32 v1, v5
	global_load_dwordx2 v[5:6], v[0:1], off glc dlc
	s_waitcnt vmcnt(0)
	global_atomic_cmpswap_x2 v[0:1], v4, v[5:8], s[6:7] offset:24 glc
	s_waitcnt vmcnt(0)
	buffer_gl1_inv
	buffer_gl0_inv
	v_cmp_eq_u64_e32 vcc_lo, v[0:1], v[7:8]
	s_or_b32 s11, vcc_lo, s11
	s_andn2_b32 exec_lo, exec_lo, s11
	s_cbranch_execnz .LBB6_1107
; %bb.1108:
	s_or_b32 exec_lo, exec_lo, s11
.LBB6_1109:
	s_or_b32 exec_lo, exec_lo, s10
.LBB6_1110:
	s_or_b32 exec_lo, exec_lo, s5
	v_mov_b32_e32 v5, 0
	v_readfirstlane_b32 s10, v0
	v_readfirstlane_b32 s11, v1
	s_mov_b32 s5, exec_lo
	s_clause 0x1
	global_load_dwordx2 v[10:11], v5, s[6:7] offset:40
	global_load_dwordx4 v[6:9], v5, s[6:7]
	s_waitcnt vmcnt(1)
	v_readfirstlane_b32 s16, v10
	v_readfirstlane_b32 s17, v11
	s_and_b64 s[16:17], s[10:11], s[16:17]
	s_mul_i32 s18, s17, 24
	s_mul_hi_u32 s19, s16, 24
	s_mul_i32 s20, s16, 24
	s_add_i32 s19, s19, s18
	s_waitcnt vmcnt(0)
	v_add_co_u32 v10, vcc_lo, v6, s20
	v_add_co_ci_u32_e32 v11, vcc_lo, s19, v7, vcc_lo
	s_and_saveexec_b32 s18, s4
	s_cbranch_execz .LBB6_1112
; %bb.1111:
	v_mov_b32_e32 v4, s5
	v_mov_b32_e32 v13, v5
	;; [unrolled: 1-line block ×5, first 2 shown]
	global_store_dwordx4 v[10:11], v[12:15], off offset:8
.LBB6_1112:
	s_or_b32 exec_lo, exec_lo, s18
	s_lshl_b64 s[16:17], s[16:17], 12
	v_and_or_b32 v2, 0xffffff1d, v2, 34
	v_add_co_u32 v0, vcc_lo, v8, s16
	v_add_co_ci_u32_e32 v1, vcc_lo, s17, v9, vcc_lo
	s_mov_b32 s16, 0
	v_mov_b32_e32 v4, 58
	s_mov_b32 s17, s16
	s_mov_b32 s18, s16
	;; [unrolled: 1-line block ×3, first 2 shown]
	v_readfirstlane_b32 s20, v0
	v_readfirstlane_b32 s21, v1
	v_mov_b32_e32 v12, s16
	v_mov_b32_e32 v13, s17
	;; [unrolled: 1-line block ×4, first 2 shown]
	global_store_dwordx4 v31, v[2:5], s[20:21]
	global_store_dwordx4 v31, v[12:15], s[20:21] offset:16
	global_store_dwordx4 v31, v[12:15], s[20:21] offset:32
	;; [unrolled: 1-line block ×3, first 2 shown]
	s_and_saveexec_b32 s5, s4
	s_cbranch_execz .LBB6_1120
; %bb.1113:
	v_mov_b32_e32 v8, 0
	v_mov_b32_e32 v12, s10
	;; [unrolled: 1-line block ×3, first 2 shown]
	s_clause 0x1
	global_load_dwordx2 v[14:15], v8, s[6:7] offset:32 glc dlc
	global_load_dwordx2 v[0:1], v8, s[6:7] offset:40
	s_waitcnt vmcnt(0)
	v_readfirstlane_b32 s16, v0
	v_readfirstlane_b32 s17, v1
	s_and_b64 s[16:17], s[16:17], s[10:11]
	s_mul_i32 s17, s17, 24
	s_mul_hi_u32 s18, s16, 24
	s_mul_i32 s16, s16, 24
	s_add_i32 s18, s18, s17
	v_add_co_u32 v4, vcc_lo, v6, s16
	v_add_co_ci_u32_e32 v5, vcc_lo, s18, v7, vcc_lo
	s_mov_b32 s16, exec_lo
	global_store_dwordx2 v[4:5], v[14:15], off
	s_waitcnt_vscnt null, 0x0
	global_atomic_cmpswap_x2 v[2:3], v8, v[12:15], s[6:7] offset:32 glc
	s_waitcnt vmcnt(0)
	v_cmpx_ne_u64_e64 v[2:3], v[14:15]
	s_cbranch_execz .LBB6_1116
; %bb.1114:
	s_mov_b32 s17, 0
.LBB6_1115:                             ; =>This Inner Loop Header: Depth=1
	v_mov_b32_e32 v0, s10
	v_mov_b32_e32 v1, s11
	s_sleep 1
	global_store_dwordx2 v[4:5], v[2:3], off
	s_waitcnt_vscnt null, 0x0
	global_atomic_cmpswap_x2 v[0:1], v8, v[0:3], s[6:7] offset:32 glc
	s_waitcnt vmcnt(0)
	v_cmp_eq_u64_e32 vcc_lo, v[0:1], v[2:3]
	v_mov_b32_e32 v3, v1
	v_mov_b32_e32 v2, v0
	s_or_b32 s17, vcc_lo, s17
	s_andn2_b32 exec_lo, exec_lo, s17
	s_cbranch_execnz .LBB6_1115
.LBB6_1116:
	s_or_b32 exec_lo, exec_lo, s16
	v_mov_b32_e32 v3, 0
	s_mov_b32 s17, exec_lo
	s_mov_b32 s16, exec_lo
	v_mbcnt_lo_u32_b32 v2, s17, 0
	global_load_dwordx2 v[0:1], v3, s[6:7] offset:16
	v_cmpx_eq_u32_e32 0, v2
	s_cbranch_execz .LBB6_1118
; %bb.1117:
	s_bcnt1_i32_b32 s17, s17
	v_mov_b32_e32 v2, s17
	s_waitcnt vmcnt(0)
	global_atomic_add_x2 v[0:1], v[2:3], off offset:8
.LBB6_1118:
	s_or_b32 exec_lo, exec_lo, s16
	s_waitcnt vmcnt(0)
	global_load_dwordx2 v[2:3], v[0:1], off offset:16
	s_waitcnt vmcnt(0)
	v_cmp_eq_u64_e32 vcc_lo, 0, v[2:3]
	s_cbranch_vccnz .LBB6_1120
; %bb.1119:
	global_load_dword v0, v[0:1], off offset:24
	v_mov_b32_e32 v1, 0
	s_waitcnt vmcnt(0)
	v_and_b32_e32 v4, 0x7fffff, v0
	s_waitcnt_vscnt null, 0x0
	global_store_dwordx2 v[2:3], v[0:1], off
	v_readfirstlane_b32 m0, v4
	s_sendmsg sendmsg(MSG_INTERRUPT)
.LBB6_1120:
	s_or_b32 exec_lo, exec_lo, s5
	s_branch .LBB6_1124
	.p2align	6
.LBB6_1121:                             ;   in Loop: Header=BB6_1124 Depth=1
	s_or_b32 exec_lo, exec_lo, s5
	v_readfirstlane_b32 s5, v0
	s_cmp_eq_u32 s5, 0
	s_cbranch_scc1 .LBB6_1123
; %bb.1122:                             ;   in Loop: Header=BB6_1124 Depth=1
	s_sleep 1
	s_cbranch_execnz .LBB6_1124
	s_branch .LBB6_1126
	.p2align	6
.LBB6_1123:
	s_branch .LBB6_1126
.LBB6_1124:                             ; =>This Inner Loop Header: Depth=1
	v_mov_b32_e32 v0, 1
	s_and_saveexec_b32 s5, s4
	s_cbranch_execz .LBB6_1121
; %bb.1125:                             ;   in Loop: Header=BB6_1124 Depth=1
	global_load_dword v0, v[10:11], off offset:20 glc dlc
	s_waitcnt vmcnt(0)
	buffer_gl1_inv
	buffer_gl0_inv
	v_and_b32_e32 v0, 1, v0
	s_branch .LBB6_1121
.LBB6_1126:
	s_and_saveexec_b32 s5, s4
	s_cbranch_execz .LBB6_1130
; %bb.1127:
	v_mov_b32_e32 v6, 0
	s_clause 0x2
	global_load_dwordx2 v[2:3], v6, s[6:7] offset:40
	global_load_dwordx2 v[7:8], v6, s[6:7] offset:24 glc dlc
	global_load_dwordx2 v[4:5], v6, s[6:7]
	s_waitcnt vmcnt(2)
	v_add_co_u32 v9, vcc_lo, v2, 1
	v_add_co_ci_u32_e32 v10, vcc_lo, 0, v3, vcc_lo
	v_add_co_u32 v0, vcc_lo, v9, s10
	v_add_co_ci_u32_e32 v1, vcc_lo, s11, v10, vcc_lo
	v_cmp_eq_u64_e32 vcc_lo, 0, v[0:1]
	v_cndmask_b32_e32 v1, v1, v10, vcc_lo
	v_cndmask_b32_e32 v0, v0, v9, vcc_lo
	v_and_b32_e32 v3, v1, v3
	v_and_b32_e32 v2, v0, v2
	v_mul_lo_u32 v3, v3, 24
	v_mul_hi_u32 v9, v2, 24
	v_mul_lo_u32 v2, v2, 24
	v_add_nc_u32_e32 v3, v9, v3
	s_waitcnt vmcnt(0)
	v_add_co_u32 v4, vcc_lo, v4, v2
	v_mov_b32_e32 v2, v7
	v_add_co_ci_u32_e32 v5, vcc_lo, v5, v3, vcc_lo
	v_mov_b32_e32 v3, v8
	global_store_dwordx2 v[4:5], v[7:8], off
	s_waitcnt_vscnt null, 0x0
	global_atomic_cmpswap_x2 v[2:3], v6, v[0:3], s[6:7] offset:24 glc
	s_waitcnt vmcnt(0)
	v_cmp_ne_u64_e32 vcc_lo, v[2:3], v[7:8]
	s_and_b32 exec_lo, exec_lo, vcc_lo
	s_cbranch_execz .LBB6_1130
; %bb.1128:
	s_mov_b32 s4, 0
.LBB6_1129:                             ; =>This Inner Loop Header: Depth=1
	s_sleep 1
	global_store_dwordx2 v[4:5], v[2:3], off
	s_waitcnt_vscnt null, 0x0
	global_atomic_cmpswap_x2 v[7:8], v6, v[0:3], s[6:7] offset:24 glc
	s_waitcnt vmcnt(0)
	v_cmp_eq_u64_e32 vcc_lo, v[7:8], v[2:3]
	v_mov_b32_e32 v2, v7
	v_mov_b32_e32 v3, v8
	s_or_b32 s4, vcc_lo, s4
	s_andn2_b32 exec_lo, exec_lo, s4
	s_cbranch_execnz .LBB6_1129
.LBB6_1130:
	s_or_b32 exec_lo, exec_lo, s5
	v_readfirstlane_b32 s4, v32
	v_mov_b32_e32 v6, 0
	v_mov_b32_e32 v7, 0
	v_cmp_eq_u32_e64 s4, s4, v32
	s_and_saveexec_b32 s5, s4
	s_cbranch_execz .LBB6_1136
; %bb.1131:
	v_mov_b32_e32 v0, 0
	s_mov_b32 s10, exec_lo
	global_load_dwordx2 v[3:4], v0, s[6:7] offset:24 glc dlc
	s_waitcnt vmcnt(0)
	buffer_gl1_inv
	buffer_gl0_inv
	s_clause 0x1
	global_load_dwordx2 v[1:2], v0, s[6:7] offset:40
	global_load_dwordx2 v[5:6], v0, s[6:7]
	s_waitcnt vmcnt(1)
	v_and_b32_e32 v2, v2, v4
	v_and_b32_e32 v1, v1, v3
	v_mul_lo_u32 v2, v2, 24
	v_mul_hi_u32 v7, v1, 24
	v_mul_lo_u32 v1, v1, 24
	v_add_nc_u32_e32 v2, v7, v2
	s_waitcnt vmcnt(0)
	v_add_co_u32 v1, vcc_lo, v5, v1
	v_add_co_ci_u32_e32 v2, vcc_lo, v6, v2, vcc_lo
	global_load_dwordx2 v[1:2], v[1:2], off glc dlc
	s_waitcnt vmcnt(0)
	global_atomic_cmpswap_x2 v[6:7], v0, v[1:4], s[6:7] offset:24 glc
	s_waitcnt vmcnt(0)
	buffer_gl1_inv
	buffer_gl0_inv
	v_cmpx_ne_u64_e64 v[6:7], v[3:4]
	s_cbranch_execz .LBB6_1135
; %bb.1132:
	s_mov_b32 s11, 0
	.p2align	6
.LBB6_1133:                             ; =>This Inner Loop Header: Depth=1
	s_sleep 1
	s_clause 0x1
	global_load_dwordx2 v[1:2], v0, s[6:7] offset:40
	global_load_dwordx2 v[8:9], v0, s[6:7]
	v_mov_b32_e32 v3, v6
	v_mov_b32_e32 v4, v7
	s_waitcnt vmcnt(1)
	v_and_b32_e32 v1, v1, v3
	v_and_b32_e32 v2, v2, v4
	s_waitcnt vmcnt(0)
	v_mad_u64_u32 v[5:6], null, v1, 24, v[8:9]
	v_mov_b32_e32 v1, v6
	v_mad_u64_u32 v[1:2], null, v2, 24, v[1:2]
	v_mov_b32_e32 v6, v1
	global_load_dwordx2 v[1:2], v[5:6], off glc dlc
	s_waitcnt vmcnt(0)
	global_atomic_cmpswap_x2 v[6:7], v0, v[1:4], s[6:7] offset:24 glc
	s_waitcnt vmcnt(0)
	buffer_gl1_inv
	buffer_gl0_inv
	v_cmp_eq_u64_e32 vcc_lo, v[6:7], v[3:4]
	s_or_b32 s11, vcc_lo, s11
	s_andn2_b32 exec_lo, exec_lo, s11
	s_cbranch_execnz .LBB6_1133
; %bb.1134:
	s_or_b32 exec_lo, exec_lo, s11
.LBB6_1135:
	s_or_b32 exec_lo, exec_lo, s10
.LBB6_1136:
	s_or_b32 exec_lo, exec_lo, s5
	v_mov_b32_e32 v5, 0
	v_readfirstlane_b32 s10, v6
	v_readfirstlane_b32 s11, v7
	s_mov_b32 s5, exec_lo
	s_clause 0x1
	global_load_dwordx2 v[8:9], v5, s[6:7] offset:40
	global_load_dwordx4 v[0:3], v5, s[6:7]
	s_waitcnt vmcnt(1)
	v_readfirstlane_b32 s16, v8
	v_readfirstlane_b32 s17, v9
	s_and_b64 s[16:17], s[10:11], s[16:17]
	s_mul_i32 s18, s17, 24
	s_mul_hi_u32 s19, s16, 24
	s_mul_i32 s20, s16, 24
	s_add_i32 s19, s19, s18
	s_waitcnt vmcnt(0)
	v_add_co_u32 v8, vcc_lo, v0, s20
	v_add_co_ci_u32_e32 v9, vcc_lo, s19, v1, vcc_lo
	s_and_saveexec_b32 s18, s4
	s_cbranch_execz .LBB6_1138
; %bb.1137:
	v_mov_b32_e32 v4, s5
	v_mov_b32_e32 v6, 2
	;; [unrolled: 1-line block ×3, first 2 shown]
	global_store_dwordx4 v[8:9], v[4:7], off offset:8
.LBB6_1138:
	s_or_b32 exec_lo, exec_lo, s18
	s_lshl_b64 s[16:17], s[16:17], 12
	v_mov_b32_e32 v4, 33
	v_add_co_u32 v2, vcc_lo, v2, s16
	v_add_co_ci_u32_e32 v3, vcc_lo, s17, v3, vcc_lo
	s_mov_b32 s16, 0
	v_add_co_u32 v10, vcc_lo, v2, v31
	s_mov_b32 s17, s16
	s_mov_b32 s18, s16
	;; [unrolled: 1-line block ×3, first 2 shown]
	v_mov_b32_e32 v6, v5
	v_mov_b32_e32 v7, v5
	v_readfirstlane_b32 s20, v2
	v_readfirstlane_b32 s21, v3
	v_mov_b32_e32 v12, s16
	v_add_co_ci_u32_e32 v11, vcc_lo, 0, v3, vcc_lo
	v_mov_b32_e32 v13, s17
	v_mov_b32_e32 v14, s18
	;; [unrolled: 1-line block ×3, first 2 shown]
	global_store_dwordx4 v31, v[4:7], s[20:21]
	global_store_dwordx4 v31, v[12:15], s[20:21] offset:16
	global_store_dwordx4 v31, v[12:15], s[20:21] offset:32
	global_store_dwordx4 v31, v[12:15], s[20:21] offset:48
	s_and_saveexec_b32 s5, s4
	s_cbranch_execz .LBB6_1146
; %bb.1139:
	v_mov_b32_e32 v6, 0
	v_mov_b32_e32 v12, s10
	;; [unrolled: 1-line block ×3, first 2 shown]
	s_clause 0x1
	global_load_dwordx2 v[14:15], v6, s[6:7] offset:32 glc dlc
	global_load_dwordx2 v[2:3], v6, s[6:7] offset:40
	s_waitcnt vmcnt(0)
	v_readfirstlane_b32 s16, v2
	v_readfirstlane_b32 s17, v3
	s_and_b64 s[16:17], s[16:17], s[10:11]
	s_mul_i32 s17, s17, 24
	s_mul_hi_u32 s18, s16, 24
	s_mul_i32 s16, s16, 24
	s_add_i32 s18, s18, s17
	v_add_co_u32 v4, vcc_lo, v0, s16
	v_add_co_ci_u32_e32 v5, vcc_lo, s18, v1, vcc_lo
	s_mov_b32 s16, exec_lo
	global_store_dwordx2 v[4:5], v[14:15], off
	s_waitcnt_vscnt null, 0x0
	global_atomic_cmpswap_x2 v[2:3], v6, v[12:15], s[6:7] offset:32 glc
	s_waitcnt vmcnt(0)
	v_cmpx_ne_u64_e64 v[2:3], v[14:15]
	s_cbranch_execz .LBB6_1142
; %bb.1140:
	s_mov_b32 s17, 0
.LBB6_1141:                             ; =>This Inner Loop Header: Depth=1
	v_mov_b32_e32 v0, s10
	v_mov_b32_e32 v1, s11
	s_sleep 1
	global_store_dwordx2 v[4:5], v[2:3], off
	s_waitcnt_vscnt null, 0x0
	global_atomic_cmpswap_x2 v[0:1], v6, v[0:3], s[6:7] offset:32 glc
	s_waitcnt vmcnt(0)
	v_cmp_eq_u64_e32 vcc_lo, v[0:1], v[2:3]
	v_mov_b32_e32 v3, v1
	v_mov_b32_e32 v2, v0
	s_or_b32 s17, vcc_lo, s17
	s_andn2_b32 exec_lo, exec_lo, s17
	s_cbranch_execnz .LBB6_1141
.LBB6_1142:
	s_or_b32 exec_lo, exec_lo, s16
	v_mov_b32_e32 v3, 0
	s_mov_b32 s17, exec_lo
	s_mov_b32 s16, exec_lo
	v_mbcnt_lo_u32_b32 v2, s17, 0
	global_load_dwordx2 v[0:1], v3, s[6:7] offset:16
	v_cmpx_eq_u32_e32 0, v2
	s_cbranch_execz .LBB6_1144
; %bb.1143:
	s_bcnt1_i32_b32 s17, s17
	v_mov_b32_e32 v2, s17
	s_waitcnt vmcnt(0)
	global_atomic_add_x2 v[0:1], v[2:3], off offset:8
.LBB6_1144:
	s_or_b32 exec_lo, exec_lo, s16
	s_waitcnt vmcnt(0)
	global_load_dwordx2 v[2:3], v[0:1], off offset:16
	s_waitcnt vmcnt(0)
	v_cmp_eq_u64_e32 vcc_lo, 0, v[2:3]
	s_cbranch_vccnz .LBB6_1146
; %bb.1145:
	global_load_dword v0, v[0:1], off offset:24
	v_mov_b32_e32 v1, 0
	s_waitcnt vmcnt(0)
	v_and_b32_e32 v4, 0x7fffff, v0
	s_waitcnt_vscnt null, 0x0
	global_store_dwordx2 v[2:3], v[0:1], off
	v_readfirstlane_b32 m0, v4
	s_sendmsg sendmsg(MSG_INTERRUPT)
.LBB6_1146:
	s_or_b32 exec_lo, exec_lo, s5
	s_branch .LBB6_1150
	.p2align	6
.LBB6_1147:                             ;   in Loop: Header=BB6_1150 Depth=1
	s_or_b32 exec_lo, exec_lo, s5
	v_readfirstlane_b32 s5, v0
	s_cmp_eq_u32 s5, 0
	s_cbranch_scc1 .LBB6_1149
; %bb.1148:                             ;   in Loop: Header=BB6_1150 Depth=1
	s_sleep 1
	s_cbranch_execnz .LBB6_1150
	s_branch .LBB6_1152
	.p2align	6
.LBB6_1149:
	s_branch .LBB6_1152
.LBB6_1150:                             ; =>This Inner Loop Header: Depth=1
	v_mov_b32_e32 v0, 1
	s_and_saveexec_b32 s5, s4
	s_cbranch_execz .LBB6_1147
; %bb.1151:                             ;   in Loop: Header=BB6_1150 Depth=1
	global_load_dword v0, v[8:9], off offset:20 glc dlc
	s_waitcnt vmcnt(0)
	buffer_gl1_inv
	buffer_gl0_inv
	v_and_b32_e32 v0, 1, v0
	s_branch .LBB6_1147
.LBB6_1152:
	global_load_dwordx2 v[0:1], v[10:11], off
	s_and_saveexec_b32 s5, s4
	s_cbranch_execz .LBB6_1156
; %bb.1153:
	v_mov_b32_e32 v8, 0
	s_clause 0x2
	global_load_dwordx2 v[4:5], v8, s[6:7] offset:40
	global_load_dwordx2 v[9:10], v8, s[6:7] offset:24 glc dlc
	global_load_dwordx2 v[6:7], v8, s[6:7]
	s_waitcnt vmcnt(2)
	v_add_co_u32 v11, vcc_lo, v4, 1
	v_add_co_ci_u32_e32 v12, vcc_lo, 0, v5, vcc_lo
	v_add_co_u32 v2, vcc_lo, v11, s10
	v_add_co_ci_u32_e32 v3, vcc_lo, s11, v12, vcc_lo
	v_cmp_eq_u64_e32 vcc_lo, 0, v[2:3]
	v_cndmask_b32_e32 v3, v3, v12, vcc_lo
	v_cndmask_b32_e32 v2, v2, v11, vcc_lo
	v_and_b32_e32 v5, v3, v5
	v_and_b32_e32 v4, v2, v4
	v_mul_lo_u32 v5, v5, 24
	v_mul_hi_u32 v11, v4, 24
	v_mul_lo_u32 v4, v4, 24
	v_add_nc_u32_e32 v5, v11, v5
	s_waitcnt vmcnt(0)
	v_add_co_u32 v6, vcc_lo, v6, v4
	v_mov_b32_e32 v4, v9
	v_add_co_ci_u32_e32 v7, vcc_lo, v7, v5, vcc_lo
	v_mov_b32_e32 v5, v10
	global_store_dwordx2 v[6:7], v[9:10], off
	s_waitcnt_vscnt null, 0x0
	global_atomic_cmpswap_x2 v[4:5], v8, v[2:5], s[6:7] offset:24 glc
	s_waitcnt vmcnt(0)
	v_cmp_ne_u64_e32 vcc_lo, v[4:5], v[9:10]
	s_and_b32 exec_lo, exec_lo, vcc_lo
	s_cbranch_execz .LBB6_1156
; %bb.1154:
	s_mov_b32 s4, 0
.LBB6_1155:                             ; =>This Inner Loop Header: Depth=1
	s_sleep 1
	global_store_dwordx2 v[6:7], v[4:5], off
	s_waitcnt_vscnt null, 0x0
	global_atomic_cmpswap_x2 v[9:10], v8, v[2:5], s[6:7] offset:24 glc
	s_waitcnt vmcnt(0)
	v_cmp_eq_u64_e32 vcc_lo, v[9:10], v[4:5]
	v_mov_b32_e32 v4, v9
	v_mov_b32_e32 v5, v10
	s_or_b32 s4, vcc_lo, s4
	s_andn2_b32 exec_lo, exec_lo, s4
	s_cbranch_execnz .LBB6_1155
.LBB6_1156:
	s_or_b32 exec_lo, exec_lo, s5
	s_and_b32 vcc_lo, exec_lo, s24
	s_cbranch_vccz .LBB6_1235
; %bb.1157:
	s_waitcnt vmcnt(0)
	v_and_b32_e32 v33, 2, v0
	v_mov_b32_e32 v6, 0
	v_and_b32_e32 v2, -3, v0
	v_mov_b32_e32 v3, v1
	v_mov_b32_e32 v7, 2
	v_mov_b32_e32 v8, 1
	s_mov_b64 s[16:17], 3
	s_getpc_b64 s[10:11]
	s_add_u32 s10, s10, .str.6@rel32@lo+4
	s_addc_u32 s11, s11, .str.6@rel32@hi+12
	s_branch .LBB6_1159
.LBB6_1158:                             ;   in Loop: Header=BB6_1159 Depth=1
	s_or_b32 exec_lo, exec_lo, s5
	s_sub_u32 s16, s16, s18
	s_subb_u32 s17, s17, s19
	s_add_u32 s10, s10, s18
	s_addc_u32 s11, s11, s19
	s_cmp_lg_u64 s[16:17], 0
	s_cbranch_scc0 .LBB6_1234
.LBB6_1159:                             ; =>This Loop Header: Depth=1
                                        ;     Child Loop BB6_1168 Depth 2
                                        ;     Child Loop BB6_1164 Depth 2
                                        ;     Child Loop BB6_1176 Depth 2
                                        ;     Child Loop BB6_1183 Depth 2
                                        ;     Child Loop BB6_1190 Depth 2
                                        ;     Child Loop BB6_1197 Depth 2
                                        ;     Child Loop BB6_1204 Depth 2
                                        ;     Child Loop BB6_1211 Depth 2
                                        ;     Child Loop BB6_1219 Depth 2
                                        ;     Child Loop BB6_1228 Depth 2
                                        ;     Child Loop BB6_1233 Depth 2
	v_cmp_lt_u64_e64 s4, s[16:17], 56
	v_cmp_gt_u64_e64 s5, s[16:17], 7
                                        ; implicit-def: $vgpr11_vgpr12
                                        ; implicit-def: $sgpr24
	s_and_b32 s4, s4, exec_lo
	s_cselect_b32 s19, s17, 0
	s_cselect_b32 s18, s16, 56
	s_and_b32 vcc_lo, exec_lo, s5
	s_mov_b32 s4, -1
	s_cbranch_vccz .LBB6_1166
; %bb.1160:                             ;   in Loop: Header=BB6_1159 Depth=1
	s_andn2_b32 vcc_lo, exec_lo, s4
	s_mov_b64 s[4:5], s[10:11]
	s_cbranch_vccz .LBB6_1170
.LBB6_1161:                             ;   in Loop: Header=BB6_1159 Depth=1
	s_cmp_gt_u32 s24, 7
	s_cbranch_scc1 .LBB6_1171
.LBB6_1162:                             ;   in Loop: Header=BB6_1159 Depth=1
	v_mov_b32_e32 v13, 0
	v_mov_b32_e32 v14, 0
	s_cmp_eq_u32 s24, 0
	s_cbranch_scc1 .LBB6_1165
; %bb.1163:                             ;   in Loop: Header=BB6_1159 Depth=1
	s_mov_b64 s[20:21], 0
	s_mov_b64 s[22:23], 0
.LBB6_1164:                             ;   Parent Loop BB6_1159 Depth=1
                                        ; =>  This Inner Loop Header: Depth=2
	s_add_u32 s26, s4, s22
	s_addc_u32 s27, s5, s23
	s_add_u32 s22, s22, 1
	global_load_ubyte v4, v6, s[26:27]
	s_addc_u32 s23, s23, 0
	s_waitcnt vmcnt(0)
	v_and_b32_e32 v5, 0xffff, v4
	v_lshlrev_b64 v[4:5], s20, v[5:6]
	s_add_u32 s20, s20, 8
	s_addc_u32 s21, s21, 0
	s_cmp_lg_u32 s24, s22
	v_or_b32_e32 v13, v4, v13
	v_or_b32_e32 v14, v5, v14
	s_cbranch_scc1 .LBB6_1164
.LBB6_1165:                             ;   in Loop: Header=BB6_1159 Depth=1
	s_mov_b32 s25, 0
	s_cbranch_execz .LBB6_1172
	s_branch .LBB6_1173
.LBB6_1166:                             ;   in Loop: Header=BB6_1159 Depth=1
	v_mov_b32_e32 v11, 0
	v_mov_b32_e32 v12, 0
	s_cmp_eq_u64 s[16:17], 0
	s_mov_b64 s[4:5], 0
	s_cbranch_scc1 .LBB6_1169
; %bb.1167:                             ;   in Loop: Header=BB6_1159 Depth=1
	v_mov_b32_e32 v11, 0
	v_mov_b32_e32 v12, 0
	s_lshl_b64 s[20:21], s[18:19], 3
	s_mov_b64 s[22:23], s[10:11]
.LBB6_1168:                             ;   Parent Loop BB6_1159 Depth=1
                                        ; =>  This Inner Loop Header: Depth=2
	global_load_ubyte v4, v6, s[22:23]
	s_waitcnt vmcnt(0)
	v_and_b32_e32 v5, 0xffff, v4
	v_lshlrev_b64 v[4:5], s4, v[5:6]
	s_add_u32 s4, s4, 8
	s_addc_u32 s5, s5, 0
	s_add_u32 s22, s22, 1
	s_addc_u32 s23, s23, 0
	s_cmp_lg_u32 s20, s4
	v_or_b32_e32 v11, v4, v11
	v_or_b32_e32 v12, v5, v12
	s_cbranch_scc1 .LBB6_1168
.LBB6_1169:                             ;   in Loop: Header=BB6_1159 Depth=1
	s_mov_b32 s24, 0
	s_mov_b64 s[4:5], s[10:11]
	s_cbranch_execnz .LBB6_1161
.LBB6_1170:                             ;   in Loop: Header=BB6_1159 Depth=1
	global_load_dwordx2 v[11:12], v6, s[10:11]
	s_add_i32 s24, s18, -8
	s_add_u32 s4, s10, 8
	s_addc_u32 s5, s11, 0
	s_cmp_gt_u32 s24, 7
	s_cbranch_scc0 .LBB6_1162
.LBB6_1171:                             ;   in Loop: Header=BB6_1159 Depth=1
                                        ; implicit-def: $vgpr13_vgpr14
                                        ; implicit-def: $sgpr25
.LBB6_1172:                             ;   in Loop: Header=BB6_1159 Depth=1
	global_load_dwordx2 v[13:14], v6, s[4:5]
	s_add_i32 s25, s24, -8
	s_add_u32 s4, s4, 8
	s_addc_u32 s5, s5, 0
.LBB6_1173:                             ;   in Loop: Header=BB6_1159 Depth=1
	s_cmp_gt_u32 s25, 7
	s_cbranch_scc1 .LBB6_1178
; %bb.1174:                             ;   in Loop: Header=BB6_1159 Depth=1
	v_mov_b32_e32 v15, 0
	v_mov_b32_e32 v16, 0
	s_cmp_eq_u32 s25, 0
	s_cbranch_scc1 .LBB6_1177
; %bb.1175:                             ;   in Loop: Header=BB6_1159 Depth=1
	s_mov_b64 s[20:21], 0
	s_mov_b64 s[22:23], 0
.LBB6_1176:                             ;   Parent Loop BB6_1159 Depth=1
                                        ; =>  This Inner Loop Header: Depth=2
	s_add_u32 s26, s4, s22
	s_addc_u32 s27, s5, s23
	s_add_u32 s22, s22, 1
	global_load_ubyte v4, v6, s[26:27]
	s_addc_u32 s23, s23, 0
	s_waitcnt vmcnt(0)
	v_and_b32_e32 v5, 0xffff, v4
	v_lshlrev_b64 v[4:5], s20, v[5:6]
	s_add_u32 s20, s20, 8
	s_addc_u32 s21, s21, 0
	s_cmp_lg_u32 s25, s22
	v_or_b32_e32 v15, v4, v15
	v_or_b32_e32 v16, v5, v16
	s_cbranch_scc1 .LBB6_1176
.LBB6_1177:                             ;   in Loop: Header=BB6_1159 Depth=1
	s_mov_b32 s24, 0
	s_cbranch_execz .LBB6_1179
	s_branch .LBB6_1180
.LBB6_1178:                             ;   in Loop: Header=BB6_1159 Depth=1
                                        ; implicit-def: $sgpr24
.LBB6_1179:                             ;   in Loop: Header=BB6_1159 Depth=1
	global_load_dwordx2 v[15:16], v6, s[4:5]
	s_add_i32 s24, s25, -8
	s_add_u32 s4, s4, 8
	s_addc_u32 s5, s5, 0
.LBB6_1180:                             ;   in Loop: Header=BB6_1159 Depth=1
	s_cmp_gt_u32 s24, 7
	s_cbranch_scc1 .LBB6_1185
; %bb.1181:                             ;   in Loop: Header=BB6_1159 Depth=1
	v_mov_b32_e32 v17, 0
	v_mov_b32_e32 v18, 0
	s_cmp_eq_u32 s24, 0
	s_cbranch_scc1 .LBB6_1184
; %bb.1182:                             ;   in Loop: Header=BB6_1159 Depth=1
	s_mov_b64 s[20:21], 0
	s_mov_b64 s[22:23], 0
.LBB6_1183:                             ;   Parent Loop BB6_1159 Depth=1
                                        ; =>  This Inner Loop Header: Depth=2
	s_add_u32 s26, s4, s22
	s_addc_u32 s27, s5, s23
	s_add_u32 s22, s22, 1
	global_load_ubyte v4, v6, s[26:27]
	s_addc_u32 s23, s23, 0
	s_waitcnt vmcnt(0)
	v_and_b32_e32 v5, 0xffff, v4
	v_lshlrev_b64 v[4:5], s20, v[5:6]
	s_add_u32 s20, s20, 8
	s_addc_u32 s21, s21, 0
	s_cmp_lg_u32 s24, s22
	v_or_b32_e32 v17, v4, v17
	v_or_b32_e32 v18, v5, v18
	s_cbranch_scc1 .LBB6_1183
.LBB6_1184:                             ;   in Loop: Header=BB6_1159 Depth=1
	s_mov_b32 s25, 0
	s_cbranch_execz .LBB6_1186
	s_branch .LBB6_1187
.LBB6_1185:                             ;   in Loop: Header=BB6_1159 Depth=1
                                        ; implicit-def: $vgpr17_vgpr18
                                        ; implicit-def: $sgpr25
.LBB6_1186:                             ;   in Loop: Header=BB6_1159 Depth=1
	global_load_dwordx2 v[17:18], v6, s[4:5]
	s_add_i32 s25, s24, -8
	s_add_u32 s4, s4, 8
	s_addc_u32 s5, s5, 0
.LBB6_1187:                             ;   in Loop: Header=BB6_1159 Depth=1
	s_cmp_gt_u32 s25, 7
	s_cbranch_scc1 .LBB6_1192
; %bb.1188:                             ;   in Loop: Header=BB6_1159 Depth=1
	v_mov_b32_e32 v19, 0
	v_mov_b32_e32 v20, 0
	s_cmp_eq_u32 s25, 0
	s_cbranch_scc1 .LBB6_1191
; %bb.1189:                             ;   in Loop: Header=BB6_1159 Depth=1
	s_mov_b64 s[20:21], 0
	s_mov_b64 s[22:23], 0
.LBB6_1190:                             ;   Parent Loop BB6_1159 Depth=1
                                        ; =>  This Inner Loop Header: Depth=2
	s_add_u32 s26, s4, s22
	s_addc_u32 s27, s5, s23
	s_add_u32 s22, s22, 1
	global_load_ubyte v4, v6, s[26:27]
	s_addc_u32 s23, s23, 0
	s_waitcnt vmcnt(0)
	v_and_b32_e32 v5, 0xffff, v4
	v_lshlrev_b64 v[4:5], s20, v[5:6]
	s_add_u32 s20, s20, 8
	s_addc_u32 s21, s21, 0
	s_cmp_lg_u32 s25, s22
	v_or_b32_e32 v19, v4, v19
	v_or_b32_e32 v20, v5, v20
	s_cbranch_scc1 .LBB6_1190
.LBB6_1191:                             ;   in Loop: Header=BB6_1159 Depth=1
	s_mov_b32 s24, 0
	s_cbranch_execz .LBB6_1193
	s_branch .LBB6_1194
.LBB6_1192:                             ;   in Loop: Header=BB6_1159 Depth=1
                                        ; implicit-def: $sgpr24
.LBB6_1193:                             ;   in Loop: Header=BB6_1159 Depth=1
	global_load_dwordx2 v[19:20], v6, s[4:5]
	s_add_i32 s24, s25, -8
	s_add_u32 s4, s4, 8
	s_addc_u32 s5, s5, 0
.LBB6_1194:                             ;   in Loop: Header=BB6_1159 Depth=1
	s_cmp_gt_u32 s24, 7
	s_cbranch_scc1 .LBB6_1199
; %bb.1195:                             ;   in Loop: Header=BB6_1159 Depth=1
	v_mov_b32_e32 v21, 0
	v_mov_b32_e32 v22, 0
	s_cmp_eq_u32 s24, 0
	s_cbranch_scc1 .LBB6_1198
; %bb.1196:                             ;   in Loop: Header=BB6_1159 Depth=1
	s_mov_b64 s[20:21], 0
	s_mov_b64 s[22:23], 0
.LBB6_1197:                             ;   Parent Loop BB6_1159 Depth=1
                                        ; =>  This Inner Loop Header: Depth=2
	s_add_u32 s26, s4, s22
	s_addc_u32 s27, s5, s23
	s_add_u32 s22, s22, 1
	global_load_ubyte v4, v6, s[26:27]
	s_addc_u32 s23, s23, 0
	s_waitcnt vmcnt(0)
	v_and_b32_e32 v5, 0xffff, v4
	v_lshlrev_b64 v[4:5], s20, v[5:6]
	s_add_u32 s20, s20, 8
	s_addc_u32 s21, s21, 0
	s_cmp_lg_u32 s24, s22
	v_or_b32_e32 v21, v4, v21
	v_or_b32_e32 v22, v5, v22
	s_cbranch_scc1 .LBB6_1197
.LBB6_1198:                             ;   in Loop: Header=BB6_1159 Depth=1
	s_mov_b32 s25, 0
	s_cbranch_execz .LBB6_1200
	s_branch .LBB6_1201
.LBB6_1199:                             ;   in Loop: Header=BB6_1159 Depth=1
                                        ; implicit-def: $vgpr21_vgpr22
                                        ; implicit-def: $sgpr25
.LBB6_1200:                             ;   in Loop: Header=BB6_1159 Depth=1
	global_load_dwordx2 v[21:22], v6, s[4:5]
	s_add_i32 s25, s24, -8
	s_add_u32 s4, s4, 8
	s_addc_u32 s5, s5, 0
.LBB6_1201:                             ;   in Loop: Header=BB6_1159 Depth=1
	s_cmp_gt_u32 s25, 7
	s_cbranch_scc1 .LBB6_1206
; %bb.1202:                             ;   in Loop: Header=BB6_1159 Depth=1
	v_mov_b32_e32 v23, 0
	v_mov_b32_e32 v24, 0
	s_cmp_eq_u32 s25, 0
	s_cbranch_scc1 .LBB6_1205
; %bb.1203:                             ;   in Loop: Header=BB6_1159 Depth=1
	s_mov_b64 s[20:21], 0
	s_mov_b64 s[22:23], s[4:5]
.LBB6_1204:                             ;   Parent Loop BB6_1159 Depth=1
                                        ; =>  This Inner Loop Header: Depth=2
	global_load_ubyte v4, v6, s[22:23]
	s_add_i32 s25, s25, -1
	s_waitcnt vmcnt(0)
	v_and_b32_e32 v5, 0xffff, v4
	v_lshlrev_b64 v[4:5], s20, v[5:6]
	s_add_u32 s20, s20, 8
	s_addc_u32 s21, s21, 0
	s_add_u32 s22, s22, 1
	s_addc_u32 s23, s23, 0
	s_cmp_lg_u32 s25, 0
	v_or_b32_e32 v23, v4, v23
	v_or_b32_e32 v24, v5, v24
	s_cbranch_scc1 .LBB6_1204
.LBB6_1205:                             ;   in Loop: Header=BB6_1159 Depth=1
	s_cbranch_execz .LBB6_1207
	s_branch .LBB6_1208
.LBB6_1206:                             ;   in Loop: Header=BB6_1159 Depth=1
.LBB6_1207:                             ;   in Loop: Header=BB6_1159 Depth=1
	global_load_dwordx2 v[23:24], v6, s[4:5]
.LBB6_1208:                             ;   in Loop: Header=BB6_1159 Depth=1
	v_readfirstlane_b32 s4, v32
	s_waitcnt vmcnt(0)
	v_mov_b32_e32 v4, 0
	v_mov_b32_e32 v5, 0
	v_cmp_eq_u32_e64 s4, s4, v32
	s_and_saveexec_b32 s5, s4
	s_cbranch_execz .LBB6_1214
; %bb.1209:                             ;   in Loop: Header=BB6_1159 Depth=1
	global_load_dwordx2 v[27:28], v6, s[6:7] offset:24 glc dlc
	s_waitcnt vmcnt(0)
	buffer_gl1_inv
	buffer_gl0_inv
	s_clause 0x1
	global_load_dwordx2 v[4:5], v6, s[6:7] offset:40
	global_load_dwordx2 v[9:10], v6, s[6:7]
	s_mov_b32 s20, exec_lo
	s_waitcnt vmcnt(1)
	v_and_b32_e32 v5, v5, v28
	v_and_b32_e32 v4, v4, v27
	v_mul_lo_u32 v5, v5, 24
	v_mul_hi_u32 v25, v4, 24
	v_mul_lo_u32 v4, v4, 24
	v_add_nc_u32_e32 v5, v25, v5
	s_waitcnt vmcnt(0)
	v_add_co_u32 v4, vcc_lo, v9, v4
	v_add_co_ci_u32_e32 v5, vcc_lo, v10, v5, vcc_lo
	global_load_dwordx2 v[25:26], v[4:5], off glc dlc
	s_waitcnt vmcnt(0)
	global_atomic_cmpswap_x2 v[4:5], v6, v[25:28], s[6:7] offset:24 glc
	s_waitcnt vmcnt(0)
	buffer_gl1_inv
	buffer_gl0_inv
	v_cmpx_ne_u64_e64 v[4:5], v[27:28]
	s_cbranch_execz .LBB6_1213
; %bb.1210:                             ;   in Loop: Header=BB6_1159 Depth=1
	s_mov_b32 s21, 0
	.p2align	6
.LBB6_1211:                             ;   Parent Loop BB6_1159 Depth=1
                                        ; =>  This Inner Loop Header: Depth=2
	s_sleep 1
	s_clause 0x1
	global_load_dwordx2 v[9:10], v6, s[6:7] offset:40
	global_load_dwordx2 v[25:26], v6, s[6:7]
	v_mov_b32_e32 v28, v5
	v_mov_b32_e32 v27, v4
	s_waitcnt vmcnt(1)
	v_and_b32_e32 v4, v9, v27
	v_and_b32_e32 v9, v10, v28
	s_waitcnt vmcnt(0)
	v_mad_u64_u32 v[4:5], null, v4, 24, v[25:26]
	v_mad_u64_u32 v[9:10], null, v9, 24, v[5:6]
	v_mov_b32_e32 v5, v9
	global_load_dwordx2 v[25:26], v[4:5], off glc dlc
	s_waitcnt vmcnt(0)
	global_atomic_cmpswap_x2 v[4:5], v6, v[25:28], s[6:7] offset:24 glc
	s_waitcnt vmcnt(0)
	buffer_gl1_inv
	buffer_gl0_inv
	v_cmp_eq_u64_e32 vcc_lo, v[4:5], v[27:28]
	s_or_b32 s21, vcc_lo, s21
	s_andn2_b32 exec_lo, exec_lo, s21
	s_cbranch_execnz .LBB6_1211
; %bb.1212:                             ;   in Loop: Header=BB6_1159 Depth=1
	s_or_b32 exec_lo, exec_lo, s21
.LBB6_1213:                             ;   in Loop: Header=BB6_1159 Depth=1
	s_or_b32 exec_lo, exec_lo, s20
.LBB6_1214:                             ;   in Loop: Header=BB6_1159 Depth=1
	s_or_b32 exec_lo, exec_lo, s5
	s_clause 0x1
	global_load_dwordx2 v[9:10], v6, s[6:7] offset:40
	global_load_dwordx4 v[25:28], v6, s[6:7]
	v_readfirstlane_b32 s20, v4
	v_readfirstlane_b32 s21, v5
	s_mov_b32 s5, exec_lo
	s_waitcnt vmcnt(1)
	v_readfirstlane_b32 s22, v9
	v_readfirstlane_b32 s23, v10
	s_and_b64 s[22:23], s[20:21], s[22:23]
	s_mul_i32 s24, s23, 24
	s_mul_hi_u32 s25, s22, 24
	s_mul_i32 s26, s22, 24
	s_add_i32 s25, s25, s24
	s_waitcnt vmcnt(0)
	v_add_co_u32 v29, vcc_lo, v25, s26
	v_add_co_ci_u32_e32 v30, vcc_lo, s25, v26, vcc_lo
	s_and_saveexec_b32 s24, s4
	s_cbranch_execz .LBB6_1216
; %bb.1215:                             ;   in Loop: Header=BB6_1159 Depth=1
	v_mov_b32_e32 v5, s5
	global_store_dwordx4 v[29:30], v[5:8], off offset:8
.LBB6_1216:                             ;   in Loop: Header=BB6_1159 Depth=1
	s_or_b32 exec_lo, exec_lo, s24
	s_lshl_b64 s[22:23], s[22:23], 12
	v_cmp_gt_u64_e64 vcc_lo, s[16:17], 56
	v_or_b32_e32 v5, v2, v33
	v_add_co_u32 v27, s5, v27, s22
	v_add_co_ci_u32_e64 v28, s5, s23, v28, s5
	s_lshl_b32 s5, s18, 2
	v_or_b32_e32 v4, 0, v3
	v_cndmask_b32_e32 v2, v5, v2, vcc_lo
	s_add_i32 s5, s5, 28
	v_readfirstlane_b32 s22, v27
	s_and_b32 s5, s5, 0x1e0
	v_cndmask_b32_e32 v10, v4, v3, vcc_lo
	v_readfirstlane_b32 s23, v28
	v_and_or_b32 v9, 0xffffff1f, v2, s5
	global_store_dwordx4 v31, v[9:12], s[22:23]
	global_store_dwordx4 v31, v[13:16], s[22:23] offset:16
	global_store_dwordx4 v31, v[17:20], s[22:23] offset:32
	global_store_dwordx4 v31, v[21:24], s[22:23] offset:48
	s_and_saveexec_b32 s5, s4
	s_cbranch_execz .LBB6_1224
; %bb.1217:                             ;   in Loop: Header=BB6_1159 Depth=1
	s_clause 0x1
	global_load_dwordx2 v[13:14], v6, s[6:7] offset:32 glc dlc
	global_load_dwordx2 v[2:3], v6, s[6:7] offset:40
	v_mov_b32_e32 v11, s20
	v_mov_b32_e32 v12, s21
	s_waitcnt vmcnt(0)
	v_readfirstlane_b32 s22, v2
	v_readfirstlane_b32 s23, v3
	s_and_b64 s[22:23], s[22:23], s[20:21]
	s_mul_i32 s23, s23, 24
	s_mul_hi_u32 s24, s22, 24
	s_mul_i32 s22, s22, 24
	s_add_i32 s24, s24, s23
	v_add_co_u32 v9, vcc_lo, v25, s22
	v_add_co_ci_u32_e32 v10, vcc_lo, s24, v26, vcc_lo
	s_mov_b32 s22, exec_lo
	global_store_dwordx2 v[9:10], v[13:14], off
	s_waitcnt_vscnt null, 0x0
	global_atomic_cmpswap_x2 v[4:5], v6, v[11:14], s[6:7] offset:32 glc
	s_waitcnt vmcnt(0)
	v_cmpx_ne_u64_e64 v[4:5], v[13:14]
	s_cbranch_execz .LBB6_1220
; %bb.1218:                             ;   in Loop: Header=BB6_1159 Depth=1
	s_mov_b32 s23, 0
.LBB6_1219:                             ;   Parent Loop BB6_1159 Depth=1
                                        ; =>  This Inner Loop Header: Depth=2
	v_mov_b32_e32 v2, s20
	v_mov_b32_e32 v3, s21
	s_sleep 1
	global_store_dwordx2 v[9:10], v[4:5], off
	s_waitcnt_vscnt null, 0x0
	global_atomic_cmpswap_x2 v[2:3], v6, v[2:5], s[6:7] offset:32 glc
	s_waitcnt vmcnt(0)
	v_cmp_eq_u64_e32 vcc_lo, v[2:3], v[4:5]
	v_mov_b32_e32 v5, v3
	v_mov_b32_e32 v4, v2
	s_or_b32 s23, vcc_lo, s23
	s_andn2_b32 exec_lo, exec_lo, s23
	s_cbranch_execnz .LBB6_1219
.LBB6_1220:                             ;   in Loop: Header=BB6_1159 Depth=1
	s_or_b32 exec_lo, exec_lo, s22
	global_load_dwordx2 v[2:3], v6, s[6:7] offset:16
	s_mov_b32 s23, exec_lo
	s_mov_b32 s22, exec_lo
	v_mbcnt_lo_u32_b32 v4, s23, 0
	v_cmpx_eq_u32_e32 0, v4
	s_cbranch_execz .LBB6_1222
; %bb.1221:                             ;   in Loop: Header=BB6_1159 Depth=1
	s_bcnt1_i32_b32 s23, s23
	v_mov_b32_e32 v5, s23
	s_waitcnt vmcnt(0)
	global_atomic_add_x2 v[2:3], v[5:6], off offset:8
.LBB6_1222:                             ;   in Loop: Header=BB6_1159 Depth=1
	s_or_b32 exec_lo, exec_lo, s22
	s_waitcnt vmcnt(0)
	global_load_dwordx2 v[9:10], v[2:3], off offset:16
	s_waitcnt vmcnt(0)
	v_cmp_eq_u64_e32 vcc_lo, 0, v[9:10]
	s_cbranch_vccnz .LBB6_1224
; %bb.1223:                             ;   in Loop: Header=BB6_1159 Depth=1
	global_load_dword v5, v[2:3], off offset:24
	s_waitcnt vmcnt(0)
	v_and_b32_e32 v2, 0x7fffff, v5
	s_waitcnt_vscnt null, 0x0
	global_store_dwordx2 v[9:10], v[5:6], off
	v_readfirstlane_b32 m0, v2
	s_sendmsg sendmsg(MSG_INTERRUPT)
.LBB6_1224:                             ;   in Loop: Header=BB6_1159 Depth=1
	s_or_b32 exec_lo, exec_lo, s5
	v_add_co_u32 v2, vcc_lo, v27, v31
	v_add_co_ci_u32_e32 v3, vcc_lo, 0, v28, vcc_lo
	s_branch .LBB6_1228
	.p2align	6
.LBB6_1225:                             ;   in Loop: Header=BB6_1228 Depth=2
	s_or_b32 exec_lo, exec_lo, s5
	v_readfirstlane_b32 s5, v4
	s_cmp_eq_u32 s5, 0
	s_cbranch_scc1 .LBB6_1227
; %bb.1226:                             ;   in Loop: Header=BB6_1228 Depth=2
	s_sleep 1
	s_cbranch_execnz .LBB6_1228
	s_branch .LBB6_1230
	.p2align	6
.LBB6_1227:                             ;   in Loop: Header=BB6_1159 Depth=1
	s_branch .LBB6_1230
.LBB6_1228:                             ;   Parent Loop BB6_1159 Depth=1
                                        ; =>  This Inner Loop Header: Depth=2
	v_mov_b32_e32 v4, 1
	s_and_saveexec_b32 s5, s4
	s_cbranch_execz .LBB6_1225
; %bb.1229:                             ;   in Loop: Header=BB6_1228 Depth=2
	global_load_dword v4, v[29:30], off offset:20 glc dlc
	s_waitcnt vmcnt(0)
	buffer_gl1_inv
	buffer_gl0_inv
	v_and_b32_e32 v4, 1, v4
	s_branch .LBB6_1225
.LBB6_1230:                             ;   in Loop: Header=BB6_1159 Depth=1
	global_load_dwordx4 v[2:5], v[2:3], off
	s_and_saveexec_b32 s5, s4
	s_cbranch_execz .LBB6_1158
; %bb.1231:                             ;   in Loop: Header=BB6_1159 Depth=1
	s_clause 0x2
	global_load_dwordx2 v[4:5], v6, s[6:7] offset:40
	global_load_dwordx2 v[13:14], v6, s[6:7] offset:24 glc dlc
	global_load_dwordx2 v[11:12], v6, s[6:7]
	s_waitcnt vmcnt(2)
	v_add_co_u32 v15, vcc_lo, v4, 1
	v_add_co_ci_u32_e32 v16, vcc_lo, 0, v5, vcc_lo
	v_add_co_u32 v9, vcc_lo, v15, s20
	v_add_co_ci_u32_e32 v10, vcc_lo, s21, v16, vcc_lo
	v_cmp_eq_u64_e32 vcc_lo, 0, v[9:10]
	v_cndmask_b32_e32 v10, v10, v16, vcc_lo
	v_cndmask_b32_e32 v9, v9, v15, vcc_lo
	v_and_b32_e32 v5, v10, v5
	v_and_b32_e32 v4, v9, v4
	v_mul_lo_u32 v5, v5, 24
	v_mul_hi_u32 v15, v4, 24
	v_mul_lo_u32 v4, v4, 24
	v_add_nc_u32_e32 v5, v15, v5
	s_waitcnt vmcnt(0)
	v_add_co_u32 v4, vcc_lo, v11, v4
	v_mov_b32_e32 v11, v13
	v_add_co_ci_u32_e32 v5, vcc_lo, v12, v5, vcc_lo
	v_mov_b32_e32 v12, v14
	global_store_dwordx2 v[4:5], v[13:14], off
	s_waitcnt_vscnt null, 0x0
	global_atomic_cmpswap_x2 v[11:12], v6, v[9:12], s[6:7] offset:24 glc
	s_waitcnt vmcnt(0)
	v_cmp_ne_u64_e32 vcc_lo, v[11:12], v[13:14]
	s_and_b32 exec_lo, exec_lo, vcc_lo
	s_cbranch_execz .LBB6_1158
; %bb.1232:                             ;   in Loop: Header=BB6_1159 Depth=1
	s_mov_b32 s4, 0
.LBB6_1233:                             ;   Parent Loop BB6_1159 Depth=1
                                        ; =>  This Inner Loop Header: Depth=2
	s_sleep 1
	global_store_dwordx2 v[4:5], v[11:12], off
	s_waitcnt_vscnt null, 0x0
	global_atomic_cmpswap_x2 v[13:14], v6, v[9:12], s[6:7] offset:24 glc
	s_waitcnt vmcnt(0)
	v_cmp_eq_u64_e32 vcc_lo, v[13:14], v[11:12]
	v_mov_b32_e32 v11, v13
	v_mov_b32_e32 v12, v14
	s_or_b32 s4, vcc_lo, s4
	s_andn2_b32 exec_lo, exec_lo, s4
	s_cbranch_execnz .LBB6_1233
	s_branch .LBB6_1158
.LBB6_1234:
	s_branch .LBB6_1263
.LBB6_1235:
                                        ; implicit-def: $vgpr2_vgpr3
	s_cbranch_execz .LBB6_1263
; %bb.1236:
	v_readfirstlane_b32 s4, v32
	v_mov_b32_e32 v8, 0
	v_mov_b32_e32 v9, 0
	v_cmp_eq_u32_e64 s4, s4, v32
	s_and_saveexec_b32 s5, s4
	s_cbranch_execz .LBB6_1242
; %bb.1237:
	s_waitcnt vmcnt(0)
	v_mov_b32_e32 v2, 0
	s_mov_b32 s10, exec_lo
	global_load_dwordx2 v[5:6], v2, s[6:7] offset:24 glc dlc
	s_waitcnt vmcnt(0)
	buffer_gl1_inv
	buffer_gl0_inv
	s_clause 0x1
	global_load_dwordx2 v[3:4], v2, s[6:7] offset:40
	global_load_dwordx2 v[7:8], v2, s[6:7]
	s_waitcnt vmcnt(1)
	v_and_b32_e32 v4, v4, v6
	v_and_b32_e32 v3, v3, v5
	v_mul_lo_u32 v4, v4, 24
	v_mul_hi_u32 v9, v3, 24
	v_mul_lo_u32 v3, v3, 24
	v_add_nc_u32_e32 v4, v9, v4
	s_waitcnt vmcnt(0)
	v_add_co_u32 v3, vcc_lo, v7, v3
	v_add_co_ci_u32_e32 v4, vcc_lo, v8, v4, vcc_lo
	global_load_dwordx2 v[3:4], v[3:4], off glc dlc
	s_waitcnt vmcnt(0)
	global_atomic_cmpswap_x2 v[8:9], v2, v[3:6], s[6:7] offset:24 glc
	s_waitcnt vmcnt(0)
	buffer_gl1_inv
	buffer_gl0_inv
	v_cmpx_ne_u64_e64 v[8:9], v[5:6]
	s_cbranch_execz .LBB6_1241
; %bb.1238:
	s_mov_b32 s11, 0
	.p2align	6
.LBB6_1239:                             ; =>This Inner Loop Header: Depth=1
	s_sleep 1
	s_clause 0x1
	global_load_dwordx2 v[3:4], v2, s[6:7] offset:40
	global_load_dwordx2 v[10:11], v2, s[6:7]
	v_mov_b32_e32 v5, v8
	v_mov_b32_e32 v6, v9
	s_waitcnt vmcnt(1)
	v_and_b32_e32 v3, v3, v5
	v_and_b32_e32 v4, v4, v6
	s_waitcnt vmcnt(0)
	v_mad_u64_u32 v[7:8], null, v3, 24, v[10:11]
	v_mov_b32_e32 v3, v8
	v_mad_u64_u32 v[3:4], null, v4, 24, v[3:4]
	v_mov_b32_e32 v8, v3
	global_load_dwordx2 v[3:4], v[7:8], off glc dlc
	s_waitcnt vmcnt(0)
	global_atomic_cmpswap_x2 v[8:9], v2, v[3:6], s[6:7] offset:24 glc
	s_waitcnt vmcnt(0)
	buffer_gl1_inv
	buffer_gl0_inv
	v_cmp_eq_u64_e32 vcc_lo, v[8:9], v[5:6]
	s_or_b32 s11, vcc_lo, s11
	s_andn2_b32 exec_lo, exec_lo, s11
	s_cbranch_execnz .LBB6_1239
; %bb.1240:
	s_or_b32 exec_lo, exec_lo, s11
.LBB6_1241:
	s_or_b32 exec_lo, exec_lo, s10
.LBB6_1242:
	s_or_b32 exec_lo, exec_lo, s5
	s_waitcnt vmcnt(0)
	v_mov_b32_e32 v2, 0
	v_readfirstlane_b32 s10, v8
	v_readfirstlane_b32 s11, v9
	s_mov_b32 s5, exec_lo
	s_clause 0x1
	global_load_dwordx2 v[10:11], v2, s[6:7] offset:40
	global_load_dwordx4 v[4:7], v2, s[6:7]
	s_waitcnt vmcnt(1)
	v_readfirstlane_b32 s16, v10
	v_readfirstlane_b32 s17, v11
	s_and_b64 s[16:17], s[10:11], s[16:17]
	s_mul_i32 s18, s17, 24
	s_mul_hi_u32 s19, s16, 24
	s_mul_i32 s20, s16, 24
	s_add_i32 s19, s19, s18
	s_waitcnt vmcnt(0)
	v_add_co_u32 v8, vcc_lo, v4, s20
	v_add_co_ci_u32_e32 v9, vcc_lo, s19, v5, vcc_lo
	s_and_saveexec_b32 s18, s4
	s_cbranch_execz .LBB6_1244
; %bb.1243:
	v_mov_b32_e32 v10, s5
	v_mov_b32_e32 v11, v2
	v_mov_b32_e32 v12, 2
	v_mov_b32_e32 v13, 1
	global_store_dwordx4 v[8:9], v[10:13], off offset:8
.LBB6_1244:
	s_or_b32 exec_lo, exec_lo, s18
	s_lshl_b64 s[16:17], s[16:17], 12
	v_and_or_b32 v0, 0xffffff1f, v0, 32
	v_add_co_u32 v6, vcc_lo, v6, s16
	v_add_co_ci_u32_e32 v7, vcc_lo, s17, v7, vcc_lo
	s_mov_b32 s16, 0
	v_readfirstlane_b32 s20, v6
	v_add_co_u32 v6, vcc_lo, v6, v31
	s_mov_b32 s17, s16
	s_mov_b32 s18, s16
	;; [unrolled: 1-line block ×3, first 2 shown]
	v_mov_b32_e32 v3, v2
	v_readfirstlane_b32 s21, v7
	v_mov_b32_e32 v10, s16
	v_add_co_ci_u32_e32 v7, vcc_lo, 0, v7, vcc_lo
	v_mov_b32_e32 v11, s17
	v_mov_b32_e32 v12, s18
	;; [unrolled: 1-line block ×3, first 2 shown]
	global_store_dwordx4 v31, v[0:3], s[20:21]
	global_store_dwordx4 v31, v[10:13], s[20:21] offset:16
	global_store_dwordx4 v31, v[10:13], s[20:21] offset:32
	;; [unrolled: 1-line block ×3, first 2 shown]
	s_and_saveexec_b32 s5, s4
	s_cbranch_execz .LBB6_1252
; %bb.1245:
	v_mov_b32_e32 v10, 0
	v_mov_b32_e32 v11, s10
	;; [unrolled: 1-line block ×3, first 2 shown]
	s_clause 0x1
	global_load_dwordx2 v[13:14], v10, s[6:7] offset:32 glc dlc
	global_load_dwordx2 v[0:1], v10, s[6:7] offset:40
	s_waitcnt vmcnt(0)
	v_readfirstlane_b32 s16, v0
	v_readfirstlane_b32 s17, v1
	s_and_b64 s[16:17], s[16:17], s[10:11]
	s_mul_i32 s17, s17, 24
	s_mul_hi_u32 s18, s16, 24
	s_mul_i32 s16, s16, 24
	s_add_i32 s18, s18, s17
	v_add_co_u32 v4, vcc_lo, v4, s16
	v_add_co_ci_u32_e32 v5, vcc_lo, s18, v5, vcc_lo
	s_mov_b32 s16, exec_lo
	global_store_dwordx2 v[4:5], v[13:14], off
	s_waitcnt_vscnt null, 0x0
	global_atomic_cmpswap_x2 v[2:3], v10, v[11:14], s[6:7] offset:32 glc
	s_waitcnt vmcnt(0)
	v_cmpx_ne_u64_e64 v[2:3], v[13:14]
	s_cbranch_execz .LBB6_1248
; %bb.1246:
	s_mov_b32 s17, 0
.LBB6_1247:                             ; =>This Inner Loop Header: Depth=1
	v_mov_b32_e32 v0, s10
	v_mov_b32_e32 v1, s11
	s_sleep 1
	global_store_dwordx2 v[4:5], v[2:3], off
	s_waitcnt_vscnt null, 0x0
	global_atomic_cmpswap_x2 v[0:1], v10, v[0:3], s[6:7] offset:32 glc
	s_waitcnt vmcnt(0)
	v_cmp_eq_u64_e32 vcc_lo, v[0:1], v[2:3]
	v_mov_b32_e32 v3, v1
	v_mov_b32_e32 v2, v0
	s_or_b32 s17, vcc_lo, s17
	s_andn2_b32 exec_lo, exec_lo, s17
	s_cbranch_execnz .LBB6_1247
.LBB6_1248:
	s_or_b32 exec_lo, exec_lo, s16
	v_mov_b32_e32 v3, 0
	s_mov_b32 s17, exec_lo
	s_mov_b32 s16, exec_lo
	v_mbcnt_lo_u32_b32 v2, s17, 0
	global_load_dwordx2 v[0:1], v3, s[6:7] offset:16
	v_cmpx_eq_u32_e32 0, v2
	s_cbranch_execz .LBB6_1250
; %bb.1249:
	s_bcnt1_i32_b32 s17, s17
	v_mov_b32_e32 v2, s17
	s_waitcnt vmcnt(0)
	global_atomic_add_x2 v[0:1], v[2:3], off offset:8
.LBB6_1250:
	s_or_b32 exec_lo, exec_lo, s16
	s_waitcnt vmcnt(0)
	global_load_dwordx2 v[2:3], v[0:1], off offset:16
	s_waitcnt vmcnt(0)
	v_cmp_eq_u64_e32 vcc_lo, 0, v[2:3]
	s_cbranch_vccnz .LBB6_1252
; %bb.1251:
	global_load_dword v0, v[0:1], off offset:24
	v_mov_b32_e32 v1, 0
	s_waitcnt vmcnt(0)
	v_and_b32_e32 v4, 0x7fffff, v0
	s_waitcnt_vscnt null, 0x0
	global_store_dwordx2 v[2:3], v[0:1], off
	v_readfirstlane_b32 m0, v4
	s_sendmsg sendmsg(MSG_INTERRUPT)
.LBB6_1252:
	s_or_b32 exec_lo, exec_lo, s5
	s_branch .LBB6_1256
	.p2align	6
.LBB6_1253:                             ;   in Loop: Header=BB6_1256 Depth=1
	s_or_b32 exec_lo, exec_lo, s5
	v_readfirstlane_b32 s5, v0
	s_cmp_eq_u32 s5, 0
	s_cbranch_scc1 .LBB6_1255
; %bb.1254:                             ;   in Loop: Header=BB6_1256 Depth=1
	s_sleep 1
	s_cbranch_execnz .LBB6_1256
	s_branch .LBB6_1258
	.p2align	6
.LBB6_1255:
	s_branch .LBB6_1258
.LBB6_1256:                             ; =>This Inner Loop Header: Depth=1
	v_mov_b32_e32 v0, 1
	s_and_saveexec_b32 s5, s4
	s_cbranch_execz .LBB6_1253
; %bb.1257:                             ;   in Loop: Header=BB6_1256 Depth=1
	global_load_dword v0, v[8:9], off offset:20 glc dlc
	s_waitcnt vmcnt(0)
	buffer_gl1_inv
	buffer_gl0_inv
	v_and_b32_e32 v0, 1, v0
	s_branch .LBB6_1253
.LBB6_1258:
	global_load_dwordx2 v[2:3], v[6:7], off
	s_and_saveexec_b32 s5, s4
	s_cbranch_execz .LBB6_1262
; %bb.1259:
	v_mov_b32_e32 v8, 0
	s_clause 0x2
	global_load_dwordx2 v[0:1], v8, s[6:7] offset:40
	global_load_dwordx2 v[9:10], v8, s[6:7] offset:24 glc dlc
	global_load_dwordx2 v[6:7], v8, s[6:7]
	s_waitcnt vmcnt(2)
	v_add_co_u32 v11, vcc_lo, v0, 1
	v_add_co_ci_u32_e32 v12, vcc_lo, 0, v1, vcc_lo
	v_add_co_u32 v4, vcc_lo, v11, s10
	v_add_co_ci_u32_e32 v5, vcc_lo, s11, v12, vcc_lo
	v_cmp_eq_u64_e32 vcc_lo, 0, v[4:5]
	v_cndmask_b32_e32 v5, v5, v12, vcc_lo
	v_cndmask_b32_e32 v4, v4, v11, vcc_lo
	v_and_b32_e32 v1, v5, v1
	v_and_b32_e32 v0, v4, v0
	v_mul_lo_u32 v1, v1, 24
	v_mul_hi_u32 v11, v0, 24
	v_mul_lo_u32 v0, v0, 24
	v_add_nc_u32_e32 v1, v11, v1
	s_waitcnt vmcnt(0)
	v_add_co_u32 v0, vcc_lo, v6, v0
	v_mov_b32_e32 v6, v9
	v_add_co_ci_u32_e32 v1, vcc_lo, v7, v1, vcc_lo
	v_mov_b32_e32 v7, v10
	global_store_dwordx2 v[0:1], v[9:10], off
	s_waitcnt_vscnt null, 0x0
	global_atomic_cmpswap_x2 v[6:7], v8, v[4:7], s[6:7] offset:24 glc
	s_waitcnt vmcnt(0)
	v_cmp_ne_u64_e32 vcc_lo, v[6:7], v[9:10]
	s_and_b32 exec_lo, exec_lo, vcc_lo
	s_cbranch_execz .LBB6_1262
; %bb.1260:
	s_mov_b32 s4, 0
.LBB6_1261:                             ; =>This Inner Loop Header: Depth=1
	s_sleep 1
	global_store_dwordx2 v[0:1], v[6:7], off
	s_waitcnt_vscnt null, 0x0
	global_atomic_cmpswap_x2 v[9:10], v8, v[4:7], s[6:7] offset:24 glc
	s_waitcnt vmcnt(0)
	v_cmp_eq_u64_e32 vcc_lo, v[9:10], v[6:7]
	v_mov_b32_e32 v6, v9
	v_mov_b32_e32 v7, v10
	s_or_b32 s4, vcc_lo, s4
	s_andn2_b32 exec_lo, exec_lo, s4
	s_cbranch_execnz .LBB6_1261
.LBB6_1262:
	s_or_b32 exec_lo, exec_lo, s5
.LBB6_1263:
	v_readfirstlane_b32 s4, v32
	s_waitcnt vmcnt(0)
	v_mov_b32_e32 v0, 0
	v_mov_b32_e32 v1, 0
	v_cmp_eq_u32_e64 s4, s4, v32
	s_and_saveexec_b32 s5, s4
	s_cbranch_execz .LBB6_1269
; %bb.1264:
	v_mov_b32_e32 v4, 0
	s_mov_b32 s10, exec_lo
	global_load_dwordx2 v[7:8], v4, s[6:7] offset:24 glc dlc
	s_waitcnt vmcnt(0)
	buffer_gl1_inv
	buffer_gl0_inv
	s_clause 0x1
	global_load_dwordx2 v[0:1], v4, s[6:7] offset:40
	global_load_dwordx2 v[5:6], v4, s[6:7]
	s_waitcnt vmcnt(1)
	v_and_b32_e32 v1, v1, v8
	v_and_b32_e32 v0, v0, v7
	v_mul_lo_u32 v1, v1, 24
	v_mul_hi_u32 v9, v0, 24
	v_mul_lo_u32 v0, v0, 24
	v_add_nc_u32_e32 v1, v9, v1
	s_waitcnt vmcnt(0)
	v_add_co_u32 v0, vcc_lo, v5, v0
	v_add_co_ci_u32_e32 v1, vcc_lo, v6, v1, vcc_lo
	global_load_dwordx2 v[5:6], v[0:1], off glc dlc
	s_waitcnt vmcnt(0)
	global_atomic_cmpswap_x2 v[0:1], v4, v[5:8], s[6:7] offset:24 glc
	s_waitcnt vmcnt(0)
	buffer_gl1_inv
	buffer_gl0_inv
	v_cmpx_ne_u64_e64 v[0:1], v[7:8]
	s_cbranch_execz .LBB6_1268
; %bb.1265:
	s_mov_b32 s11, 0
	.p2align	6
.LBB6_1266:                             ; =>This Inner Loop Header: Depth=1
	s_sleep 1
	s_clause 0x1
	global_load_dwordx2 v[5:6], v4, s[6:7] offset:40
	global_load_dwordx2 v[9:10], v4, s[6:7]
	v_mov_b32_e32 v8, v1
	v_mov_b32_e32 v7, v0
	s_waitcnt vmcnt(1)
	v_and_b32_e32 v0, v5, v7
	v_and_b32_e32 v5, v6, v8
	s_waitcnt vmcnt(0)
	v_mad_u64_u32 v[0:1], null, v0, 24, v[9:10]
	v_mad_u64_u32 v[5:6], null, v5, 24, v[1:2]
	v_mov_b32_e32 v1, v5
	global_load_dwordx2 v[5:6], v[0:1], off glc dlc
	s_waitcnt vmcnt(0)
	global_atomic_cmpswap_x2 v[0:1], v4, v[5:8], s[6:7] offset:24 glc
	s_waitcnt vmcnt(0)
	buffer_gl1_inv
	buffer_gl0_inv
	v_cmp_eq_u64_e32 vcc_lo, v[0:1], v[7:8]
	s_or_b32 s11, vcc_lo, s11
	s_andn2_b32 exec_lo, exec_lo, s11
	s_cbranch_execnz .LBB6_1266
; %bb.1267:
	s_or_b32 exec_lo, exec_lo, s11
.LBB6_1268:
	s_or_b32 exec_lo, exec_lo, s10
.LBB6_1269:
	s_or_b32 exec_lo, exec_lo, s5
	v_mov_b32_e32 v5, 0
	v_readfirstlane_b32 s10, v0
	v_readfirstlane_b32 s11, v1
	s_mov_b32 s5, exec_lo
	s_clause 0x1
	global_load_dwordx2 v[10:11], v5, s[6:7] offset:40
	global_load_dwordx4 v[6:9], v5, s[6:7]
	s_waitcnt vmcnt(1)
	v_readfirstlane_b32 s16, v10
	v_readfirstlane_b32 s17, v11
	s_and_b64 s[16:17], s[10:11], s[16:17]
	s_mul_i32 s18, s17, 24
	s_mul_hi_u32 s19, s16, 24
	s_mul_i32 s20, s16, 24
	s_add_i32 s19, s19, s18
	s_waitcnt vmcnt(0)
	v_add_co_u32 v10, vcc_lo, v6, s20
	v_add_co_ci_u32_e32 v11, vcc_lo, s19, v7, vcc_lo
	s_and_saveexec_b32 s18, s4
	s_cbranch_execz .LBB6_1271
; %bb.1270:
	v_mov_b32_e32 v4, s5
	v_mov_b32_e32 v13, v5
	;; [unrolled: 1-line block ×5, first 2 shown]
	global_store_dwordx4 v[10:11], v[12:15], off offset:8
.LBB6_1271:
	s_or_b32 exec_lo, exec_lo, s18
	s_lshl_b64 s[16:17], s[16:17], 12
	v_and_or_b32 v2, 0xffffff1d, v2, 34
	v_add_co_u32 v0, vcc_lo, v8, s16
	v_add_co_ci_u32_e32 v1, vcc_lo, s17, v9, vcc_lo
	s_mov_b32 s16, 0
	v_mov_b32_e32 v4, 10
	s_mov_b32 s17, s16
	s_mov_b32 s18, s16
	;; [unrolled: 1-line block ×3, first 2 shown]
	v_readfirstlane_b32 s20, v0
	v_readfirstlane_b32 s21, v1
	v_mov_b32_e32 v12, s16
	v_mov_b32_e32 v13, s17
	;; [unrolled: 1-line block ×4, first 2 shown]
	global_store_dwordx4 v31, v[2:5], s[20:21]
	global_store_dwordx4 v31, v[12:15], s[20:21] offset:16
	global_store_dwordx4 v31, v[12:15], s[20:21] offset:32
	;; [unrolled: 1-line block ×3, first 2 shown]
	s_and_saveexec_b32 s5, s4
	s_cbranch_execz .LBB6_1279
; %bb.1272:
	v_mov_b32_e32 v8, 0
	v_mov_b32_e32 v12, s10
	;; [unrolled: 1-line block ×3, first 2 shown]
	s_clause 0x1
	global_load_dwordx2 v[14:15], v8, s[6:7] offset:32 glc dlc
	global_load_dwordx2 v[0:1], v8, s[6:7] offset:40
	s_waitcnt vmcnt(0)
	v_readfirstlane_b32 s16, v0
	v_readfirstlane_b32 s17, v1
	s_and_b64 s[16:17], s[16:17], s[10:11]
	s_mul_i32 s17, s17, 24
	s_mul_hi_u32 s18, s16, 24
	s_mul_i32 s16, s16, 24
	s_add_i32 s18, s18, s17
	v_add_co_u32 v4, vcc_lo, v6, s16
	v_add_co_ci_u32_e32 v5, vcc_lo, s18, v7, vcc_lo
	s_mov_b32 s16, exec_lo
	global_store_dwordx2 v[4:5], v[14:15], off
	s_waitcnt_vscnt null, 0x0
	global_atomic_cmpswap_x2 v[2:3], v8, v[12:15], s[6:7] offset:32 glc
	s_waitcnt vmcnt(0)
	v_cmpx_ne_u64_e64 v[2:3], v[14:15]
	s_cbranch_execz .LBB6_1275
; %bb.1273:
	s_mov_b32 s17, 0
.LBB6_1274:                             ; =>This Inner Loop Header: Depth=1
	v_mov_b32_e32 v0, s10
	v_mov_b32_e32 v1, s11
	s_sleep 1
	global_store_dwordx2 v[4:5], v[2:3], off
	s_waitcnt_vscnt null, 0x0
	global_atomic_cmpswap_x2 v[0:1], v8, v[0:3], s[6:7] offset:32 glc
	s_waitcnt vmcnt(0)
	v_cmp_eq_u64_e32 vcc_lo, v[0:1], v[2:3]
	v_mov_b32_e32 v3, v1
	v_mov_b32_e32 v2, v0
	s_or_b32 s17, vcc_lo, s17
	s_andn2_b32 exec_lo, exec_lo, s17
	s_cbranch_execnz .LBB6_1274
.LBB6_1275:
	s_or_b32 exec_lo, exec_lo, s16
	v_mov_b32_e32 v3, 0
	s_mov_b32 s17, exec_lo
	s_mov_b32 s16, exec_lo
	v_mbcnt_lo_u32_b32 v2, s17, 0
	global_load_dwordx2 v[0:1], v3, s[6:7] offset:16
	v_cmpx_eq_u32_e32 0, v2
	s_cbranch_execz .LBB6_1277
; %bb.1276:
	s_bcnt1_i32_b32 s17, s17
	v_mov_b32_e32 v2, s17
	s_waitcnt vmcnt(0)
	global_atomic_add_x2 v[0:1], v[2:3], off offset:8
.LBB6_1277:
	s_or_b32 exec_lo, exec_lo, s16
	s_waitcnt vmcnt(0)
	global_load_dwordx2 v[2:3], v[0:1], off offset:16
	s_waitcnt vmcnt(0)
	v_cmp_eq_u64_e32 vcc_lo, 0, v[2:3]
	s_cbranch_vccnz .LBB6_1279
; %bb.1278:
	global_load_dword v0, v[0:1], off offset:24
	v_mov_b32_e32 v1, 0
	s_waitcnt vmcnt(0)
	v_and_b32_e32 v4, 0x7fffff, v0
	s_waitcnt_vscnt null, 0x0
	global_store_dwordx2 v[2:3], v[0:1], off
	v_readfirstlane_b32 m0, v4
	s_sendmsg sendmsg(MSG_INTERRUPT)
.LBB6_1279:
	s_or_b32 exec_lo, exec_lo, s5
	s_branch .LBB6_1283
	.p2align	6
.LBB6_1280:                             ;   in Loop: Header=BB6_1283 Depth=1
	s_or_b32 exec_lo, exec_lo, s5
	v_readfirstlane_b32 s5, v0
	s_cmp_eq_u32 s5, 0
	s_cbranch_scc1 .LBB6_1282
; %bb.1281:                             ;   in Loop: Header=BB6_1283 Depth=1
	s_sleep 1
	s_cbranch_execnz .LBB6_1283
	s_branch .LBB6_1285
	.p2align	6
.LBB6_1282:
	s_branch .LBB6_1285
.LBB6_1283:                             ; =>This Inner Loop Header: Depth=1
	v_mov_b32_e32 v0, 1
	s_and_saveexec_b32 s5, s4
	s_cbranch_execz .LBB6_1280
; %bb.1284:                             ;   in Loop: Header=BB6_1283 Depth=1
	global_load_dword v0, v[10:11], off offset:20 glc dlc
	s_waitcnt vmcnt(0)
	buffer_gl1_inv
	buffer_gl0_inv
	v_and_b32_e32 v0, 1, v0
	s_branch .LBB6_1280
.LBB6_1285:
	s_and_saveexec_b32 s5, s4
	s_cbranch_execz .LBB6_1289
; %bb.1286:
	v_mov_b32_e32 v6, 0
	s_clause 0x2
	global_load_dwordx2 v[2:3], v6, s[6:7] offset:40
	global_load_dwordx2 v[7:8], v6, s[6:7] offset:24 glc dlc
	global_load_dwordx2 v[4:5], v6, s[6:7]
	s_waitcnt vmcnt(2)
	v_add_co_u32 v9, vcc_lo, v2, 1
	v_add_co_ci_u32_e32 v10, vcc_lo, 0, v3, vcc_lo
	v_add_co_u32 v0, vcc_lo, v9, s10
	v_add_co_ci_u32_e32 v1, vcc_lo, s11, v10, vcc_lo
	v_cmp_eq_u64_e32 vcc_lo, 0, v[0:1]
	v_cndmask_b32_e32 v1, v1, v10, vcc_lo
	v_cndmask_b32_e32 v0, v0, v9, vcc_lo
	v_and_b32_e32 v3, v1, v3
	v_and_b32_e32 v2, v0, v2
	v_mul_lo_u32 v3, v3, 24
	v_mul_hi_u32 v9, v2, 24
	v_mul_lo_u32 v2, v2, 24
	v_add_nc_u32_e32 v3, v9, v3
	s_waitcnt vmcnt(0)
	v_add_co_u32 v4, vcc_lo, v4, v2
	v_mov_b32_e32 v2, v7
	v_add_co_ci_u32_e32 v5, vcc_lo, v5, v3, vcc_lo
	v_mov_b32_e32 v3, v8
	global_store_dwordx2 v[4:5], v[7:8], off
	s_waitcnt_vscnt null, 0x0
	global_atomic_cmpswap_x2 v[2:3], v6, v[0:3], s[6:7] offset:24 glc
	s_waitcnt vmcnt(0)
	v_cmp_ne_u64_e32 vcc_lo, v[2:3], v[7:8]
	s_and_b32 exec_lo, exec_lo, vcc_lo
	s_cbranch_execz .LBB6_1289
; %bb.1287:
	s_mov_b32 s4, 0
.LBB6_1288:                             ; =>This Inner Loop Header: Depth=1
	s_sleep 1
	global_store_dwordx2 v[4:5], v[2:3], off
	s_waitcnt_vscnt null, 0x0
	global_atomic_cmpswap_x2 v[7:8], v6, v[0:3], s[6:7] offset:24 glc
	s_waitcnt vmcnt(0)
	v_cmp_eq_u64_e32 vcc_lo, v[7:8], v[2:3]
	v_mov_b32_e32 v2, v7
	v_mov_b32_e32 v3, v8
	s_or_b32 s4, vcc_lo, s4
	s_andn2_b32 exec_lo, exec_lo, s4
	s_cbranch_execnz .LBB6_1288
.LBB6_1289:
	s_or_b32 exec_lo, exec_lo, s5
	v_readfirstlane_b32 s4, v32
	v_mov_b32_e32 v6, 0
	v_mov_b32_e32 v7, 0
	v_cmp_eq_u32_e64 s4, s4, v32
	s_and_saveexec_b32 s5, s4
	s_cbranch_execz .LBB6_1295
; %bb.1290:
	v_mov_b32_e32 v0, 0
	s_mov_b32 s10, exec_lo
	global_load_dwordx2 v[3:4], v0, s[6:7] offset:24 glc dlc
	s_waitcnt vmcnt(0)
	buffer_gl1_inv
	buffer_gl0_inv
	s_clause 0x1
	global_load_dwordx2 v[1:2], v0, s[6:7] offset:40
	global_load_dwordx2 v[5:6], v0, s[6:7]
	s_waitcnt vmcnt(1)
	v_and_b32_e32 v2, v2, v4
	v_and_b32_e32 v1, v1, v3
	v_mul_lo_u32 v2, v2, 24
	v_mul_hi_u32 v7, v1, 24
	v_mul_lo_u32 v1, v1, 24
	v_add_nc_u32_e32 v2, v7, v2
	s_waitcnt vmcnt(0)
	v_add_co_u32 v1, vcc_lo, v5, v1
	v_add_co_ci_u32_e32 v2, vcc_lo, v6, v2, vcc_lo
	global_load_dwordx2 v[1:2], v[1:2], off glc dlc
	s_waitcnt vmcnt(0)
	global_atomic_cmpswap_x2 v[6:7], v0, v[1:4], s[6:7] offset:24 glc
	s_waitcnt vmcnt(0)
	buffer_gl1_inv
	buffer_gl0_inv
	v_cmpx_ne_u64_e64 v[6:7], v[3:4]
	s_cbranch_execz .LBB6_1294
; %bb.1291:
	s_mov_b32 s11, 0
	.p2align	6
.LBB6_1292:                             ; =>This Inner Loop Header: Depth=1
	s_sleep 1
	s_clause 0x1
	global_load_dwordx2 v[1:2], v0, s[6:7] offset:40
	global_load_dwordx2 v[8:9], v0, s[6:7]
	v_mov_b32_e32 v3, v6
	v_mov_b32_e32 v4, v7
	s_waitcnt vmcnt(1)
	v_and_b32_e32 v1, v1, v3
	v_and_b32_e32 v2, v2, v4
	s_waitcnt vmcnt(0)
	v_mad_u64_u32 v[5:6], null, v1, 24, v[8:9]
	v_mov_b32_e32 v1, v6
	v_mad_u64_u32 v[1:2], null, v2, 24, v[1:2]
	v_mov_b32_e32 v6, v1
	global_load_dwordx2 v[1:2], v[5:6], off glc dlc
	s_waitcnt vmcnt(0)
	global_atomic_cmpswap_x2 v[6:7], v0, v[1:4], s[6:7] offset:24 glc
	s_waitcnt vmcnt(0)
	buffer_gl1_inv
	buffer_gl0_inv
	v_cmp_eq_u64_e32 vcc_lo, v[6:7], v[3:4]
	s_or_b32 s11, vcc_lo, s11
	s_andn2_b32 exec_lo, exec_lo, s11
	s_cbranch_execnz .LBB6_1292
; %bb.1293:
	s_or_b32 exec_lo, exec_lo, s11
.LBB6_1294:
	s_or_b32 exec_lo, exec_lo, s10
.LBB6_1295:
	s_or_b32 exec_lo, exec_lo, s5
	v_mov_b32_e32 v5, 0
	v_readfirstlane_b32 s10, v6
	v_readfirstlane_b32 s11, v7
	s_mov_b32 s5, exec_lo
	s_clause 0x1
	global_load_dwordx2 v[8:9], v5, s[6:7] offset:40
	global_load_dwordx4 v[0:3], v5, s[6:7]
	s_waitcnt vmcnt(1)
	v_readfirstlane_b32 s16, v8
	v_readfirstlane_b32 s17, v9
	s_and_b64 s[16:17], s[10:11], s[16:17]
	s_mul_i32 s18, s17, 24
	s_mul_hi_u32 s19, s16, 24
	s_mul_i32 s20, s16, 24
	s_add_i32 s19, s19, s18
	s_waitcnt vmcnt(0)
	v_add_co_u32 v8, vcc_lo, v0, s20
	v_add_co_ci_u32_e32 v9, vcc_lo, s19, v1, vcc_lo
	s_and_saveexec_b32 s18, s4
	s_cbranch_execz .LBB6_1297
; %bb.1296:
	v_mov_b32_e32 v4, s5
	v_mov_b32_e32 v6, 2
	;; [unrolled: 1-line block ×3, first 2 shown]
	global_store_dwordx4 v[8:9], v[4:7], off offset:8
.LBB6_1297:
	s_or_b32 exec_lo, exec_lo, s18
	s_lshl_b64 s[16:17], s[16:17], 12
	v_mov_b32_e32 v4, 33
	v_add_co_u32 v2, vcc_lo, v2, s16
	v_add_co_ci_u32_e32 v3, vcc_lo, s17, v3, vcc_lo
	s_mov_b32 s16, 0
	v_add_co_u32 v10, vcc_lo, v2, v31
	s_mov_b32 s17, s16
	s_mov_b32 s18, s16
	;; [unrolled: 1-line block ×3, first 2 shown]
	v_mov_b32_e32 v6, v5
	v_mov_b32_e32 v7, v5
	v_readfirstlane_b32 s20, v2
	v_readfirstlane_b32 s21, v3
	v_mov_b32_e32 v12, s16
	v_add_co_ci_u32_e32 v11, vcc_lo, 0, v3, vcc_lo
	v_mov_b32_e32 v13, s17
	v_mov_b32_e32 v14, s18
	;; [unrolled: 1-line block ×3, first 2 shown]
	global_store_dwordx4 v31, v[4:7], s[20:21]
	global_store_dwordx4 v31, v[12:15], s[20:21] offset:16
	global_store_dwordx4 v31, v[12:15], s[20:21] offset:32
	;; [unrolled: 1-line block ×3, first 2 shown]
	s_and_saveexec_b32 s5, s4
	s_cbranch_execz .LBB6_1305
; %bb.1298:
	v_mov_b32_e32 v6, 0
	v_mov_b32_e32 v12, s10
	;; [unrolled: 1-line block ×3, first 2 shown]
	s_clause 0x1
	global_load_dwordx2 v[14:15], v6, s[6:7] offset:32 glc dlc
	global_load_dwordx2 v[2:3], v6, s[6:7] offset:40
	s_waitcnt vmcnt(0)
	v_readfirstlane_b32 s16, v2
	v_readfirstlane_b32 s17, v3
	s_and_b64 s[16:17], s[16:17], s[10:11]
	s_mul_i32 s17, s17, 24
	s_mul_hi_u32 s18, s16, 24
	s_mul_i32 s16, s16, 24
	s_add_i32 s18, s18, s17
	v_add_co_u32 v4, vcc_lo, v0, s16
	v_add_co_ci_u32_e32 v5, vcc_lo, s18, v1, vcc_lo
	s_mov_b32 s16, exec_lo
	global_store_dwordx2 v[4:5], v[14:15], off
	s_waitcnt_vscnt null, 0x0
	global_atomic_cmpswap_x2 v[2:3], v6, v[12:15], s[6:7] offset:32 glc
	s_waitcnt vmcnt(0)
	v_cmpx_ne_u64_e64 v[2:3], v[14:15]
	s_cbranch_execz .LBB6_1301
; %bb.1299:
	s_mov_b32 s17, 0
.LBB6_1300:                             ; =>This Inner Loop Header: Depth=1
	v_mov_b32_e32 v0, s10
	v_mov_b32_e32 v1, s11
	s_sleep 1
	global_store_dwordx2 v[4:5], v[2:3], off
	s_waitcnt_vscnt null, 0x0
	global_atomic_cmpswap_x2 v[0:1], v6, v[0:3], s[6:7] offset:32 glc
	s_waitcnt vmcnt(0)
	v_cmp_eq_u64_e32 vcc_lo, v[0:1], v[2:3]
	v_mov_b32_e32 v3, v1
	v_mov_b32_e32 v2, v0
	s_or_b32 s17, vcc_lo, s17
	s_andn2_b32 exec_lo, exec_lo, s17
	s_cbranch_execnz .LBB6_1300
.LBB6_1301:
	s_or_b32 exec_lo, exec_lo, s16
	v_mov_b32_e32 v3, 0
	s_mov_b32 s17, exec_lo
	s_mov_b32 s16, exec_lo
	v_mbcnt_lo_u32_b32 v2, s17, 0
	global_load_dwordx2 v[0:1], v3, s[6:7] offset:16
	v_cmpx_eq_u32_e32 0, v2
	s_cbranch_execz .LBB6_1303
; %bb.1302:
	s_bcnt1_i32_b32 s17, s17
	v_mov_b32_e32 v2, s17
	s_waitcnt vmcnt(0)
	global_atomic_add_x2 v[0:1], v[2:3], off offset:8
.LBB6_1303:
	s_or_b32 exec_lo, exec_lo, s16
	s_waitcnt vmcnt(0)
	global_load_dwordx2 v[2:3], v[0:1], off offset:16
	s_waitcnt vmcnt(0)
	v_cmp_eq_u64_e32 vcc_lo, 0, v[2:3]
	s_cbranch_vccnz .LBB6_1305
; %bb.1304:
	global_load_dword v0, v[0:1], off offset:24
	v_mov_b32_e32 v1, 0
	s_waitcnt vmcnt(0)
	v_and_b32_e32 v4, 0x7fffff, v0
	s_waitcnt_vscnt null, 0x0
	global_store_dwordx2 v[2:3], v[0:1], off
	v_readfirstlane_b32 m0, v4
	s_sendmsg sendmsg(MSG_INTERRUPT)
.LBB6_1305:
	s_or_b32 exec_lo, exec_lo, s5
	s_branch .LBB6_1309
	.p2align	6
.LBB6_1306:                             ;   in Loop: Header=BB6_1309 Depth=1
	s_or_b32 exec_lo, exec_lo, s5
	v_readfirstlane_b32 s5, v0
	s_cmp_eq_u32 s5, 0
	s_cbranch_scc1 .LBB6_1308
; %bb.1307:                             ;   in Loop: Header=BB6_1309 Depth=1
	s_sleep 1
	s_cbranch_execnz .LBB6_1309
	s_branch .LBB6_1311
	.p2align	6
.LBB6_1308:
	s_branch .LBB6_1311
.LBB6_1309:                             ; =>This Inner Loop Header: Depth=1
	v_mov_b32_e32 v0, 1
	s_and_saveexec_b32 s5, s4
	s_cbranch_execz .LBB6_1306
; %bb.1310:                             ;   in Loop: Header=BB6_1309 Depth=1
	global_load_dword v0, v[8:9], off offset:20 glc dlc
	s_waitcnt vmcnt(0)
	buffer_gl1_inv
	buffer_gl0_inv
	v_and_b32_e32 v0, 1, v0
	s_branch .LBB6_1306
.LBB6_1311:
	global_load_dwordx2 v[4:5], v[10:11], off
	s_and_saveexec_b32 s5, s4
	s_cbranch_execz .LBB6_1315
; %bb.1312:
	v_mov_b32_e32 v8, 0
	s_clause 0x2
	global_load_dwordx2 v[2:3], v8, s[6:7] offset:40
	global_load_dwordx2 v[9:10], v8, s[6:7] offset:24 glc dlc
	global_load_dwordx2 v[6:7], v8, s[6:7]
	s_waitcnt vmcnt(2)
	v_add_co_u32 v11, vcc_lo, v2, 1
	v_add_co_ci_u32_e32 v12, vcc_lo, 0, v3, vcc_lo
	v_add_co_u32 v0, vcc_lo, v11, s10
	v_add_co_ci_u32_e32 v1, vcc_lo, s11, v12, vcc_lo
	v_cmp_eq_u64_e32 vcc_lo, 0, v[0:1]
	v_cndmask_b32_e32 v1, v1, v12, vcc_lo
	v_cndmask_b32_e32 v0, v0, v11, vcc_lo
	v_and_b32_e32 v3, v1, v3
	v_and_b32_e32 v2, v0, v2
	v_mul_lo_u32 v3, v3, 24
	v_mul_hi_u32 v11, v2, 24
	v_mul_lo_u32 v2, v2, 24
	v_add_nc_u32_e32 v3, v11, v3
	s_waitcnt vmcnt(0)
	v_add_co_u32 v6, vcc_lo, v6, v2
	v_mov_b32_e32 v2, v9
	v_add_co_ci_u32_e32 v7, vcc_lo, v7, v3, vcc_lo
	v_mov_b32_e32 v3, v10
	global_store_dwordx2 v[6:7], v[9:10], off
	s_waitcnt_vscnt null, 0x0
	global_atomic_cmpswap_x2 v[2:3], v8, v[0:3], s[6:7] offset:24 glc
	s_waitcnt vmcnt(0)
	v_cmp_ne_u64_e32 vcc_lo, v[2:3], v[9:10]
	s_and_b32 exec_lo, exec_lo, vcc_lo
	s_cbranch_execz .LBB6_1315
; %bb.1313:
	s_mov_b32 s4, 0
.LBB6_1314:                             ; =>This Inner Loop Header: Depth=1
	s_sleep 1
	global_store_dwordx2 v[6:7], v[2:3], off
	s_waitcnt_vscnt null, 0x0
	global_atomic_cmpswap_x2 v[9:10], v8, v[0:3], s[6:7] offset:24 glc
	s_waitcnt vmcnt(0)
	v_cmp_eq_u64_e32 vcc_lo, v[9:10], v[2:3]
	v_mov_b32_e32 v2, v9
	v_mov_b32_e32 v3, v10
	s_or_b32 s4, vcc_lo, s4
	s_andn2_b32 exec_lo, exec_lo, s4
	s_cbranch_execnz .LBB6_1314
.LBB6_1315:
	s_or_b32 exec_lo, exec_lo, s5
	s_and_b32 vcc_lo, exec_lo, s15
	s_cbranch_vccz .LBB6_1394
; %bb.1316:
	s_waitcnt vmcnt(0)
	v_and_b32_e32 v28, 2, v4
	v_mov_b32_e32 v7, 0
	v_and_b32_e32 v0, -3, v4
	v_mov_b32_e32 v1, v5
	v_mov_b32_e32 v8, 2
	;; [unrolled: 1-line block ×3, first 2 shown]
	s_mov_b64 s[16:17], 3
	s_getpc_b64 s[10:11]
	s_add_u32 s10, s10, .str.5@rel32@lo+4
	s_addc_u32 s11, s11, .str.5@rel32@hi+12
	s_branch .LBB6_1318
.LBB6_1317:                             ;   in Loop: Header=BB6_1318 Depth=1
	s_or_b32 exec_lo, exec_lo, s5
	s_sub_u32 s16, s16, s18
	s_subb_u32 s17, s17, s19
	s_add_u32 s10, s10, s18
	s_addc_u32 s11, s11, s19
	s_cmp_lg_u64 s[16:17], 0
	s_cbranch_scc0 .LBB6_1393
.LBB6_1318:                             ; =>This Loop Header: Depth=1
                                        ;     Child Loop BB6_1327 Depth 2
                                        ;     Child Loop BB6_1323 Depth 2
	;; [unrolled: 1-line block ×11, first 2 shown]
	v_cmp_lt_u64_e64 s4, s[16:17], 56
	v_cmp_gt_u64_e64 s5, s[16:17], 7
                                        ; implicit-def: $vgpr2_vgpr3
                                        ; implicit-def: $sgpr15
	s_and_b32 s4, s4, exec_lo
	s_cselect_b32 s19, s17, 0
	s_cselect_b32 s18, s16, 56
	s_and_b32 vcc_lo, exec_lo, s5
	s_mov_b32 s4, -1
	s_cbranch_vccz .LBB6_1325
; %bb.1319:                             ;   in Loop: Header=BB6_1318 Depth=1
	s_andn2_b32 vcc_lo, exec_lo, s4
	s_mov_b64 s[4:5], s[10:11]
	s_cbranch_vccz .LBB6_1329
.LBB6_1320:                             ;   in Loop: Header=BB6_1318 Depth=1
	s_cmp_gt_u32 s15, 7
	s_cbranch_scc1 .LBB6_1330
.LBB6_1321:                             ;   in Loop: Header=BB6_1318 Depth=1
	v_mov_b32_e32 v10, 0
	v_mov_b32_e32 v11, 0
	s_cmp_eq_u32 s15, 0
	s_cbranch_scc1 .LBB6_1324
; %bb.1322:                             ;   in Loop: Header=BB6_1318 Depth=1
	s_mov_b64 s[20:21], 0
	s_mov_b64 s[22:23], 0
.LBB6_1323:                             ;   Parent Loop BB6_1318 Depth=1
                                        ; =>  This Inner Loop Header: Depth=2
	s_add_u32 s24, s4, s22
	s_addc_u32 s25, s5, s23
	s_add_u32 s22, s22, 1
	global_load_ubyte v6, v7, s[24:25]
	s_addc_u32 s23, s23, 0
	s_waitcnt vmcnt(0)
	v_and_b32_e32 v6, 0xffff, v6
	v_lshlrev_b64 v[12:13], s20, v[6:7]
	s_add_u32 s20, s20, 8
	s_addc_u32 s21, s21, 0
	s_cmp_lg_u32 s15, s22
	v_or_b32_e32 v10, v12, v10
	v_or_b32_e32 v11, v13, v11
	s_cbranch_scc1 .LBB6_1323
.LBB6_1324:                             ;   in Loop: Header=BB6_1318 Depth=1
	s_mov_b32 s24, 0
	s_cbranch_execz .LBB6_1331
	s_branch .LBB6_1332
.LBB6_1325:                             ;   in Loop: Header=BB6_1318 Depth=1
	s_waitcnt vmcnt(0)
	v_mov_b32_e32 v2, 0
	v_mov_b32_e32 v3, 0
	s_cmp_eq_u64 s[16:17], 0
	s_mov_b64 s[4:5], 0
	s_cbranch_scc1 .LBB6_1328
; %bb.1326:                             ;   in Loop: Header=BB6_1318 Depth=1
	v_mov_b32_e32 v2, 0
	v_mov_b32_e32 v3, 0
	s_lshl_b64 s[20:21], s[18:19], 3
	s_mov_b64 s[22:23], s[10:11]
.LBB6_1327:                             ;   Parent Loop BB6_1318 Depth=1
                                        ; =>  This Inner Loop Header: Depth=2
	global_load_ubyte v6, v7, s[22:23]
	s_waitcnt vmcnt(0)
	v_and_b32_e32 v6, 0xffff, v6
	v_lshlrev_b64 v[10:11], s4, v[6:7]
	s_add_u32 s4, s4, 8
	s_addc_u32 s5, s5, 0
	s_add_u32 s22, s22, 1
	s_addc_u32 s23, s23, 0
	s_cmp_lg_u32 s20, s4
	v_or_b32_e32 v2, v10, v2
	v_or_b32_e32 v3, v11, v3
	s_cbranch_scc1 .LBB6_1327
.LBB6_1328:                             ;   in Loop: Header=BB6_1318 Depth=1
	s_mov_b32 s15, 0
	s_mov_b64 s[4:5], s[10:11]
	s_cbranch_execnz .LBB6_1320
.LBB6_1329:                             ;   in Loop: Header=BB6_1318 Depth=1
	global_load_dwordx2 v[2:3], v7, s[10:11]
	s_add_i32 s15, s18, -8
	s_add_u32 s4, s10, 8
	s_addc_u32 s5, s11, 0
	s_cmp_gt_u32 s15, 7
	s_cbranch_scc0 .LBB6_1321
.LBB6_1330:                             ;   in Loop: Header=BB6_1318 Depth=1
                                        ; implicit-def: $vgpr10_vgpr11
                                        ; implicit-def: $sgpr24
.LBB6_1331:                             ;   in Loop: Header=BB6_1318 Depth=1
	global_load_dwordx2 v[10:11], v7, s[4:5]
	s_add_i32 s24, s15, -8
	s_add_u32 s4, s4, 8
	s_addc_u32 s5, s5, 0
.LBB6_1332:                             ;   in Loop: Header=BB6_1318 Depth=1
	s_cmp_gt_u32 s24, 7
	s_cbranch_scc1 .LBB6_1337
; %bb.1333:                             ;   in Loop: Header=BB6_1318 Depth=1
	v_mov_b32_e32 v12, 0
	v_mov_b32_e32 v13, 0
	s_cmp_eq_u32 s24, 0
	s_cbranch_scc1 .LBB6_1336
; %bb.1334:                             ;   in Loop: Header=BB6_1318 Depth=1
	s_mov_b64 s[20:21], 0
	s_mov_b64 s[22:23], 0
.LBB6_1335:                             ;   Parent Loop BB6_1318 Depth=1
                                        ; =>  This Inner Loop Header: Depth=2
	s_add_u32 s26, s4, s22
	s_addc_u32 s27, s5, s23
	s_add_u32 s22, s22, 1
	global_load_ubyte v6, v7, s[26:27]
	s_addc_u32 s23, s23, 0
	s_waitcnt vmcnt(0)
	v_and_b32_e32 v6, 0xffff, v6
	v_lshlrev_b64 v[14:15], s20, v[6:7]
	s_add_u32 s20, s20, 8
	s_addc_u32 s21, s21, 0
	s_cmp_lg_u32 s24, s22
	v_or_b32_e32 v12, v14, v12
	v_or_b32_e32 v13, v15, v13
	s_cbranch_scc1 .LBB6_1335
.LBB6_1336:                             ;   in Loop: Header=BB6_1318 Depth=1
	s_mov_b32 s15, 0
	s_cbranch_execz .LBB6_1338
	s_branch .LBB6_1339
.LBB6_1337:                             ;   in Loop: Header=BB6_1318 Depth=1
                                        ; implicit-def: $sgpr15
.LBB6_1338:                             ;   in Loop: Header=BB6_1318 Depth=1
	global_load_dwordx2 v[12:13], v7, s[4:5]
	s_add_i32 s15, s24, -8
	s_add_u32 s4, s4, 8
	s_addc_u32 s5, s5, 0
.LBB6_1339:                             ;   in Loop: Header=BB6_1318 Depth=1
	s_cmp_gt_u32 s15, 7
	s_cbranch_scc1 .LBB6_1344
; %bb.1340:                             ;   in Loop: Header=BB6_1318 Depth=1
	v_mov_b32_e32 v14, 0
	v_mov_b32_e32 v15, 0
	s_cmp_eq_u32 s15, 0
	s_cbranch_scc1 .LBB6_1343
; %bb.1341:                             ;   in Loop: Header=BB6_1318 Depth=1
	s_mov_b64 s[20:21], 0
	s_mov_b64 s[22:23], 0
.LBB6_1342:                             ;   Parent Loop BB6_1318 Depth=1
                                        ; =>  This Inner Loop Header: Depth=2
	s_add_u32 s24, s4, s22
	s_addc_u32 s25, s5, s23
	s_add_u32 s22, s22, 1
	global_load_ubyte v6, v7, s[24:25]
	s_addc_u32 s23, s23, 0
	s_waitcnt vmcnt(0)
	v_and_b32_e32 v6, 0xffff, v6
	v_lshlrev_b64 v[16:17], s20, v[6:7]
	s_add_u32 s20, s20, 8
	s_addc_u32 s21, s21, 0
	s_cmp_lg_u32 s15, s22
	v_or_b32_e32 v14, v16, v14
	v_or_b32_e32 v15, v17, v15
	s_cbranch_scc1 .LBB6_1342
.LBB6_1343:                             ;   in Loop: Header=BB6_1318 Depth=1
	s_mov_b32 s24, 0
	s_cbranch_execz .LBB6_1345
	s_branch .LBB6_1346
.LBB6_1344:                             ;   in Loop: Header=BB6_1318 Depth=1
                                        ; implicit-def: $vgpr14_vgpr15
                                        ; implicit-def: $sgpr24
.LBB6_1345:                             ;   in Loop: Header=BB6_1318 Depth=1
	global_load_dwordx2 v[14:15], v7, s[4:5]
	s_add_i32 s24, s15, -8
	s_add_u32 s4, s4, 8
	s_addc_u32 s5, s5, 0
.LBB6_1346:                             ;   in Loop: Header=BB6_1318 Depth=1
	s_cmp_gt_u32 s24, 7
	s_cbranch_scc1 .LBB6_1351
; %bb.1347:                             ;   in Loop: Header=BB6_1318 Depth=1
	v_mov_b32_e32 v16, 0
	v_mov_b32_e32 v17, 0
	s_cmp_eq_u32 s24, 0
	s_cbranch_scc1 .LBB6_1350
; %bb.1348:                             ;   in Loop: Header=BB6_1318 Depth=1
	s_mov_b64 s[20:21], 0
	s_mov_b64 s[22:23], 0
.LBB6_1349:                             ;   Parent Loop BB6_1318 Depth=1
                                        ; =>  This Inner Loop Header: Depth=2
	s_add_u32 s26, s4, s22
	s_addc_u32 s27, s5, s23
	s_add_u32 s22, s22, 1
	global_load_ubyte v6, v7, s[26:27]
	s_addc_u32 s23, s23, 0
	s_waitcnt vmcnt(0)
	v_and_b32_e32 v6, 0xffff, v6
	v_lshlrev_b64 v[18:19], s20, v[6:7]
	s_add_u32 s20, s20, 8
	s_addc_u32 s21, s21, 0
	s_cmp_lg_u32 s24, s22
	v_or_b32_e32 v16, v18, v16
	v_or_b32_e32 v17, v19, v17
	s_cbranch_scc1 .LBB6_1349
.LBB6_1350:                             ;   in Loop: Header=BB6_1318 Depth=1
	s_mov_b32 s15, 0
	s_cbranch_execz .LBB6_1352
	s_branch .LBB6_1353
.LBB6_1351:                             ;   in Loop: Header=BB6_1318 Depth=1
                                        ; implicit-def: $sgpr15
.LBB6_1352:                             ;   in Loop: Header=BB6_1318 Depth=1
	global_load_dwordx2 v[16:17], v7, s[4:5]
	s_add_i32 s15, s24, -8
	s_add_u32 s4, s4, 8
	s_addc_u32 s5, s5, 0
.LBB6_1353:                             ;   in Loop: Header=BB6_1318 Depth=1
	s_cmp_gt_u32 s15, 7
	s_cbranch_scc1 .LBB6_1358
; %bb.1354:                             ;   in Loop: Header=BB6_1318 Depth=1
	v_mov_b32_e32 v18, 0
	v_mov_b32_e32 v19, 0
	s_cmp_eq_u32 s15, 0
	s_cbranch_scc1 .LBB6_1357
; %bb.1355:                             ;   in Loop: Header=BB6_1318 Depth=1
	s_mov_b64 s[20:21], 0
	s_mov_b64 s[22:23], 0
.LBB6_1356:                             ;   Parent Loop BB6_1318 Depth=1
                                        ; =>  This Inner Loop Header: Depth=2
	s_add_u32 s24, s4, s22
	s_addc_u32 s25, s5, s23
	s_add_u32 s22, s22, 1
	global_load_ubyte v6, v7, s[24:25]
	s_addc_u32 s23, s23, 0
	s_waitcnt vmcnt(0)
	v_and_b32_e32 v6, 0xffff, v6
	v_lshlrev_b64 v[20:21], s20, v[6:7]
	s_add_u32 s20, s20, 8
	s_addc_u32 s21, s21, 0
	s_cmp_lg_u32 s15, s22
	v_or_b32_e32 v18, v20, v18
	v_or_b32_e32 v19, v21, v19
	s_cbranch_scc1 .LBB6_1356
.LBB6_1357:                             ;   in Loop: Header=BB6_1318 Depth=1
	s_mov_b32 s24, 0
	s_cbranch_execz .LBB6_1359
	s_branch .LBB6_1360
.LBB6_1358:                             ;   in Loop: Header=BB6_1318 Depth=1
                                        ; implicit-def: $vgpr18_vgpr19
                                        ; implicit-def: $sgpr24
.LBB6_1359:                             ;   in Loop: Header=BB6_1318 Depth=1
	global_load_dwordx2 v[18:19], v7, s[4:5]
	s_add_i32 s24, s15, -8
	s_add_u32 s4, s4, 8
	s_addc_u32 s5, s5, 0
.LBB6_1360:                             ;   in Loop: Header=BB6_1318 Depth=1
	s_cmp_gt_u32 s24, 7
	s_cbranch_scc1 .LBB6_1365
; %bb.1361:                             ;   in Loop: Header=BB6_1318 Depth=1
	v_mov_b32_e32 v20, 0
	v_mov_b32_e32 v21, 0
	s_cmp_eq_u32 s24, 0
	s_cbranch_scc1 .LBB6_1364
; %bb.1362:                             ;   in Loop: Header=BB6_1318 Depth=1
	s_mov_b64 s[20:21], 0
	s_mov_b64 s[22:23], s[4:5]
.LBB6_1363:                             ;   Parent Loop BB6_1318 Depth=1
                                        ; =>  This Inner Loop Header: Depth=2
	global_load_ubyte v6, v7, s[22:23]
	s_add_i32 s24, s24, -1
	s_waitcnt vmcnt(0)
	v_and_b32_e32 v6, 0xffff, v6
	v_lshlrev_b64 v[22:23], s20, v[6:7]
	s_add_u32 s20, s20, 8
	s_addc_u32 s21, s21, 0
	s_add_u32 s22, s22, 1
	s_addc_u32 s23, s23, 0
	s_cmp_lg_u32 s24, 0
	v_or_b32_e32 v20, v22, v20
	v_or_b32_e32 v21, v23, v21
	s_cbranch_scc1 .LBB6_1363
.LBB6_1364:                             ;   in Loop: Header=BB6_1318 Depth=1
	s_cbranch_execz .LBB6_1366
	s_branch .LBB6_1367
.LBB6_1365:                             ;   in Loop: Header=BB6_1318 Depth=1
.LBB6_1366:                             ;   in Loop: Header=BB6_1318 Depth=1
	global_load_dwordx2 v[20:21], v7, s[4:5]
.LBB6_1367:                             ;   in Loop: Header=BB6_1318 Depth=1
	v_readfirstlane_b32 s4, v32
	v_mov_b32_e32 v26, 0
	v_mov_b32_e32 v27, 0
	v_cmp_eq_u32_e64 s4, s4, v32
	s_and_saveexec_b32 s5, s4
	s_cbranch_execz .LBB6_1373
; %bb.1368:                             ;   in Loop: Header=BB6_1318 Depth=1
	global_load_dwordx2 v[24:25], v7, s[6:7] offset:24 glc dlc
	s_waitcnt vmcnt(0)
	buffer_gl1_inv
	buffer_gl0_inv
	s_clause 0x1
	global_load_dwordx2 v[22:23], v7, s[6:7] offset:40
	global_load_dwordx2 v[26:27], v7, s[6:7]
	s_mov_b32 s15, exec_lo
	s_waitcnt vmcnt(1)
	v_and_b32_e32 v6, v23, v25
	v_and_b32_e32 v22, v22, v24
	v_mul_lo_u32 v6, v6, 24
	v_mul_hi_u32 v23, v22, 24
	v_mul_lo_u32 v22, v22, 24
	v_add_nc_u32_e32 v6, v23, v6
	s_waitcnt vmcnt(0)
	v_add_co_u32 v22, vcc_lo, v26, v22
	v_add_co_ci_u32_e32 v23, vcc_lo, v27, v6, vcc_lo
	global_load_dwordx2 v[22:23], v[22:23], off glc dlc
	s_waitcnt vmcnt(0)
	global_atomic_cmpswap_x2 v[26:27], v7, v[22:25], s[6:7] offset:24 glc
	s_waitcnt vmcnt(0)
	buffer_gl1_inv
	buffer_gl0_inv
	v_cmpx_ne_u64_e64 v[26:27], v[24:25]
	s_cbranch_execz .LBB6_1372
; %bb.1369:                             ;   in Loop: Header=BB6_1318 Depth=1
	s_mov_b32 s20, 0
	.p2align	6
.LBB6_1370:                             ;   Parent Loop BB6_1318 Depth=1
                                        ; =>  This Inner Loop Header: Depth=2
	s_sleep 1
	s_clause 0x1
	global_load_dwordx2 v[22:23], v7, s[6:7] offset:40
	global_load_dwordx2 v[29:30], v7, s[6:7]
	v_mov_b32_e32 v24, v26
	v_mov_b32_e32 v25, v27
	s_waitcnt vmcnt(1)
	v_and_b32_e32 v6, v22, v24
	v_and_b32_e32 v22, v23, v25
	s_waitcnt vmcnt(0)
	v_mad_u64_u32 v[26:27], null, v6, 24, v[29:30]
	v_mov_b32_e32 v6, v27
	v_mad_u64_u32 v[22:23], null, v22, 24, v[6:7]
	v_mov_b32_e32 v27, v22
	global_load_dwordx2 v[22:23], v[26:27], off glc dlc
	s_waitcnt vmcnt(0)
	global_atomic_cmpswap_x2 v[26:27], v7, v[22:25], s[6:7] offset:24 glc
	s_waitcnt vmcnt(0)
	buffer_gl1_inv
	buffer_gl0_inv
	v_cmp_eq_u64_e32 vcc_lo, v[26:27], v[24:25]
	s_or_b32 s20, vcc_lo, s20
	s_andn2_b32 exec_lo, exec_lo, s20
	s_cbranch_execnz .LBB6_1370
; %bb.1371:                             ;   in Loop: Header=BB6_1318 Depth=1
	s_or_b32 exec_lo, exec_lo, s20
.LBB6_1372:                             ;   in Loop: Header=BB6_1318 Depth=1
	s_or_b32 exec_lo, exec_lo, s15
.LBB6_1373:                             ;   in Loop: Header=BB6_1318 Depth=1
	s_or_b32 exec_lo, exec_lo, s5
	s_clause 0x1
	global_load_dwordx2 v[29:30], v7, s[6:7] offset:40
	global_load_dwordx4 v[22:25], v7, s[6:7]
	v_readfirstlane_b32 s20, v26
	v_readfirstlane_b32 s21, v27
	s_mov_b32 s5, exec_lo
	s_waitcnt vmcnt(1)
	v_readfirstlane_b32 s22, v29
	v_readfirstlane_b32 s23, v30
	s_and_b64 s[22:23], s[20:21], s[22:23]
	s_mul_i32 s15, s23, 24
	s_mul_hi_u32 s24, s22, 24
	s_mul_i32 s25, s22, 24
	s_add_i32 s24, s24, s15
	s_waitcnt vmcnt(0)
	v_add_co_u32 v26, vcc_lo, v22, s25
	v_add_co_ci_u32_e32 v27, vcc_lo, s24, v23, vcc_lo
	s_and_saveexec_b32 s15, s4
	s_cbranch_execz .LBB6_1375
; %bb.1374:                             ;   in Loop: Header=BB6_1318 Depth=1
	v_mov_b32_e32 v6, s5
	global_store_dwordx4 v[26:27], v[6:9], off offset:8
.LBB6_1375:                             ;   in Loop: Header=BB6_1318 Depth=1
	s_or_b32 exec_lo, exec_lo, s15
	s_lshl_b64 s[22:23], s[22:23], 12
	v_cmp_gt_u64_e64 vcc_lo, s[16:17], 56
	v_or_b32_e32 v29, v0, v28
	v_add_co_u32 v24, s5, v24, s22
	v_add_co_ci_u32_e64 v25, s5, s23, v25, s5
	s_lshl_b32 s5, s18, 2
	v_or_b32_e32 v6, 0, v1
	v_cndmask_b32_e32 v0, v29, v0, vcc_lo
	s_add_i32 s5, s5, 28
	v_readfirstlane_b32 s22, v24
	s_and_b32 s5, s5, 0x1e0
	v_cndmask_b32_e32 v1, v6, v1, vcc_lo
	v_readfirstlane_b32 s23, v25
	v_and_or_b32 v0, 0xffffff1f, v0, s5
	global_store_dwordx4 v31, v[0:3], s[22:23]
	global_store_dwordx4 v31, v[10:13], s[22:23] offset:16
	global_store_dwordx4 v31, v[14:17], s[22:23] offset:32
	;; [unrolled: 1-line block ×3, first 2 shown]
	s_and_saveexec_b32 s5, s4
	s_cbranch_execz .LBB6_1383
; %bb.1376:                             ;   in Loop: Header=BB6_1318 Depth=1
	s_clause 0x1
	global_load_dwordx2 v[14:15], v7, s[6:7] offset:32 glc dlc
	global_load_dwordx2 v[0:1], v7, s[6:7] offset:40
	v_mov_b32_e32 v12, s20
	v_mov_b32_e32 v13, s21
	s_waitcnt vmcnt(0)
	v_readfirstlane_b32 s22, v0
	v_readfirstlane_b32 s23, v1
	s_and_b64 s[22:23], s[22:23], s[20:21]
	s_mul_i32 s15, s23, 24
	s_mul_hi_u32 s23, s22, 24
	s_mul_i32 s22, s22, 24
	s_add_i32 s23, s23, s15
	v_add_co_u32 v10, vcc_lo, v22, s22
	v_add_co_ci_u32_e32 v11, vcc_lo, s23, v23, vcc_lo
	s_mov_b32 s15, exec_lo
	global_store_dwordx2 v[10:11], v[14:15], off
	s_waitcnt_vscnt null, 0x0
	global_atomic_cmpswap_x2 v[2:3], v7, v[12:15], s[6:7] offset:32 glc
	s_waitcnt vmcnt(0)
	v_cmpx_ne_u64_e64 v[2:3], v[14:15]
	s_cbranch_execz .LBB6_1379
; %bb.1377:                             ;   in Loop: Header=BB6_1318 Depth=1
	s_mov_b32 s22, 0
.LBB6_1378:                             ;   Parent Loop BB6_1318 Depth=1
                                        ; =>  This Inner Loop Header: Depth=2
	v_mov_b32_e32 v0, s20
	v_mov_b32_e32 v1, s21
	s_sleep 1
	global_store_dwordx2 v[10:11], v[2:3], off
	s_waitcnt_vscnt null, 0x0
	global_atomic_cmpswap_x2 v[0:1], v7, v[0:3], s[6:7] offset:32 glc
	s_waitcnt vmcnt(0)
	v_cmp_eq_u64_e32 vcc_lo, v[0:1], v[2:3]
	v_mov_b32_e32 v3, v1
	v_mov_b32_e32 v2, v0
	s_or_b32 s22, vcc_lo, s22
	s_andn2_b32 exec_lo, exec_lo, s22
	s_cbranch_execnz .LBB6_1378
.LBB6_1379:                             ;   in Loop: Header=BB6_1318 Depth=1
	s_or_b32 exec_lo, exec_lo, s15
	global_load_dwordx2 v[0:1], v7, s[6:7] offset:16
	s_mov_b32 s22, exec_lo
	s_mov_b32 s15, exec_lo
	v_mbcnt_lo_u32_b32 v2, s22, 0
	v_cmpx_eq_u32_e32 0, v2
	s_cbranch_execz .LBB6_1381
; %bb.1380:                             ;   in Loop: Header=BB6_1318 Depth=1
	s_bcnt1_i32_b32 s22, s22
	v_mov_b32_e32 v6, s22
	s_waitcnt vmcnt(0)
	global_atomic_add_x2 v[0:1], v[6:7], off offset:8
.LBB6_1381:                             ;   in Loop: Header=BB6_1318 Depth=1
	s_or_b32 exec_lo, exec_lo, s15
	s_waitcnt vmcnt(0)
	global_load_dwordx2 v[2:3], v[0:1], off offset:16
	s_waitcnt vmcnt(0)
	v_cmp_eq_u64_e32 vcc_lo, 0, v[2:3]
	s_cbranch_vccnz .LBB6_1383
; %bb.1382:                             ;   in Loop: Header=BB6_1318 Depth=1
	global_load_dword v6, v[0:1], off offset:24
	s_waitcnt vmcnt(0)
	v_and_b32_e32 v0, 0x7fffff, v6
	s_waitcnt_vscnt null, 0x0
	global_store_dwordx2 v[2:3], v[6:7], off
	v_readfirstlane_b32 m0, v0
	s_sendmsg sendmsg(MSG_INTERRUPT)
.LBB6_1383:                             ;   in Loop: Header=BB6_1318 Depth=1
	s_or_b32 exec_lo, exec_lo, s5
	v_add_co_u32 v0, vcc_lo, v24, v31
	v_add_co_ci_u32_e32 v1, vcc_lo, 0, v25, vcc_lo
	s_branch .LBB6_1387
	.p2align	6
.LBB6_1384:                             ;   in Loop: Header=BB6_1387 Depth=2
	s_or_b32 exec_lo, exec_lo, s5
	v_readfirstlane_b32 s5, v2
	s_cmp_eq_u32 s5, 0
	s_cbranch_scc1 .LBB6_1386
; %bb.1385:                             ;   in Loop: Header=BB6_1387 Depth=2
	s_sleep 1
	s_cbranch_execnz .LBB6_1387
	s_branch .LBB6_1389
	.p2align	6
.LBB6_1386:                             ;   in Loop: Header=BB6_1318 Depth=1
	s_branch .LBB6_1389
.LBB6_1387:                             ;   Parent Loop BB6_1318 Depth=1
                                        ; =>  This Inner Loop Header: Depth=2
	v_mov_b32_e32 v2, 1
	s_and_saveexec_b32 s5, s4
	s_cbranch_execz .LBB6_1384
; %bb.1388:                             ;   in Loop: Header=BB6_1387 Depth=2
	global_load_dword v2, v[26:27], off offset:20 glc dlc
	s_waitcnt vmcnt(0)
	buffer_gl1_inv
	buffer_gl0_inv
	v_and_b32_e32 v2, 1, v2
	s_branch .LBB6_1384
.LBB6_1389:                             ;   in Loop: Header=BB6_1318 Depth=1
	global_load_dwordx4 v[0:3], v[0:1], off
	s_and_saveexec_b32 s5, s4
	s_cbranch_execz .LBB6_1317
; %bb.1390:                             ;   in Loop: Header=BB6_1318 Depth=1
	s_clause 0x2
	global_load_dwordx2 v[2:3], v7, s[6:7] offset:40
	global_load_dwordx2 v[14:15], v7, s[6:7] offset:24 glc dlc
	global_load_dwordx2 v[12:13], v7, s[6:7]
	s_waitcnt vmcnt(2)
	v_add_co_u32 v6, vcc_lo, v2, 1
	v_add_co_ci_u32_e32 v16, vcc_lo, 0, v3, vcc_lo
	v_add_co_u32 v10, vcc_lo, v6, s20
	v_add_co_ci_u32_e32 v11, vcc_lo, s21, v16, vcc_lo
	v_cmp_eq_u64_e32 vcc_lo, 0, v[10:11]
	v_cndmask_b32_e32 v11, v11, v16, vcc_lo
	v_cndmask_b32_e32 v10, v10, v6, vcc_lo
	v_and_b32_e32 v3, v11, v3
	v_and_b32_e32 v2, v10, v2
	v_mul_lo_u32 v3, v3, 24
	v_mul_hi_u32 v6, v2, 24
	v_mul_lo_u32 v2, v2, 24
	v_add_nc_u32_e32 v3, v6, v3
	s_waitcnt vmcnt(0)
	v_add_co_u32 v2, vcc_lo, v12, v2
	v_mov_b32_e32 v12, v14
	v_add_co_ci_u32_e32 v3, vcc_lo, v13, v3, vcc_lo
	v_mov_b32_e32 v13, v15
	global_store_dwordx2 v[2:3], v[14:15], off
	s_waitcnt_vscnt null, 0x0
	global_atomic_cmpswap_x2 v[12:13], v7, v[10:13], s[6:7] offset:24 glc
	s_waitcnt vmcnt(0)
	v_cmp_ne_u64_e32 vcc_lo, v[12:13], v[14:15]
	s_and_b32 exec_lo, exec_lo, vcc_lo
	s_cbranch_execz .LBB6_1317
; %bb.1391:                             ;   in Loop: Header=BB6_1318 Depth=1
	s_mov_b32 s4, 0
.LBB6_1392:                             ;   Parent Loop BB6_1318 Depth=1
                                        ; =>  This Inner Loop Header: Depth=2
	s_sleep 1
	global_store_dwordx2 v[2:3], v[12:13], off
	s_waitcnt_vscnt null, 0x0
	global_atomic_cmpswap_x2 v[14:15], v7, v[10:13], s[6:7] offset:24 glc
	s_waitcnt vmcnt(0)
	v_cmp_eq_u64_e32 vcc_lo, v[14:15], v[12:13]
	v_mov_b32_e32 v12, v14
	v_mov_b32_e32 v13, v15
	s_or_b32 s4, vcc_lo, s4
	s_andn2_b32 exec_lo, exec_lo, s4
	s_cbranch_execnz .LBB6_1392
	s_branch .LBB6_1317
.LBB6_1393:
	s_branch .LBB6_1422
.LBB6_1394:
                                        ; implicit-def: $vgpr0_vgpr1
	s_cbranch_execz .LBB6_1422
; %bb.1395:
	v_readfirstlane_b32 s4, v32
	v_mov_b32_e32 v7, 0
	v_mov_b32_e32 v8, 0
	v_cmp_eq_u32_e64 s4, s4, v32
	s_and_saveexec_b32 s5, s4
	s_cbranch_execz .LBB6_1401
; %bb.1396:
	s_waitcnt vmcnt(0)
	v_mov_b32_e32 v0, 0
	s_mov_b32 s10, exec_lo
	global_load_dwordx2 v[9:10], v0, s[6:7] offset:24 glc dlc
	s_waitcnt vmcnt(0)
	buffer_gl1_inv
	buffer_gl0_inv
	s_clause 0x1
	global_load_dwordx2 v[1:2], v0, s[6:7] offset:40
	global_load_dwordx2 v[6:7], v0, s[6:7]
	s_waitcnt vmcnt(1)
	v_and_b32_e32 v2, v2, v10
	v_and_b32_e32 v1, v1, v9
	v_mul_lo_u32 v2, v2, 24
	v_mul_hi_u32 v3, v1, 24
	v_mul_lo_u32 v1, v1, 24
	v_add_nc_u32_e32 v2, v3, v2
	s_waitcnt vmcnt(0)
	v_add_co_u32 v1, vcc_lo, v6, v1
	v_add_co_ci_u32_e32 v2, vcc_lo, v7, v2, vcc_lo
	global_load_dwordx2 v[7:8], v[1:2], off glc dlc
	s_waitcnt vmcnt(0)
	global_atomic_cmpswap_x2 v[7:8], v0, v[7:10], s[6:7] offset:24 glc
	s_waitcnt vmcnt(0)
	buffer_gl1_inv
	buffer_gl0_inv
	v_cmpx_ne_u64_e64 v[7:8], v[9:10]
	s_cbranch_execz .LBB6_1400
; %bb.1397:
	s_mov_b32 s11, 0
	.p2align	6
.LBB6_1398:                             ; =>This Inner Loop Header: Depth=1
	s_sleep 1
	s_clause 0x1
	global_load_dwordx2 v[1:2], v0, s[6:7] offset:40
	global_load_dwordx2 v[11:12], v0, s[6:7]
	v_mov_b32_e32 v10, v8
	v_mov_b32_e32 v9, v7
	s_waitcnt vmcnt(1)
	v_and_b32_e32 v1, v1, v9
	v_and_b32_e32 v2, v2, v10
	s_waitcnt vmcnt(0)
	v_mad_u64_u32 v[6:7], null, v1, 24, v[11:12]
	v_mov_b32_e32 v1, v7
	v_mad_u64_u32 v[1:2], null, v2, 24, v[1:2]
	v_mov_b32_e32 v7, v1
	global_load_dwordx2 v[7:8], v[6:7], off glc dlc
	s_waitcnt vmcnt(0)
	global_atomic_cmpswap_x2 v[7:8], v0, v[7:10], s[6:7] offset:24 glc
	s_waitcnt vmcnt(0)
	buffer_gl1_inv
	buffer_gl0_inv
	v_cmp_eq_u64_e32 vcc_lo, v[7:8], v[9:10]
	s_or_b32 s11, vcc_lo, s11
	s_andn2_b32 exec_lo, exec_lo, s11
	s_cbranch_execnz .LBB6_1398
; %bb.1399:
	s_or_b32 exec_lo, exec_lo, s11
.LBB6_1400:
	s_or_b32 exec_lo, exec_lo, s10
.LBB6_1401:
	s_or_b32 exec_lo, exec_lo, s5
	v_mov_b32_e32 v6, 0
	v_readfirstlane_b32 s10, v7
	v_readfirstlane_b32 s11, v8
	s_mov_b32 s5, exec_lo
	s_clause 0x1
	global_load_dwordx2 v[9:10], v6, s[6:7] offset:40
	global_load_dwordx4 v[0:3], v6, s[6:7]
	s_waitcnt vmcnt(1)
	v_readfirstlane_b32 s16, v9
	v_readfirstlane_b32 s17, v10
	s_and_b64 s[16:17], s[10:11], s[16:17]
	s_mul_i32 s15, s17, 24
	s_mul_hi_u32 s18, s16, 24
	s_mul_i32 s19, s16, 24
	s_add_i32 s18, s18, s15
	s_waitcnt vmcnt(0)
	v_add_co_u32 v8, vcc_lo, v0, s19
	v_add_co_ci_u32_e32 v9, vcc_lo, s18, v1, vcc_lo
	s_and_saveexec_b32 s15, s4
	s_cbranch_execz .LBB6_1403
; %bb.1402:
	v_mov_b32_e32 v10, s5
	v_mov_b32_e32 v11, v6
	;; [unrolled: 1-line block ×4, first 2 shown]
	global_store_dwordx4 v[8:9], v[10:13], off offset:8
.LBB6_1403:
	s_or_b32 exec_lo, exec_lo, s15
	s_lshl_b64 s[16:17], s[16:17], 12
	v_and_or_b32 v4, 0xffffff1f, v4, 32
	v_add_co_u32 v2, vcc_lo, v2, s16
	v_add_co_ci_u32_e32 v3, vcc_lo, s17, v3, vcc_lo
	s_mov_b32 s16, 0
	v_add_co_u32 v10, vcc_lo, v2, v31
	s_mov_b32 s17, s16
	s_mov_b32 s18, s16
	;; [unrolled: 1-line block ×3, first 2 shown]
	v_mov_b32_e32 v7, v6
	v_readfirstlane_b32 s20, v2
	v_readfirstlane_b32 s21, v3
	v_mov_b32_e32 v12, s16
	v_add_co_ci_u32_e32 v11, vcc_lo, 0, v3, vcc_lo
	v_mov_b32_e32 v13, s17
	v_mov_b32_e32 v14, s18
	;; [unrolled: 1-line block ×3, first 2 shown]
	global_store_dwordx4 v31, v[4:7], s[20:21]
	global_store_dwordx4 v31, v[12:15], s[20:21] offset:16
	global_store_dwordx4 v31, v[12:15], s[20:21] offset:32
	;; [unrolled: 1-line block ×3, first 2 shown]
	s_and_saveexec_b32 s5, s4
	s_cbranch_execz .LBB6_1411
; %bb.1404:
	v_mov_b32_e32 v6, 0
	v_mov_b32_e32 v12, s10
	;; [unrolled: 1-line block ×3, first 2 shown]
	s_clause 0x1
	global_load_dwordx2 v[14:15], v6, s[6:7] offset:32 glc dlc
	global_load_dwordx2 v[2:3], v6, s[6:7] offset:40
	s_waitcnt vmcnt(0)
	v_readfirstlane_b32 s16, v2
	v_readfirstlane_b32 s17, v3
	s_and_b64 s[16:17], s[16:17], s[10:11]
	s_mul_i32 s15, s17, 24
	s_mul_hi_u32 s17, s16, 24
	s_mul_i32 s16, s16, 24
	s_add_i32 s17, s17, s15
	v_add_co_u32 v4, vcc_lo, v0, s16
	v_add_co_ci_u32_e32 v5, vcc_lo, s17, v1, vcc_lo
	s_mov_b32 s15, exec_lo
	global_store_dwordx2 v[4:5], v[14:15], off
	s_waitcnt_vscnt null, 0x0
	global_atomic_cmpswap_x2 v[2:3], v6, v[12:15], s[6:7] offset:32 glc
	s_waitcnt vmcnt(0)
	v_cmpx_ne_u64_e64 v[2:3], v[14:15]
	s_cbranch_execz .LBB6_1407
; %bb.1405:
	s_mov_b32 s16, 0
.LBB6_1406:                             ; =>This Inner Loop Header: Depth=1
	v_mov_b32_e32 v0, s10
	v_mov_b32_e32 v1, s11
	s_sleep 1
	global_store_dwordx2 v[4:5], v[2:3], off
	s_waitcnt_vscnt null, 0x0
	global_atomic_cmpswap_x2 v[0:1], v6, v[0:3], s[6:7] offset:32 glc
	s_waitcnt vmcnt(0)
	v_cmp_eq_u64_e32 vcc_lo, v[0:1], v[2:3]
	v_mov_b32_e32 v3, v1
	v_mov_b32_e32 v2, v0
	s_or_b32 s16, vcc_lo, s16
	s_andn2_b32 exec_lo, exec_lo, s16
	s_cbranch_execnz .LBB6_1406
.LBB6_1407:
	s_or_b32 exec_lo, exec_lo, s15
	v_mov_b32_e32 v3, 0
	s_mov_b32 s16, exec_lo
	s_mov_b32 s15, exec_lo
	v_mbcnt_lo_u32_b32 v2, s16, 0
	global_load_dwordx2 v[0:1], v3, s[6:7] offset:16
	v_cmpx_eq_u32_e32 0, v2
	s_cbranch_execz .LBB6_1409
; %bb.1408:
	s_bcnt1_i32_b32 s16, s16
	v_mov_b32_e32 v2, s16
	s_waitcnt vmcnt(0)
	global_atomic_add_x2 v[0:1], v[2:3], off offset:8
.LBB6_1409:
	s_or_b32 exec_lo, exec_lo, s15
	s_waitcnt vmcnt(0)
	global_load_dwordx2 v[2:3], v[0:1], off offset:16
	s_waitcnt vmcnt(0)
	v_cmp_eq_u64_e32 vcc_lo, 0, v[2:3]
	s_cbranch_vccnz .LBB6_1411
; %bb.1410:
	global_load_dword v0, v[0:1], off offset:24
	v_mov_b32_e32 v1, 0
	s_waitcnt vmcnt(0)
	v_and_b32_e32 v4, 0x7fffff, v0
	s_waitcnt_vscnt null, 0x0
	global_store_dwordx2 v[2:3], v[0:1], off
	v_readfirstlane_b32 m0, v4
	s_sendmsg sendmsg(MSG_INTERRUPT)
.LBB6_1411:
	s_or_b32 exec_lo, exec_lo, s5
	s_branch .LBB6_1415
	.p2align	6
.LBB6_1412:                             ;   in Loop: Header=BB6_1415 Depth=1
	s_or_b32 exec_lo, exec_lo, s5
	v_readfirstlane_b32 s5, v0
	s_cmp_eq_u32 s5, 0
	s_cbranch_scc1 .LBB6_1414
; %bb.1413:                             ;   in Loop: Header=BB6_1415 Depth=1
	s_sleep 1
	s_cbranch_execnz .LBB6_1415
	s_branch .LBB6_1417
	.p2align	6
.LBB6_1414:
	s_branch .LBB6_1417
.LBB6_1415:                             ; =>This Inner Loop Header: Depth=1
	v_mov_b32_e32 v0, 1
	s_and_saveexec_b32 s5, s4
	s_cbranch_execz .LBB6_1412
; %bb.1416:                             ;   in Loop: Header=BB6_1415 Depth=1
	global_load_dword v0, v[8:9], off offset:20 glc dlc
	s_waitcnt vmcnt(0)
	buffer_gl1_inv
	buffer_gl0_inv
	v_and_b32_e32 v0, 1, v0
	s_branch .LBB6_1412
.LBB6_1417:
	global_load_dwordx2 v[0:1], v[10:11], off
	s_and_saveexec_b32 s5, s4
	s_cbranch_execz .LBB6_1421
; %bb.1418:
	v_mov_b32_e32 v8, 0
	s_clause 0x2
	global_load_dwordx2 v[4:5], v8, s[6:7] offset:40
	global_load_dwordx2 v[9:10], v8, s[6:7] offset:24 glc dlc
	global_load_dwordx2 v[6:7], v8, s[6:7]
	s_waitcnt vmcnt(2)
	v_add_co_u32 v11, vcc_lo, v4, 1
	v_add_co_ci_u32_e32 v12, vcc_lo, 0, v5, vcc_lo
	v_add_co_u32 v2, vcc_lo, v11, s10
	v_add_co_ci_u32_e32 v3, vcc_lo, s11, v12, vcc_lo
	v_cmp_eq_u64_e32 vcc_lo, 0, v[2:3]
	v_cndmask_b32_e32 v3, v3, v12, vcc_lo
	v_cndmask_b32_e32 v2, v2, v11, vcc_lo
	v_and_b32_e32 v5, v3, v5
	v_and_b32_e32 v4, v2, v4
	v_mul_lo_u32 v5, v5, 24
	v_mul_hi_u32 v11, v4, 24
	v_mul_lo_u32 v4, v4, 24
	v_add_nc_u32_e32 v5, v11, v5
	s_waitcnt vmcnt(0)
	v_add_co_u32 v6, vcc_lo, v6, v4
	v_mov_b32_e32 v4, v9
	v_add_co_ci_u32_e32 v7, vcc_lo, v7, v5, vcc_lo
	v_mov_b32_e32 v5, v10
	global_store_dwordx2 v[6:7], v[9:10], off
	s_waitcnt_vscnt null, 0x0
	global_atomic_cmpswap_x2 v[4:5], v8, v[2:5], s[6:7] offset:24 glc
	s_waitcnt vmcnt(0)
	v_cmp_ne_u64_e32 vcc_lo, v[4:5], v[9:10]
	s_and_b32 exec_lo, exec_lo, vcc_lo
	s_cbranch_execz .LBB6_1421
; %bb.1419:
	s_mov_b32 s4, 0
.LBB6_1420:                             ; =>This Inner Loop Header: Depth=1
	s_sleep 1
	global_store_dwordx2 v[6:7], v[4:5], off
	s_waitcnt_vscnt null, 0x0
	global_atomic_cmpswap_x2 v[9:10], v8, v[2:5], s[6:7] offset:24 glc
	s_waitcnt vmcnt(0)
	v_cmp_eq_u64_e32 vcc_lo, v[9:10], v[4:5]
	v_mov_b32_e32 v4, v9
	v_mov_b32_e32 v5, v10
	s_or_b32 s4, vcc_lo, s4
	s_andn2_b32 exec_lo, exec_lo, s4
	s_cbranch_execnz .LBB6_1420
.LBB6_1421:
	s_or_b32 exec_lo, exec_lo, s5
.LBB6_1422:
	s_getpc_b64 s[10:11]
	s_add_u32 s10, s10, .str.2@rel32@lo+4
	s_addc_u32 s11, s11, .str.2@rel32@hi+12
	s_cmp_lg_u64 s[10:11], 0
	s_cbranch_scc0 .LBB6_1501
; %bb.1423:
	s_waitcnt vmcnt(0)
	v_and_b32_e32 v6, -3, v0
	v_mov_b32_e32 v7, v1
	v_mov_b32_e32 v3, 0
	;; [unrolled: 1-line block ×4, first 2 shown]
	s_mov_b64 s[16:17], 13
	s_branch .LBB6_1425
.LBB6_1424:                             ;   in Loop: Header=BB6_1425 Depth=1
	s_or_b32 exec_lo, exec_lo, s5
	s_sub_u32 s16, s16, s18
	s_subb_u32 s17, s17, s19
	s_add_u32 s10, s10, s18
	s_addc_u32 s11, s11, s19
	s_cmp_lg_u64 s[16:17], 0
	s_cbranch_scc0 .LBB6_1500
.LBB6_1425:                             ; =>This Loop Header: Depth=1
                                        ;     Child Loop BB6_1434 Depth 2
                                        ;     Child Loop BB6_1430 Depth 2
                                        ;     Child Loop BB6_1442 Depth 2
                                        ;     Child Loop BB6_1449 Depth 2
                                        ;     Child Loop BB6_1456 Depth 2
                                        ;     Child Loop BB6_1463 Depth 2
                                        ;     Child Loop BB6_1470 Depth 2
                                        ;     Child Loop BB6_1477 Depth 2
                                        ;     Child Loop BB6_1485 Depth 2
                                        ;     Child Loop BB6_1494 Depth 2
                                        ;     Child Loop BB6_1499 Depth 2
	v_cmp_lt_u64_e64 s4, s[16:17], 56
	v_cmp_gt_u64_e64 s5, s[16:17], 7
                                        ; implicit-def: $sgpr15
	s_and_b32 s4, s4, exec_lo
	s_cselect_b32 s19, s17, 0
	s_cselect_b32 s18, s16, 56
	s_and_b32 vcc_lo, exec_lo, s5
	s_mov_b32 s4, -1
	s_cbranch_vccz .LBB6_1432
; %bb.1426:                             ;   in Loop: Header=BB6_1425 Depth=1
	s_andn2_b32 vcc_lo, exec_lo, s4
	s_mov_b64 s[4:5], s[10:11]
	s_cbranch_vccz .LBB6_1436
.LBB6_1427:                             ;   in Loop: Header=BB6_1425 Depth=1
	s_cmp_gt_u32 s15, 7
	s_cbranch_scc1 .LBB6_1437
.LBB6_1428:                             ;   in Loop: Header=BB6_1425 Depth=1
	v_mov_b32_e32 v10, 0
	v_mov_b32_e32 v11, 0
	s_cmp_eq_u32 s15, 0
	s_cbranch_scc1 .LBB6_1431
; %bb.1429:                             ;   in Loop: Header=BB6_1425 Depth=1
	s_mov_b64 s[20:21], 0
	s_mov_b64 s[22:23], 0
.LBB6_1430:                             ;   Parent Loop BB6_1425 Depth=1
                                        ; =>  This Inner Loop Header: Depth=2
	s_add_u32 s24, s4, s22
	s_addc_u32 s25, s5, s23
	s_add_u32 s22, s22, 1
	global_load_ubyte v2, v3, s[24:25]
	s_addc_u32 s23, s23, 0
	s_waitcnt vmcnt(0)
	v_and_b32_e32 v2, 0xffff, v2
	v_lshlrev_b64 v[12:13], s20, v[2:3]
	s_add_u32 s20, s20, 8
	s_addc_u32 s21, s21, 0
	s_cmp_lg_u32 s15, s22
	v_or_b32_e32 v10, v12, v10
	v_or_b32_e32 v11, v13, v11
	s_cbranch_scc1 .LBB6_1430
.LBB6_1431:                             ;   in Loop: Header=BB6_1425 Depth=1
	s_mov_b32 s24, 0
	s_cbranch_execz .LBB6_1438
	s_branch .LBB6_1439
.LBB6_1432:                             ;   in Loop: Header=BB6_1425 Depth=1
	s_waitcnt vmcnt(0)
	v_mov_b32_e32 v8, 0
	v_mov_b32_e32 v9, 0
	s_cmp_eq_u64 s[16:17], 0
	s_mov_b64 s[4:5], 0
	s_cbranch_scc1 .LBB6_1435
; %bb.1433:                             ;   in Loop: Header=BB6_1425 Depth=1
	v_mov_b32_e32 v8, 0
	v_mov_b32_e32 v9, 0
	s_lshl_b64 s[20:21], s[18:19], 3
	s_mov_b64 s[22:23], s[10:11]
.LBB6_1434:                             ;   Parent Loop BB6_1425 Depth=1
                                        ; =>  This Inner Loop Header: Depth=2
	global_load_ubyte v2, v3, s[22:23]
	s_waitcnt vmcnt(0)
	v_and_b32_e32 v2, 0xffff, v2
	v_lshlrev_b64 v[10:11], s4, v[2:3]
	s_add_u32 s4, s4, 8
	s_addc_u32 s5, s5, 0
	s_add_u32 s22, s22, 1
	s_addc_u32 s23, s23, 0
	s_cmp_lg_u32 s20, s4
	v_or_b32_e32 v8, v10, v8
	v_or_b32_e32 v9, v11, v9
	s_cbranch_scc1 .LBB6_1434
.LBB6_1435:                             ;   in Loop: Header=BB6_1425 Depth=1
	s_mov_b32 s15, 0
	s_mov_b64 s[4:5], s[10:11]
	s_cbranch_execnz .LBB6_1427
.LBB6_1436:                             ;   in Loop: Header=BB6_1425 Depth=1
	global_load_dwordx2 v[8:9], v3, s[10:11]
	s_add_i32 s15, s18, -8
	s_add_u32 s4, s10, 8
	s_addc_u32 s5, s11, 0
	s_cmp_gt_u32 s15, 7
	s_cbranch_scc0 .LBB6_1428
.LBB6_1437:                             ;   in Loop: Header=BB6_1425 Depth=1
                                        ; implicit-def: $vgpr10_vgpr11
                                        ; implicit-def: $sgpr24
.LBB6_1438:                             ;   in Loop: Header=BB6_1425 Depth=1
	global_load_dwordx2 v[10:11], v3, s[4:5]
	s_add_i32 s24, s15, -8
	s_add_u32 s4, s4, 8
	s_addc_u32 s5, s5, 0
.LBB6_1439:                             ;   in Loop: Header=BB6_1425 Depth=1
	s_cmp_gt_u32 s24, 7
	s_cbranch_scc1 .LBB6_1444
; %bb.1440:                             ;   in Loop: Header=BB6_1425 Depth=1
	v_mov_b32_e32 v12, 0
	v_mov_b32_e32 v13, 0
	s_cmp_eq_u32 s24, 0
	s_cbranch_scc1 .LBB6_1443
; %bb.1441:                             ;   in Loop: Header=BB6_1425 Depth=1
	s_mov_b64 s[20:21], 0
	s_mov_b64 s[22:23], 0
.LBB6_1442:                             ;   Parent Loop BB6_1425 Depth=1
                                        ; =>  This Inner Loop Header: Depth=2
	s_add_u32 s26, s4, s22
	s_addc_u32 s27, s5, s23
	s_add_u32 s22, s22, 1
	global_load_ubyte v2, v3, s[26:27]
	s_addc_u32 s23, s23, 0
	s_waitcnt vmcnt(0)
	v_and_b32_e32 v2, 0xffff, v2
	v_lshlrev_b64 v[14:15], s20, v[2:3]
	s_add_u32 s20, s20, 8
	s_addc_u32 s21, s21, 0
	s_cmp_lg_u32 s24, s22
	v_or_b32_e32 v12, v14, v12
	v_or_b32_e32 v13, v15, v13
	s_cbranch_scc1 .LBB6_1442
.LBB6_1443:                             ;   in Loop: Header=BB6_1425 Depth=1
	s_mov_b32 s15, 0
	s_cbranch_execz .LBB6_1445
	s_branch .LBB6_1446
.LBB6_1444:                             ;   in Loop: Header=BB6_1425 Depth=1
                                        ; implicit-def: $sgpr15
.LBB6_1445:                             ;   in Loop: Header=BB6_1425 Depth=1
	global_load_dwordx2 v[12:13], v3, s[4:5]
	s_add_i32 s15, s24, -8
	s_add_u32 s4, s4, 8
	s_addc_u32 s5, s5, 0
.LBB6_1446:                             ;   in Loop: Header=BB6_1425 Depth=1
	s_cmp_gt_u32 s15, 7
	s_cbranch_scc1 .LBB6_1451
; %bb.1447:                             ;   in Loop: Header=BB6_1425 Depth=1
	v_mov_b32_e32 v14, 0
	v_mov_b32_e32 v15, 0
	s_cmp_eq_u32 s15, 0
	s_cbranch_scc1 .LBB6_1450
; %bb.1448:                             ;   in Loop: Header=BB6_1425 Depth=1
	s_mov_b64 s[20:21], 0
	s_mov_b64 s[22:23], 0
.LBB6_1449:                             ;   Parent Loop BB6_1425 Depth=1
                                        ; =>  This Inner Loop Header: Depth=2
	s_add_u32 s24, s4, s22
	s_addc_u32 s25, s5, s23
	s_add_u32 s22, s22, 1
	global_load_ubyte v2, v3, s[24:25]
	s_addc_u32 s23, s23, 0
	s_waitcnt vmcnt(0)
	v_and_b32_e32 v2, 0xffff, v2
	v_lshlrev_b64 v[16:17], s20, v[2:3]
	s_add_u32 s20, s20, 8
	s_addc_u32 s21, s21, 0
	s_cmp_lg_u32 s15, s22
	v_or_b32_e32 v14, v16, v14
	v_or_b32_e32 v15, v17, v15
	s_cbranch_scc1 .LBB6_1449
.LBB6_1450:                             ;   in Loop: Header=BB6_1425 Depth=1
	s_mov_b32 s24, 0
	s_cbranch_execz .LBB6_1452
	s_branch .LBB6_1453
.LBB6_1451:                             ;   in Loop: Header=BB6_1425 Depth=1
                                        ; implicit-def: $vgpr14_vgpr15
                                        ; implicit-def: $sgpr24
.LBB6_1452:                             ;   in Loop: Header=BB6_1425 Depth=1
	global_load_dwordx2 v[14:15], v3, s[4:5]
	s_add_i32 s24, s15, -8
	s_add_u32 s4, s4, 8
	s_addc_u32 s5, s5, 0
.LBB6_1453:                             ;   in Loop: Header=BB6_1425 Depth=1
	s_cmp_gt_u32 s24, 7
	s_cbranch_scc1 .LBB6_1458
; %bb.1454:                             ;   in Loop: Header=BB6_1425 Depth=1
	v_mov_b32_e32 v16, 0
	v_mov_b32_e32 v17, 0
	s_cmp_eq_u32 s24, 0
	s_cbranch_scc1 .LBB6_1457
; %bb.1455:                             ;   in Loop: Header=BB6_1425 Depth=1
	s_mov_b64 s[20:21], 0
	s_mov_b64 s[22:23], 0
.LBB6_1456:                             ;   Parent Loop BB6_1425 Depth=1
                                        ; =>  This Inner Loop Header: Depth=2
	s_add_u32 s26, s4, s22
	s_addc_u32 s27, s5, s23
	s_add_u32 s22, s22, 1
	global_load_ubyte v2, v3, s[26:27]
	s_addc_u32 s23, s23, 0
	s_waitcnt vmcnt(0)
	v_and_b32_e32 v2, 0xffff, v2
	v_lshlrev_b64 v[18:19], s20, v[2:3]
	s_add_u32 s20, s20, 8
	s_addc_u32 s21, s21, 0
	s_cmp_lg_u32 s24, s22
	v_or_b32_e32 v16, v18, v16
	v_or_b32_e32 v17, v19, v17
	s_cbranch_scc1 .LBB6_1456
.LBB6_1457:                             ;   in Loop: Header=BB6_1425 Depth=1
	s_mov_b32 s15, 0
	s_cbranch_execz .LBB6_1459
	s_branch .LBB6_1460
.LBB6_1458:                             ;   in Loop: Header=BB6_1425 Depth=1
                                        ; implicit-def: $sgpr15
.LBB6_1459:                             ;   in Loop: Header=BB6_1425 Depth=1
	global_load_dwordx2 v[16:17], v3, s[4:5]
	s_add_i32 s15, s24, -8
	s_add_u32 s4, s4, 8
	s_addc_u32 s5, s5, 0
.LBB6_1460:                             ;   in Loop: Header=BB6_1425 Depth=1
	s_cmp_gt_u32 s15, 7
	s_cbranch_scc1 .LBB6_1465
; %bb.1461:                             ;   in Loop: Header=BB6_1425 Depth=1
	v_mov_b32_e32 v18, 0
	v_mov_b32_e32 v19, 0
	s_cmp_eq_u32 s15, 0
	s_cbranch_scc1 .LBB6_1464
; %bb.1462:                             ;   in Loop: Header=BB6_1425 Depth=1
	s_mov_b64 s[20:21], 0
	s_mov_b64 s[22:23], 0
.LBB6_1463:                             ;   Parent Loop BB6_1425 Depth=1
                                        ; =>  This Inner Loop Header: Depth=2
	s_add_u32 s24, s4, s22
	s_addc_u32 s25, s5, s23
	s_add_u32 s22, s22, 1
	global_load_ubyte v2, v3, s[24:25]
	s_addc_u32 s23, s23, 0
	s_waitcnt vmcnt(0)
	v_and_b32_e32 v2, 0xffff, v2
	v_lshlrev_b64 v[20:21], s20, v[2:3]
	s_add_u32 s20, s20, 8
	s_addc_u32 s21, s21, 0
	s_cmp_lg_u32 s15, s22
	v_or_b32_e32 v18, v20, v18
	v_or_b32_e32 v19, v21, v19
	s_cbranch_scc1 .LBB6_1463
.LBB6_1464:                             ;   in Loop: Header=BB6_1425 Depth=1
	s_mov_b32 s24, 0
	s_cbranch_execz .LBB6_1466
	s_branch .LBB6_1467
.LBB6_1465:                             ;   in Loop: Header=BB6_1425 Depth=1
                                        ; implicit-def: $vgpr18_vgpr19
                                        ; implicit-def: $sgpr24
.LBB6_1466:                             ;   in Loop: Header=BB6_1425 Depth=1
	global_load_dwordx2 v[18:19], v3, s[4:5]
	s_add_i32 s24, s15, -8
	s_add_u32 s4, s4, 8
	s_addc_u32 s5, s5, 0
.LBB6_1467:                             ;   in Loop: Header=BB6_1425 Depth=1
	s_cmp_gt_u32 s24, 7
	s_cbranch_scc1 .LBB6_1472
; %bb.1468:                             ;   in Loop: Header=BB6_1425 Depth=1
	v_mov_b32_e32 v20, 0
	v_mov_b32_e32 v21, 0
	s_cmp_eq_u32 s24, 0
	s_cbranch_scc1 .LBB6_1471
; %bb.1469:                             ;   in Loop: Header=BB6_1425 Depth=1
	s_mov_b64 s[20:21], 0
	s_mov_b64 s[22:23], s[4:5]
.LBB6_1470:                             ;   Parent Loop BB6_1425 Depth=1
                                        ; =>  This Inner Loop Header: Depth=2
	global_load_ubyte v2, v3, s[22:23]
	s_add_i32 s24, s24, -1
	s_waitcnt vmcnt(0)
	v_and_b32_e32 v2, 0xffff, v2
	v_lshlrev_b64 v[22:23], s20, v[2:3]
	s_add_u32 s20, s20, 8
	s_addc_u32 s21, s21, 0
	s_add_u32 s22, s22, 1
	s_addc_u32 s23, s23, 0
	s_cmp_lg_u32 s24, 0
	v_or_b32_e32 v20, v22, v20
	v_or_b32_e32 v21, v23, v21
	s_cbranch_scc1 .LBB6_1470
.LBB6_1471:                             ;   in Loop: Header=BB6_1425 Depth=1
	s_cbranch_execz .LBB6_1473
	s_branch .LBB6_1474
.LBB6_1472:                             ;   in Loop: Header=BB6_1425 Depth=1
.LBB6_1473:                             ;   in Loop: Header=BB6_1425 Depth=1
	global_load_dwordx2 v[20:21], v3, s[4:5]
.LBB6_1474:                             ;   in Loop: Header=BB6_1425 Depth=1
	v_readfirstlane_b32 s4, v32
	v_mov_b32_e32 v26, 0
	v_mov_b32_e32 v27, 0
	v_cmp_eq_u32_e64 s4, s4, v32
	s_and_saveexec_b32 s5, s4
	s_cbranch_execz .LBB6_1480
; %bb.1475:                             ;   in Loop: Header=BB6_1425 Depth=1
	global_load_dwordx2 v[24:25], v3, s[6:7] offset:24 glc dlc
	s_waitcnt vmcnt(0)
	buffer_gl1_inv
	buffer_gl0_inv
	s_clause 0x1
	global_load_dwordx2 v[22:23], v3, s[6:7] offset:40
	global_load_dwordx2 v[26:27], v3, s[6:7]
	s_mov_b32 s15, exec_lo
	s_waitcnt vmcnt(1)
	v_and_b32_e32 v2, v23, v25
	v_and_b32_e32 v22, v22, v24
	v_mul_lo_u32 v2, v2, 24
	v_mul_hi_u32 v23, v22, 24
	v_mul_lo_u32 v22, v22, 24
	v_add_nc_u32_e32 v2, v23, v2
	s_waitcnt vmcnt(0)
	v_add_co_u32 v22, vcc_lo, v26, v22
	v_add_co_ci_u32_e32 v23, vcc_lo, v27, v2, vcc_lo
	global_load_dwordx2 v[22:23], v[22:23], off glc dlc
	s_waitcnt vmcnt(0)
	global_atomic_cmpswap_x2 v[26:27], v3, v[22:25], s[6:7] offset:24 glc
	s_waitcnt vmcnt(0)
	buffer_gl1_inv
	buffer_gl0_inv
	v_cmpx_ne_u64_e64 v[26:27], v[24:25]
	s_cbranch_execz .LBB6_1479
; %bb.1476:                             ;   in Loop: Header=BB6_1425 Depth=1
	s_mov_b32 s20, 0
	.p2align	6
.LBB6_1477:                             ;   Parent Loop BB6_1425 Depth=1
                                        ; =>  This Inner Loop Header: Depth=2
	s_sleep 1
	s_clause 0x1
	global_load_dwordx2 v[22:23], v3, s[6:7] offset:40
	global_load_dwordx2 v[28:29], v3, s[6:7]
	v_mov_b32_e32 v24, v26
	v_mov_b32_e32 v25, v27
	s_waitcnt vmcnt(1)
	v_and_b32_e32 v2, v22, v24
	v_and_b32_e32 v22, v23, v25
	s_waitcnt vmcnt(0)
	v_mad_u64_u32 v[26:27], null, v2, 24, v[28:29]
	v_mov_b32_e32 v2, v27
	v_mad_u64_u32 v[22:23], null, v22, 24, v[2:3]
	v_mov_b32_e32 v27, v22
	global_load_dwordx2 v[22:23], v[26:27], off glc dlc
	s_waitcnt vmcnt(0)
	global_atomic_cmpswap_x2 v[26:27], v3, v[22:25], s[6:7] offset:24 glc
	s_waitcnt vmcnt(0)
	buffer_gl1_inv
	buffer_gl0_inv
	v_cmp_eq_u64_e32 vcc_lo, v[26:27], v[24:25]
	s_or_b32 s20, vcc_lo, s20
	s_andn2_b32 exec_lo, exec_lo, s20
	s_cbranch_execnz .LBB6_1477
; %bb.1478:                             ;   in Loop: Header=BB6_1425 Depth=1
	s_or_b32 exec_lo, exec_lo, s20
.LBB6_1479:                             ;   in Loop: Header=BB6_1425 Depth=1
	s_or_b32 exec_lo, exec_lo, s15
.LBB6_1480:                             ;   in Loop: Header=BB6_1425 Depth=1
	s_or_b32 exec_lo, exec_lo, s5
	s_clause 0x1
	global_load_dwordx2 v[28:29], v3, s[6:7] offset:40
	global_load_dwordx4 v[22:25], v3, s[6:7]
	v_readfirstlane_b32 s20, v26
	v_readfirstlane_b32 s21, v27
	s_mov_b32 s5, exec_lo
	s_waitcnt vmcnt(1)
	v_readfirstlane_b32 s22, v28
	v_readfirstlane_b32 s23, v29
	s_and_b64 s[22:23], s[20:21], s[22:23]
	s_mul_i32 s15, s23, 24
	s_mul_hi_u32 s24, s22, 24
	s_mul_i32 s25, s22, 24
	s_add_i32 s24, s24, s15
	s_waitcnt vmcnt(0)
	v_add_co_u32 v26, vcc_lo, v22, s25
	v_add_co_ci_u32_e32 v27, vcc_lo, s24, v23, vcc_lo
	s_and_saveexec_b32 s15, s4
	s_cbranch_execz .LBB6_1482
; %bb.1481:                             ;   in Loop: Header=BB6_1425 Depth=1
	v_mov_b32_e32 v2, s5
	global_store_dwordx4 v[26:27], v[2:5], off offset:8
.LBB6_1482:                             ;   in Loop: Header=BB6_1425 Depth=1
	s_or_b32 exec_lo, exec_lo, s15
	s_lshl_b64 s[22:23], s[22:23], 12
	v_or_b32_e32 v2, 2, v6
	v_add_co_u32 v24, vcc_lo, v24, s22
	v_add_co_ci_u32_e32 v25, vcc_lo, s23, v25, vcc_lo
	v_cmp_gt_u64_e64 vcc_lo, s[16:17], 56
	s_lshl_b32 s5, s18, 2
	v_readfirstlane_b32 s22, v24
	s_add_i32 s5, s5, 28
	v_readfirstlane_b32 s23, v25
	s_and_b32 s5, s5, 0x1e0
	v_cndmask_b32_e32 v2, v2, v6, vcc_lo
	v_and_or_b32 v6, 0xffffff1f, v2, s5
	global_store_dwordx4 v31, v[10:13], s[22:23] offset:16
	global_store_dwordx4 v31, v[6:9], s[22:23]
	global_store_dwordx4 v31, v[14:17], s[22:23] offset:32
	global_store_dwordx4 v31, v[18:21], s[22:23] offset:48
	s_and_saveexec_b32 s5, s4
	s_cbranch_execz .LBB6_1490
; %bb.1483:                             ;   in Loop: Header=BB6_1425 Depth=1
	s_clause 0x1
	global_load_dwordx2 v[14:15], v3, s[6:7] offset:32 glc dlc
	global_load_dwordx2 v[6:7], v3, s[6:7] offset:40
	v_mov_b32_e32 v12, s20
	v_mov_b32_e32 v13, s21
	s_waitcnt vmcnt(0)
	v_readfirstlane_b32 s22, v6
	v_readfirstlane_b32 s23, v7
	s_and_b64 s[22:23], s[22:23], s[20:21]
	s_mul_i32 s15, s23, 24
	s_mul_hi_u32 s23, s22, 24
	s_mul_i32 s22, s22, 24
	s_add_i32 s23, s23, s15
	v_add_co_u32 v10, vcc_lo, v22, s22
	v_add_co_ci_u32_e32 v11, vcc_lo, s23, v23, vcc_lo
	s_mov_b32 s15, exec_lo
	global_store_dwordx2 v[10:11], v[14:15], off
	s_waitcnt_vscnt null, 0x0
	global_atomic_cmpswap_x2 v[8:9], v3, v[12:15], s[6:7] offset:32 glc
	s_waitcnt vmcnt(0)
	v_cmpx_ne_u64_e64 v[8:9], v[14:15]
	s_cbranch_execz .LBB6_1486
; %bb.1484:                             ;   in Loop: Header=BB6_1425 Depth=1
	s_mov_b32 s22, 0
.LBB6_1485:                             ;   Parent Loop BB6_1425 Depth=1
                                        ; =>  This Inner Loop Header: Depth=2
	v_mov_b32_e32 v6, s20
	v_mov_b32_e32 v7, s21
	s_sleep 1
	global_store_dwordx2 v[10:11], v[8:9], off
	s_waitcnt_vscnt null, 0x0
	global_atomic_cmpswap_x2 v[6:7], v3, v[6:9], s[6:7] offset:32 glc
	s_waitcnt vmcnt(0)
	v_cmp_eq_u64_e32 vcc_lo, v[6:7], v[8:9]
	v_mov_b32_e32 v9, v7
	v_mov_b32_e32 v8, v6
	s_or_b32 s22, vcc_lo, s22
	s_andn2_b32 exec_lo, exec_lo, s22
	s_cbranch_execnz .LBB6_1485
.LBB6_1486:                             ;   in Loop: Header=BB6_1425 Depth=1
	s_or_b32 exec_lo, exec_lo, s15
	global_load_dwordx2 v[6:7], v3, s[6:7] offset:16
	s_mov_b32 s22, exec_lo
	s_mov_b32 s15, exec_lo
	v_mbcnt_lo_u32_b32 v2, s22, 0
	v_cmpx_eq_u32_e32 0, v2
	s_cbranch_execz .LBB6_1488
; %bb.1487:                             ;   in Loop: Header=BB6_1425 Depth=1
	s_bcnt1_i32_b32 s22, s22
	v_mov_b32_e32 v2, s22
	s_waitcnt vmcnt(0)
	global_atomic_add_x2 v[6:7], v[2:3], off offset:8
.LBB6_1488:                             ;   in Loop: Header=BB6_1425 Depth=1
	s_or_b32 exec_lo, exec_lo, s15
	s_waitcnt vmcnt(0)
	global_load_dwordx2 v[8:9], v[6:7], off offset:16
	s_waitcnt vmcnt(0)
	v_cmp_eq_u64_e32 vcc_lo, 0, v[8:9]
	s_cbranch_vccnz .LBB6_1490
; %bb.1489:                             ;   in Loop: Header=BB6_1425 Depth=1
	global_load_dword v2, v[6:7], off offset:24
	s_waitcnt vmcnt(0)
	v_and_b32_e32 v6, 0x7fffff, v2
	s_waitcnt_vscnt null, 0x0
	global_store_dwordx2 v[8:9], v[2:3], off
	v_readfirstlane_b32 m0, v6
	s_sendmsg sendmsg(MSG_INTERRUPT)
.LBB6_1490:                             ;   in Loop: Header=BB6_1425 Depth=1
	s_or_b32 exec_lo, exec_lo, s5
	v_add_co_u32 v6, vcc_lo, v24, v31
	v_add_co_ci_u32_e32 v7, vcc_lo, 0, v25, vcc_lo
	s_branch .LBB6_1494
	.p2align	6
.LBB6_1491:                             ;   in Loop: Header=BB6_1494 Depth=2
	s_or_b32 exec_lo, exec_lo, s5
	v_readfirstlane_b32 s5, v2
	s_cmp_eq_u32 s5, 0
	s_cbranch_scc1 .LBB6_1493
; %bb.1492:                             ;   in Loop: Header=BB6_1494 Depth=2
	s_sleep 1
	s_cbranch_execnz .LBB6_1494
	s_branch .LBB6_1496
	.p2align	6
.LBB6_1493:                             ;   in Loop: Header=BB6_1425 Depth=1
	s_branch .LBB6_1496
.LBB6_1494:                             ;   Parent Loop BB6_1425 Depth=1
                                        ; =>  This Inner Loop Header: Depth=2
	v_mov_b32_e32 v2, 1
	s_and_saveexec_b32 s5, s4
	s_cbranch_execz .LBB6_1491
; %bb.1495:                             ;   in Loop: Header=BB6_1494 Depth=2
	global_load_dword v2, v[26:27], off offset:20 glc dlc
	s_waitcnt vmcnt(0)
	buffer_gl1_inv
	buffer_gl0_inv
	v_and_b32_e32 v2, 1, v2
	s_branch .LBB6_1491
.LBB6_1496:                             ;   in Loop: Header=BB6_1425 Depth=1
	global_load_dwordx4 v[6:9], v[6:7], off
	s_and_saveexec_b32 s5, s4
	s_cbranch_execz .LBB6_1424
; %bb.1497:                             ;   in Loop: Header=BB6_1425 Depth=1
	s_clause 0x2
	global_load_dwordx2 v[10:11], v3, s[6:7] offset:40
	global_load_dwordx2 v[14:15], v3, s[6:7] offset:24 glc dlc
	global_load_dwordx2 v[12:13], v3, s[6:7]
	s_waitcnt vmcnt(2)
	v_add_co_u32 v2, vcc_lo, v10, 1
	v_add_co_ci_u32_e32 v16, vcc_lo, 0, v11, vcc_lo
	v_add_co_u32 v8, vcc_lo, v2, s20
	v_add_co_ci_u32_e32 v9, vcc_lo, s21, v16, vcc_lo
	v_cmp_eq_u64_e32 vcc_lo, 0, v[8:9]
	v_cndmask_b32_e32 v9, v9, v16, vcc_lo
	v_cndmask_b32_e32 v8, v8, v2, vcc_lo
	v_and_b32_e32 v2, v9, v11
	v_and_b32_e32 v10, v8, v10
	v_mul_lo_u32 v2, v2, 24
	v_mul_hi_u32 v11, v10, 24
	v_mul_lo_u32 v10, v10, 24
	v_add_nc_u32_e32 v2, v11, v2
	s_waitcnt vmcnt(0)
	v_add_co_u32 v12, vcc_lo, v12, v10
	v_mov_b32_e32 v10, v14
	v_mov_b32_e32 v11, v15
	v_add_co_ci_u32_e32 v13, vcc_lo, v13, v2, vcc_lo
	global_store_dwordx2 v[12:13], v[14:15], off
	s_waitcnt_vscnt null, 0x0
	global_atomic_cmpswap_x2 v[10:11], v3, v[8:11], s[6:7] offset:24 glc
	s_waitcnt vmcnt(0)
	v_cmp_ne_u64_e32 vcc_lo, v[10:11], v[14:15]
	s_and_b32 exec_lo, exec_lo, vcc_lo
	s_cbranch_execz .LBB6_1424
; %bb.1498:                             ;   in Loop: Header=BB6_1425 Depth=1
	s_mov_b32 s4, 0
.LBB6_1499:                             ;   Parent Loop BB6_1425 Depth=1
                                        ; =>  This Inner Loop Header: Depth=2
	s_sleep 1
	global_store_dwordx2 v[12:13], v[10:11], off
	s_waitcnt_vscnt null, 0x0
	global_atomic_cmpswap_x2 v[14:15], v3, v[8:11], s[6:7] offset:24 glc
	s_waitcnt vmcnt(0)
	v_cmp_eq_u64_e32 vcc_lo, v[14:15], v[10:11]
	v_mov_b32_e32 v10, v14
	v_mov_b32_e32 v11, v15
	s_or_b32 s4, vcc_lo, s4
	s_andn2_b32 exec_lo, exec_lo, s4
	s_cbranch_execnz .LBB6_1499
	s_branch .LBB6_1424
.LBB6_1500:
	s_mov_b32 s4, 0
	s_branch .LBB6_1502
.LBB6_1501:
	s_mov_b32 s4, -1
.LBB6_1502:
	s_mov_b32 s41, s12
	s_mov_b32 s42, s13
	;; [unrolled: 1-line block ×3, first 2 shown]
	s_and_b32 vcc_lo, exec_lo, s4
	s_cbranch_vccz .LBB6_1530
; %bb.1503:
	v_readfirstlane_b32 s4, v32
	s_waitcnt vmcnt(0)
	v_mov_b32_e32 v8, 0
	v_mov_b32_e32 v9, 0
	v_cmp_eq_u32_e64 s4, s4, v32
	s_and_saveexec_b32 s5, s4
	s_cbranch_execz .LBB6_1509
; %bb.1504:
	v_mov_b32_e32 v2, 0
	s_mov_b32 s10, exec_lo
	global_load_dwordx2 v[5:6], v2, s[6:7] offset:24 glc dlc
	s_waitcnt vmcnt(0)
	buffer_gl1_inv
	buffer_gl0_inv
	s_clause 0x1
	global_load_dwordx2 v[3:4], v2, s[6:7] offset:40
	global_load_dwordx2 v[7:8], v2, s[6:7]
	s_waitcnt vmcnt(1)
	v_and_b32_e32 v4, v4, v6
	v_and_b32_e32 v3, v3, v5
	v_mul_lo_u32 v4, v4, 24
	v_mul_hi_u32 v9, v3, 24
	v_mul_lo_u32 v3, v3, 24
	v_add_nc_u32_e32 v4, v9, v4
	s_waitcnt vmcnt(0)
	v_add_co_u32 v3, vcc_lo, v7, v3
	v_add_co_ci_u32_e32 v4, vcc_lo, v8, v4, vcc_lo
	global_load_dwordx2 v[3:4], v[3:4], off glc dlc
	s_waitcnt vmcnt(0)
	global_atomic_cmpswap_x2 v[8:9], v2, v[3:6], s[6:7] offset:24 glc
	s_waitcnt vmcnt(0)
	buffer_gl1_inv
	buffer_gl0_inv
	v_cmpx_ne_u64_e64 v[8:9], v[5:6]
	s_cbranch_execz .LBB6_1508
; %bb.1505:
	s_mov_b32 s11, 0
	.p2align	6
.LBB6_1506:                             ; =>This Inner Loop Header: Depth=1
	s_sleep 1
	s_clause 0x1
	global_load_dwordx2 v[3:4], v2, s[6:7] offset:40
	global_load_dwordx2 v[10:11], v2, s[6:7]
	v_mov_b32_e32 v5, v8
	v_mov_b32_e32 v6, v9
	s_waitcnt vmcnt(1)
	v_and_b32_e32 v3, v3, v5
	v_and_b32_e32 v4, v4, v6
	s_waitcnt vmcnt(0)
	v_mad_u64_u32 v[7:8], null, v3, 24, v[10:11]
	v_mov_b32_e32 v3, v8
	v_mad_u64_u32 v[3:4], null, v4, 24, v[3:4]
	v_mov_b32_e32 v8, v3
	global_load_dwordx2 v[3:4], v[7:8], off glc dlc
	s_waitcnt vmcnt(0)
	global_atomic_cmpswap_x2 v[8:9], v2, v[3:6], s[6:7] offset:24 glc
	s_waitcnt vmcnt(0)
	buffer_gl1_inv
	buffer_gl0_inv
	v_cmp_eq_u64_e32 vcc_lo, v[8:9], v[5:6]
	s_or_b32 s11, vcc_lo, s11
	s_andn2_b32 exec_lo, exec_lo, s11
	s_cbranch_execnz .LBB6_1506
; %bb.1507:
	s_or_b32 exec_lo, exec_lo, s11
.LBB6_1508:
	s_or_b32 exec_lo, exec_lo, s10
.LBB6_1509:
	s_or_b32 exec_lo, exec_lo, s5
	v_mov_b32_e32 v2, 0
	v_readfirstlane_b32 s10, v8
	v_readfirstlane_b32 s11, v9
	s_mov_b32 s5, exec_lo
	s_clause 0x1
	global_load_dwordx2 v[10:11], v2, s[6:7] offset:40
	global_load_dwordx4 v[4:7], v2, s[6:7]
	s_waitcnt vmcnt(1)
	v_readfirstlane_b32 s12, v10
	v_readfirstlane_b32 s13, v11
	s_and_b64 s[12:13], s[10:11], s[12:13]
	s_mul_i32 s14, s13, 24
	s_mul_hi_u32 s15, s12, 24
	s_mul_i32 s16, s12, 24
	s_add_i32 s15, s15, s14
	s_waitcnt vmcnt(0)
	v_add_co_u32 v8, vcc_lo, v4, s16
	v_add_co_ci_u32_e32 v9, vcc_lo, s15, v5, vcc_lo
	s_and_saveexec_b32 s14, s4
	s_cbranch_execz .LBB6_1511
; %bb.1510:
	v_mov_b32_e32 v10, s5
	v_mov_b32_e32 v11, v2
	;; [unrolled: 1-line block ×4, first 2 shown]
	global_store_dwordx4 v[8:9], v[10:13], off offset:8
.LBB6_1511:
	s_or_b32 exec_lo, exec_lo, s14
	s_lshl_b64 s[12:13], s[12:13], 12
	v_and_or_b32 v0, 0xffffff1d, v0, 34
	v_add_co_u32 v6, vcc_lo, v6, s12
	v_add_co_ci_u32_e32 v7, vcc_lo, s13, v7, vcc_lo
	s_mov_b32 s12, 0
	v_mov_b32_e32 v3, v2
	s_mov_b32 s13, s12
	s_mov_b32 s14, s12
	;; [unrolled: 1-line block ×3, first 2 shown]
	v_readfirstlane_b32 s16, v6
	v_readfirstlane_b32 s17, v7
	v_mov_b32_e32 v10, s12
	v_mov_b32_e32 v11, s13
	;; [unrolled: 1-line block ×4, first 2 shown]
	global_store_dwordx4 v31, v[0:3], s[16:17]
	global_store_dwordx4 v31, v[10:13], s[16:17] offset:16
	global_store_dwordx4 v31, v[10:13], s[16:17] offset:32
	;; [unrolled: 1-line block ×3, first 2 shown]
	s_and_saveexec_b32 s5, s4
	s_cbranch_execz .LBB6_1519
; %bb.1512:
	v_mov_b32_e32 v6, 0
	v_mov_b32_e32 v10, s10
	v_mov_b32_e32 v11, s11
	s_clause 0x1
	global_load_dwordx2 v[12:13], v6, s[6:7] offset:32 glc dlc
	global_load_dwordx2 v[0:1], v6, s[6:7] offset:40
	s_waitcnt vmcnt(0)
	v_readfirstlane_b32 s12, v0
	v_readfirstlane_b32 s13, v1
	s_and_b64 s[12:13], s[12:13], s[10:11]
	s_mul_i32 s13, s13, 24
	s_mul_hi_u32 s14, s12, 24
	s_mul_i32 s12, s12, 24
	s_add_i32 s14, s14, s13
	v_add_co_u32 v4, vcc_lo, v4, s12
	v_add_co_ci_u32_e32 v5, vcc_lo, s14, v5, vcc_lo
	s_mov_b32 s12, exec_lo
	global_store_dwordx2 v[4:5], v[12:13], off
	s_waitcnt_vscnt null, 0x0
	global_atomic_cmpswap_x2 v[2:3], v6, v[10:13], s[6:7] offset:32 glc
	s_waitcnt vmcnt(0)
	v_cmpx_ne_u64_e64 v[2:3], v[12:13]
	s_cbranch_execz .LBB6_1515
; %bb.1513:
	s_mov_b32 s13, 0
.LBB6_1514:                             ; =>This Inner Loop Header: Depth=1
	v_mov_b32_e32 v0, s10
	v_mov_b32_e32 v1, s11
	s_sleep 1
	global_store_dwordx2 v[4:5], v[2:3], off
	s_waitcnt_vscnt null, 0x0
	global_atomic_cmpswap_x2 v[0:1], v6, v[0:3], s[6:7] offset:32 glc
	s_waitcnt vmcnt(0)
	v_cmp_eq_u64_e32 vcc_lo, v[0:1], v[2:3]
	v_mov_b32_e32 v3, v1
	v_mov_b32_e32 v2, v0
	s_or_b32 s13, vcc_lo, s13
	s_andn2_b32 exec_lo, exec_lo, s13
	s_cbranch_execnz .LBB6_1514
.LBB6_1515:
	s_or_b32 exec_lo, exec_lo, s12
	v_mov_b32_e32 v3, 0
	s_mov_b32 s13, exec_lo
	s_mov_b32 s12, exec_lo
	v_mbcnt_lo_u32_b32 v2, s13, 0
	global_load_dwordx2 v[0:1], v3, s[6:7] offset:16
	v_cmpx_eq_u32_e32 0, v2
	s_cbranch_execz .LBB6_1517
; %bb.1516:
	s_bcnt1_i32_b32 s13, s13
	v_mov_b32_e32 v2, s13
	s_waitcnt vmcnt(0)
	global_atomic_add_x2 v[0:1], v[2:3], off offset:8
.LBB6_1517:
	s_or_b32 exec_lo, exec_lo, s12
	s_waitcnt vmcnt(0)
	global_load_dwordx2 v[2:3], v[0:1], off offset:16
	s_waitcnt vmcnt(0)
	v_cmp_eq_u64_e32 vcc_lo, 0, v[2:3]
	s_cbranch_vccnz .LBB6_1519
; %bb.1518:
	global_load_dword v0, v[0:1], off offset:24
	v_mov_b32_e32 v1, 0
	s_waitcnt vmcnt(0)
	v_and_b32_e32 v4, 0x7fffff, v0
	s_waitcnt_vscnt null, 0x0
	global_store_dwordx2 v[2:3], v[0:1], off
	v_readfirstlane_b32 m0, v4
	s_sendmsg sendmsg(MSG_INTERRUPT)
.LBB6_1519:
	s_or_b32 exec_lo, exec_lo, s5
	s_branch .LBB6_1523
	.p2align	6
.LBB6_1520:                             ;   in Loop: Header=BB6_1523 Depth=1
	s_or_b32 exec_lo, exec_lo, s5
	v_readfirstlane_b32 s5, v0
	s_cmp_eq_u32 s5, 0
	s_cbranch_scc1 .LBB6_1522
; %bb.1521:                             ;   in Loop: Header=BB6_1523 Depth=1
	s_sleep 1
	s_cbranch_execnz .LBB6_1523
	s_branch .LBB6_1525
	.p2align	6
.LBB6_1522:
	s_branch .LBB6_1525
.LBB6_1523:                             ; =>This Inner Loop Header: Depth=1
	v_mov_b32_e32 v0, 1
	s_and_saveexec_b32 s5, s4
	s_cbranch_execz .LBB6_1520
; %bb.1524:                             ;   in Loop: Header=BB6_1523 Depth=1
	global_load_dword v0, v[8:9], off offset:20 glc dlc
	s_waitcnt vmcnt(0)
	buffer_gl1_inv
	buffer_gl0_inv
	v_and_b32_e32 v0, 1, v0
	s_branch .LBB6_1520
.LBB6_1525:
	s_and_saveexec_b32 s5, s4
	s_cbranch_execz .LBB6_1529
; %bb.1526:
	v_mov_b32_e32 v6, 0
	s_clause 0x2
	global_load_dwordx2 v[2:3], v6, s[6:7] offset:40
	global_load_dwordx2 v[7:8], v6, s[6:7] offset:24 glc dlc
	global_load_dwordx2 v[4:5], v6, s[6:7]
	s_waitcnt vmcnt(2)
	v_add_co_u32 v9, vcc_lo, v2, 1
	v_add_co_ci_u32_e32 v10, vcc_lo, 0, v3, vcc_lo
	v_add_co_u32 v0, vcc_lo, v9, s10
	v_add_co_ci_u32_e32 v1, vcc_lo, s11, v10, vcc_lo
	v_cmp_eq_u64_e32 vcc_lo, 0, v[0:1]
	v_cndmask_b32_e32 v1, v1, v10, vcc_lo
	v_cndmask_b32_e32 v0, v0, v9, vcc_lo
	v_and_b32_e32 v3, v1, v3
	v_and_b32_e32 v2, v0, v2
	v_mul_lo_u32 v3, v3, 24
	v_mul_hi_u32 v9, v2, 24
	v_mul_lo_u32 v2, v2, 24
	v_add_nc_u32_e32 v3, v9, v3
	s_waitcnt vmcnt(0)
	v_add_co_u32 v4, vcc_lo, v4, v2
	v_mov_b32_e32 v2, v7
	v_add_co_ci_u32_e32 v5, vcc_lo, v5, v3, vcc_lo
	v_mov_b32_e32 v3, v8
	global_store_dwordx2 v[4:5], v[7:8], off
	s_waitcnt_vscnt null, 0x0
	global_atomic_cmpswap_x2 v[2:3], v6, v[0:3], s[6:7] offset:24 glc
	s_waitcnt vmcnt(0)
	v_cmp_ne_u64_e32 vcc_lo, v[2:3], v[7:8]
	s_and_b32 exec_lo, exec_lo, vcc_lo
	s_cbranch_execz .LBB6_1529
; %bb.1527:
	s_mov_b32 s4, 0
.LBB6_1528:                             ; =>This Inner Loop Header: Depth=1
	s_sleep 1
	global_store_dwordx2 v[4:5], v[2:3], off
	s_waitcnt_vscnt null, 0x0
	global_atomic_cmpswap_x2 v[7:8], v6, v[0:3], s[6:7] offset:24 glc
	s_waitcnt vmcnt(0)
	v_cmp_eq_u64_e32 vcc_lo, v[7:8], v[2:3]
	v_mov_b32_e32 v2, v7
	v_mov_b32_e32 v3, v8
	s_or_b32 s4, vcc_lo, s4
	s_andn2_b32 exec_lo, exec_lo, s4
	s_cbranch_execnz .LBB6_1528
.LBB6_1529:
	s_or_b32 exec_lo, exec_lo, s5
.LBB6_1530:
	s_getpc_b64 s[4:5]
	s_add_u32 s4, s4, .str@rel32@lo+4
	s_addc_u32 s5, s5, .str@rel32@hi+12
	s_waitcnt vmcnt(0)
	v_mov_b32_e32 v0, s4
	v_mov_b32_e32 v1, s5
	s_mov_b64 s[22:23], src_private_base
	s_getpc_b64 s[44:45]
	s_add_u32 s44, s44, _ZNK8migraphx13basic_printerIZNS_4coutEvEUlT_E_ElsEPKc@rel32@lo+4
	s_addc_u32 s45, s45, _ZNK8migraphx13basic_printerIZNS_4coutEvEUlT_E_ElsEPKc@rel32@hi+12
	s_mov_b64 s[38:39], s[8:9]
	s_swappc_b64 s[30:31], s[44:45]
	s_getpc_b64 s[4:5]
	s_add_u32 s4, s4, .str.3@rel32@lo+4
	s_addc_u32 s5, s5, .str.3@rel32@hi+12
	v_mov_b32_e32 v0, s4
	v_mov_b32_e32 v1, s5
	s_mov_b64 s[8:9], s[38:39]
	s_swappc_b64 s[30:31], s[44:45]
	v_lshrrev_b32_e64 v0, 5, s33
	v_mov_b32_e32 v1, s23
	s_mov_b64 s[8:9], s[38:39]
	s_getpc_b64 s[4:5]
	s_add_u32 s4, s4, _ZN8migraphx4testlsIKNS_13basic_printerIZNS_4coutEvEUlT_E_EEEERS3_S7_RKNS0_10expressionINS0_14lhs_expressionIRNS_5arrayIiLj8EEENS0_3nopEEESC_NS0_5equalEEE@rel32@lo+4
	s_addc_u32 s5, s5, _ZN8migraphx4testlsIKNS_13basic_printerIZNS_4coutEvEUlT_E_EEEERS3_S7_RKNS0_10expressionINS0_14lhs_expressionIRNS_5arrayIiLj8EEENS0_3nopEEESC_NS0_5equalEEE@rel32@hi+12
	v_add_nc_u32_e32 v0, 0x60, v0
	s_swappc_b64 s[30:31], s[4:5]
	s_getpc_b64 s[4:5]
	s_add_u32 s4, s4, .str.4@rel32@lo+4
	s_addc_u32 s5, s5, .str.4@rel32@hi+12
	v_mov_b32_e32 v0, s4
	v_mov_b32_e32 v1, s5
	s_mov_b64 s[8:9], s[38:39]
	s_swappc_b64 s[30:31], s[44:45]
	v_mov_b32_e32 v0, 10
	s_mov_b64 s[8:9], s[38:39]
	s_getpc_b64 s[4:5]
	s_add_u32 s4, s4, _ZNK8migraphx13basic_printerIZNS_4coutEvEUlT_E_ElsEc@rel32@lo+4
	s_addc_u32 s5, s5, _ZNK8migraphx13basic_printerIZNS_4coutEvEUlT_E_ElsEc@rel32@hi+12
	s_swappc_b64 s[30:31], s[4:5]
	flat_load_dwordx2 v[0:1], v[66:67]
	s_mov_b64 s[8:9], s[38:39]
	s_mov_b32 s14, s43
	s_mov_b32 s13, s42
	s_mov_b32 s12, s41
	s_waitcnt vmcnt(0) lgkmcnt(0)
	flat_load_dword v2, v[0:1]
	s_waitcnt vmcnt(0) lgkmcnt(0)
	v_add_nc_u32_e32 v2, 1, v2
	flat_store_dword v[0:1], v2
.LBB6_1531:
	s_or_b32 exec_lo, exec_lo, s40
	s_getpc_b64 s[4:5]
	s_add_u32 s4, s4, _ZN8migraphx4test4failEv@rel32@lo+4
	s_addc_u32 s5, s5, _ZN8migraphx4test4failEv@rel32@hi+12
	s_swappc_b64 s[30:31], s[4:5]
	; divergent unreachable
.LBB6_1532:
	s_andn2_saveexec_b32 s4, s37
	s_or_b32 exec_lo, exec_lo, s4
	v_readlane_b32 s30, v41, 0
	v_readlane_b32 s31, v41, 1
	;; [unrolled: 1-line block ×3, first 2 shown]
	s_or_saveexec_b32 s5, -1
	buffer_load_dword v41, off, s[0:3], s33 offset:112 ; 4-byte Folded Reload
	s_mov_b32 exec_lo, s5
	s_addk_i32 s32, 0xf000
	s_mov_b32 s33, s4
	s_waitcnt vmcnt(0)
	s_setpc_b64 s[30:31]
.Lfunc_end6:
	.size	_ZL17merge_interleavedRN8migraphx4test12test_managerE, .Lfunc_end6-_ZL17merge_interleavedRN8migraphx4test12test_managerE
                                        ; -- End function
	.section	.AMDGPU.csdata,"",@progbits
; Function info:
; codeLenInByte = 55624
; NumSgprs: 48
; NumVgprs: 68
; ScratchSize: 144
; MemoryBound: 0
	.text
	.p2align	2                               ; -- Begin function _ZL21merge_many_duplicatesRN8migraphx4test12test_managerE
	.type	_ZL21merge_many_duplicatesRN8migraphx4test12test_managerE,@function
_ZL21merge_many_duplicatesRN8migraphx4test12test_managerE: ; @_ZL21merge_many_duplicatesRN8migraphx4test12test_managerE
; %bb.0:
	s_waitcnt vmcnt(0) expcnt(0) lgkmcnt(0)
	s_mov_b32 s4, s33
	s_mov_b32 s33, s32
	s_or_saveexec_b32 s5, -1
	buffer_store_dword v41, off, s[0:3], s33 offset:112 ; 4-byte Folded Spill
	s_mov_b32 exec_lo, s5
	v_writelane_b32 v41, s4, 2
	v_writelane_b32 v41, s30, 0
	s_addk_i32 s32, 0x1000
	v_writelane_b32 v41, s31, 1
	v_mov_b32_e32 v66, v0
	v_mov_b32_e32 v0, 1
	;; [unrolled: 1-line block ×6, first 2 shown]
	buffer_store_dword v0, off, s[0:3], s33
	buffer_store_dword v0, off, s[0:3], s33 offset:4
	buffer_store_dword v1, off, s[0:3], s33 offset:8
	;; [unrolled: 1-line block ×12, first 2 shown]
	v_lshrrev_b32_e64 v3, 5, s33
	v_mov_b32_e32 v4, 0
	s_mov_b32 s4, 0
	buffer_store_dword v2, off, s[0:3], s33 offset:52
	buffer_store_dword v2, off, s[0:3], s33 offset:56
	;; [unrolled: 1-line block ×3, first 2 shown]
	v_add_nc_u32_e32 v3, 32, v3
                                        ; implicit-def: $sgpr5
                                        ; implicit-def: $sgpr7
                                        ; implicit-def: $sgpr6
	s_inst_prefetch 0x1
	s_branch .LBB7_2
	.p2align	6
.LBB7_1:                                ;   in Loop: Header=BB7_2 Depth=1
	s_or_b32 exec_lo, exec_lo, s10
	s_and_b32 s10, exec_lo, s7
	s_or_b32 s4, s10, s4
	s_andn2_b32 s5, s5, exec_lo
	s_and_b32 s10, s6, exec_lo
	s_or_b32 s5, s5, s10
	s_andn2_b32 exec_lo, exec_lo, s4
	s_cbranch_execz .LBB7_4
.LBB7_2:                                ; =>This Inner Loop Header: Depth=1
	v_mov_b32_e32 v1, v4
	v_mov_b32_e32 v0, v3
	s_or_b32 s6, s6, exec_lo
	s_or_b32 s7, s7, exec_lo
	s_mov_b32 s10, exec_lo
                                        ; implicit-def: $vgpr4
                                        ; implicit-def: $vgpr3
	v_cmpx_ne_u32_e32 16, v2
	s_cbranch_execz .LBB7_1
; %bb.3:                                ;   in Loop: Header=BB7_2 Depth=1
	v_lshrrev_b32_e64 v4, 5, s33
	v_lshrrev_b32_e64 v5, 5, s33
	s_andn2_b32 s7, s7, exec_lo
	s_andn2_b32 s6, s6, exec_lo
	v_add_nc_u32_e32 v4, 16, v4
	v_add_nc_u32_e32 v3, v4, v2
	;; [unrolled: 1-line block ×3, first 2 shown]
	s_clause 0x1
	buffer_load_dword v3, v3, s[0:3], 0 offen
	buffer_load_dword v5, v4, s[0:3], 0 offen
	s_waitcnt vmcnt(0)
	v_cmp_ge_i32_e32 vcc_lo, v3, v5
	v_cndmask_b32_e64 v4, 0, 1, vcc_lo
	v_cmp_lt_i32_e32 vcc_lo, v3, v5
	v_min_i32_e32 v5, v3, v5
	v_add_nc_u32_e32 v3, 4, v0
	v_lshl_add_u32 v4, v4, 2, v1
	v_cndmask_b32_e64 v6, 0, 1, vcc_lo
	buffer_store_dword v5, v0, s[0:3], 0 offen
	v_cmp_eq_u32_e32 vcc_lo, 16, v4
	v_lshl_add_u32 v2, v6, 2, v2
	s_and_b32 s11, vcc_lo, exec_lo
	s_or_b32 s7, s7, s11
	s_branch .LBB7_1
.LBB7_4:
	s_inst_prefetch 0x2
	s_or_b32 exec_lo, exec_lo, s4
	s_xor_b32 s4, s5, -1
	s_and_saveexec_b32 s5, s4
	s_xor_b32 s4, exec_lo, s5
	s_cbranch_execz .LBB7_9
; %bb.5:
	s_mov_b32 s5, exec_lo
	v_cmpx_ne_u32_e32 16, v2
	s_cbranch_execz .LBB7_8
; %bb.6:
	v_lshrrev_b32_e64 v5, 5, s33
	s_mov_b32 s6, 0
	s_mov_b32 s7, 0
	v_add_nc_u32_e32 v5, 16, v5
	v_add_nc_u32_e32 v4, v5, v2
	v_sub_nc_u32_e32 v2, 16, v2
.LBB7_7:                                ; =>This Inner Loop Header: Depth=1
	v_add_nc_u32_e32 v5, s7, v4
	v_add_nc_u32_e32 v6, s7, v3
	s_add_i32 s7, s7, 4
	v_cmp_eq_u32_e32 vcc_lo, s7, v2
	buffer_load_dword v5, v5, s[0:3], 0 offen
	s_or_b32 s6, vcc_lo, s6
	s_waitcnt vmcnt(0)
	buffer_store_dword v5, v6, s[0:3], 0 offen
	s_andn2_b32 exec_lo, exec_lo, s6
	s_cbranch_execnz .LBB7_7
.LBB7_8:
	s_or_b32 exec_lo, exec_lo, s5
.LBB7_9:
	s_andn2_saveexec_b32 s4, s4
	s_cbranch_execz .LBB7_13
; %bb.10:
	v_lshrrev_b32_e64 v3, 5, s33
	s_mov_b32 s5, 0
	s_mov_b32 s6, 0
	v_add_nc_u32_e32 v2, v3, v1
	v_sub_nc_u32_e32 v1, 16, v1
.LBB7_11:                               ; =>This Inner Loop Header: Depth=1
	v_add_nc_u32_e32 v3, s6, v2
	v_add_nc_u32_e32 v4, s6, v0
	s_add_i32 s6, s6, 4
	v_cmp_eq_u32_e32 vcc_lo, s6, v1
	buffer_load_dword v3, v3, s[0:3], 0 offen
	s_or_b32 s5, vcc_lo, s5
	s_waitcnt vmcnt(0)
	buffer_store_dword v3, v4, s[0:3], 0 offen
	s_andn2_b32 exec_lo, exec_lo, s5
	s_cbranch_execnz .LBB7_11
; %bb.12:
	s_or_b32 exec_lo, exec_lo, s5
.LBB7_13:
	s_or_b32 exec_lo, exec_lo, s4
	s_clause 0x7
	buffer_load_dword v0, off, s[0:3], s33 offset:56
	buffer_load_dword v1, off, s[0:3], s33 offset:60
	;; [unrolled: 1-line block ×8, first 2 shown]
	s_mov_b64 s[4:5], src_private_base
	s_waitcnt vmcnt(7)
	v_cmp_ne_u32_e32 vcc_lo, 2, v0
	v_cndmask_b32_e64 v0, 0, 1, vcc_lo
	s_waitcnt vmcnt(6)
	v_cmp_ne_u32_e32 vcc_lo, 3, v1
	v_lshlrev_b16 v0, 2, v0
	v_cndmask_b32_e64 v1, 0, 1, vcc_lo
	s_waitcnt vmcnt(5)
	v_cmp_ne_u32_e32 vcc_lo, 2, v2
	v_lshlrev_b16 v1, 3, v1
	v_cndmask_b32_e64 v2, 0, 1, vcc_lo
	s_waitcnt vmcnt(4)
	v_cmp_ne_u32_e32 vcc_lo, 2, v3
	v_or_b32_e32 v0, v1, v0
	v_lshlrev_b16 v2, 1, v2
	v_cndmask_b32_e64 v3, 0, 1, vcc_lo
	s_waitcnt vmcnt(3)
	v_cmp_ne_u32_e32 vcc_lo, 1, v4
	v_or_b32_e32 v2, v3, v2
	v_cndmask_b32_e64 v4, 0, 1, vcc_lo
	s_waitcnt vmcnt(2)
	v_cmp_ne_u32_e32 vcc_lo, 2, v5
	v_and_b32_e32 v2, 3, v2
	v_lshlrev_b16 v4, 2, v4
	v_cndmask_b32_e64 v5, 0, 1, vcc_lo
	s_waitcnt vmcnt(1)
	v_cmp_ne_u32_e32 vcc_lo, 1, v6
	v_or_b32_e32 v0, v2, v0
	v_mov_b32_e32 v2, s5
	v_lshlrev_b16 v5, 3, v5
	v_cndmask_b32_e64 v6, 0, 1, vcc_lo
	s_waitcnt vmcnt(0)
	v_cmp_ne_u32_e32 vcc_lo, 1, v7
	v_lshlrev_b16 v0, 4, v0
	v_or_b32_e32 v1, v5, v4
	v_lshlrev_b16 v6, 1, v6
	v_cndmask_b32_e64 v7, 0, 1, vcc_lo
	v_mov_b32_e32 v4, 1
	buffer_store_dword v4, off, s[0:3], s33 offset:64
	buffer_store_dword v4, off, s[0:3], s33 offset:68
	;; [unrolled: 1-line block ×3, first 2 shown]
	v_or_b32_e32 v3, v7, v6
	v_lshrrev_b32_e64 v4, 5, s33
	v_mov_b32_e32 v5, 2
	v_mov_b32_e32 v6, 3
	buffer_store_dword v5, off, s[0:3], s33 offset:76
	buffer_store_dword v5, off, s[0:3], s33 offset:80
	;; [unrolled: 1-line block ×4, first 2 shown]
	v_and_b32_e32 v3, 3, v3
	v_add_nc_u32_e32 v4, 64, v4
	buffer_store_dword v6, off, s[0:3], s33 offset:92
	v_or_b32_e32 v1, v3, v1
	v_lshrrev_b32_e64 v3, 5, s33
	v_and_b32_e32 v1, 15, v1
	v_add_nc_u32_e32 v3, 32, v3
	buffer_store_dword v2, off, s[0:3], s33 offset:100
	buffer_store_dword v3, off, s[0:3], s33 offset:96
	;; [unrolled: 1-line block ×4, first 2 shown]
	v_or_b32_e32 v0, v1, v0
	v_mov_b32_e32 v1, 0
	v_cmp_ne_u16_sdwa s4, v0, v1 src0_sel:BYTE_0 src1_sel:DWORD
	s_and_saveexec_b32 s5, s4
	s_xor_b32 s37, exec_lo, s5
	s_cbranch_execz .LBB7_1532
; %bb.14:
	v_and_b32_e32 v0, 0x3ff, v31
	s_mov_b32 s40, exec_lo
	v_cmpx_eq_u32_e32 0, v0
	s_cbranch_execz .LBB7_1531
; %bb.15:
	s_load_dwordx2 s[6:7], s[8:9], 0x50
	v_mbcnt_lo_u32_b32 v32, -1, 0
	v_mov_b32_e32 v6, 0
	v_mov_b32_e32 v7, 0
	v_readfirstlane_b32 s4, v32
	v_cmp_eq_u32_e64 s4, s4, v32
	s_and_saveexec_b32 s5, s4
	s_cbranch_execz .LBB7_21
; %bb.16:
	v_mov_b32_e32 v0, 0
	s_mov_b32 s10, exec_lo
	s_waitcnt lgkmcnt(0)
	global_load_dwordx2 v[3:4], v0, s[6:7] offset:24 glc dlc
	s_waitcnt vmcnt(0)
	buffer_gl1_inv
	buffer_gl0_inv
	s_clause 0x1
	global_load_dwordx2 v[1:2], v0, s[6:7] offset:40
	global_load_dwordx2 v[5:6], v0, s[6:7]
	s_waitcnt vmcnt(1)
	v_and_b32_e32 v2, v2, v4
	v_and_b32_e32 v1, v1, v3
	v_mul_lo_u32 v2, v2, 24
	v_mul_hi_u32 v7, v1, 24
	v_mul_lo_u32 v1, v1, 24
	v_add_nc_u32_e32 v2, v7, v2
	s_waitcnt vmcnt(0)
	v_add_co_u32 v1, vcc_lo, v5, v1
	v_add_co_ci_u32_e32 v2, vcc_lo, v6, v2, vcc_lo
	global_load_dwordx2 v[1:2], v[1:2], off glc dlc
	s_waitcnt vmcnt(0)
	global_atomic_cmpswap_x2 v[6:7], v0, v[1:4], s[6:7] offset:24 glc
	s_waitcnt vmcnt(0)
	buffer_gl1_inv
	buffer_gl0_inv
	v_cmpx_ne_u64_e64 v[6:7], v[3:4]
	s_cbranch_execz .LBB7_20
; %bb.17:
	s_mov_b32 s11, 0
	.p2align	6
.LBB7_18:                               ; =>This Inner Loop Header: Depth=1
	s_sleep 1
	s_clause 0x1
	global_load_dwordx2 v[1:2], v0, s[6:7] offset:40
	global_load_dwordx2 v[8:9], v0, s[6:7]
	v_mov_b32_e32 v3, v6
	v_mov_b32_e32 v4, v7
	s_waitcnt vmcnt(1)
	v_and_b32_e32 v1, v1, v3
	v_and_b32_e32 v2, v2, v4
	s_waitcnt vmcnt(0)
	v_mad_u64_u32 v[5:6], null, v1, 24, v[8:9]
	v_mov_b32_e32 v1, v6
	v_mad_u64_u32 v[1:2], null, v2, 24, v[1:2]
	v_mov_b32_e32 v6, v1
	global_load_dwordx2 v[1:2], v[5:6], off glc dlc
	s_waitcnt vmcnt(0)
	global_atomic_cmpswap_x2 v[6:7], v0, v[1:4], s[6:7] offset:24 glc
	s_waitcnt vmcnt(0)
	buffer_gl1_inv
	buffer_gl0_inv
	v_cmp_eq_u64_e32 vcc_lo, v[6:7], v[3:4]
	s_or_b32 s11, vcc_lo, s11
	s_andn2_b32 exec_lo, exec_lo, s11
	s_cbranch_execnz .LBB7_18
; %bb.19:
	s_or_b32 exec_lo, exec_lo, s11
.LBB7_20:
	s_or_b32 exec_lo, exec_lo, s10
.LBB7_21:
	s_or_b32 exec_lo, exec_lo, s5
	v_mov_b32_e32 v5, 0
	v_readfirstlane_b32 s10, v6
	v_readfirstlane_b32 s11, v7
	s_mov_b32 s5, exec_lo
	s_waitcnt lgkmcnt(0)
	s_clause 0x1
	global_load_dwordx2 v[8:9], v5, s[6:7] offset:40
	global_load_dwordx4 v[0:3], v5, s[6:7]
	s_waitcnt vmcnt(1)
	v_readfirstlane_b32 s16, v8
	v_readfirstlane_b32 s17, v9
	s_and_b64 s[16:17], s[10:11], s[16:17]
	s_mul_i32 s15, s17, 24
	s_mul_hi_u32 s18, s16, 24
	s_mul_i32 s19, s16, 24
	s_add_i32 s18, s18, s15
	s_waitcnt vmcnt(0)
	v_add_co_u32 v8, vcc_lo, v0, s19
	v_add_co_ci_u32_e32 v9, vcc_lo, s18, v1, vcc_lo
	s_and_saveexec_b32 s15, s4
	s_cbranch_execz .LBB7_23
; %bb.22:
	v_mov_b32_e32 v4, s5
	v_mov_b32_e32 v6, 2
	;; [unrolled: 1-line block ×3, first 2 shown]
	global_store_dwordx4 v[8:9], v[4:7], off offset:8
.LBB7_23:
	s_or_b32 exec_lo, exec_lo, s15
	s_lshl_b64 s[16:17], s[16:17], 12
	v_lshlrev_b32_e32 v31, 6, v32
	v_add_co_u32 v2, vcc_lo, v2, s16
	v_add_co_ci_u32_e32 v3, vcc_lo, s17, v3, vcc_lo
	s_mov_b32 s16, 0
	v_add_co_u32 v10, vcc_lo, v2, v31
	s_mov_b32 s17, s16
	s_mov_b32 s18, s16
	;; [unrolled: 1-line block ×3, first 2 shown]
	v_mov_b32_e32 v4, 33
	v_mov_b32_e32 v6, v5
	;; [unrolled: 1-line block ×3, first 2 shown]
	v_readfirstlane_b32 s20, v2
	v_readfirstlane_b32 s21, v3
	v_mov_b32_e32 v12, s16
	v_add_co_ci_u32_e32 v11, vcc_lo, 0, v3, vcc_lo
	v_mov_b32_e32 v13, s17
	v_mov_b32_e32 v14, s18
	;; [unrolled: 1-line block ×3, first 2 shown]
	global_store_dwordx4 v31, v[4:7], s[20:21]
	global_store_dwordx4 v31, v[12:15], s[20:21] offset:16
	global_store_dwordx4 v31, v[12:15], s[20:21] offset:32
	;; [unrolled: 1-line block ×3, first 2 shown]
	s_and_saveexec_b32 s5, s4
	s_cbranch_execz .LBB7_30
; %bb.24:
	v_mov_b32_e32 v6, 0
	v_mov_b32_e32 v12, s10
	;; [unrolled: 1-line block ×3, first 2 shown]
	s_mov_b32 s15, exec_lo
	s_clause 0x1
	global_load_dwordx2 v[14:15], v6, s[6:7] offset:32 glc dlc
	global_load_dwordx2 v[2:3], v6, s[6:7] offset:40
	s_waitcnt vmcnt(0)
	v_and_b32_e32 v3, s11, v3
	v_and_b32_e32 v2, s10, v2
	v_mul_lo_u32 v3, v3, 24
	v_mul_hi_u32 v4, v2, 24
	v_mul_lo_u32 v2, v2, 24
	v_add_nc_u32_e32 v3, v4, v3
	v_add_co_u32 v4, vcc_lo, v0, v2
	v_add_co_ci_u32_e32 v5, vcc_lo, v1, v3, vcc_lo
	global_store_dwordx2 v[4:5], v[14:15], off
	s_waitcnt_vscnt null, 0x0
	global_atomic_cmpswap_x2 v[2:3], v6, v[12:15], s[6:7] offset:32 glc
	s_waitcnt vmcnt(0)
	v_cmpx_ne_u64_e64 v[2:3], v[14:15]
	s_cbranch_execz .LBB7_26
.LBB7_25:                               ; =>This Inner Loop Header: Depth=1
	v_mov_b32_e32 v0, s10
	v_mov_b32_e32 v1, s11
	s_sleep 1
	global_store_dwordx2 v[4:5], v[2:3], off
	s_waitcnt_vscnt null, 0x0
	global_atomic_cmpswap_x2 v[0:1], v6, v[0:3], s[6:7] offset:32 glc
	s_waitcnt vmcnt(0)
	v_cmp_eq_u64_e32 vcc_lo, v[0:1], v[2:3]
	v_mov_b32_e32 v3, v1
	v_mov_b32_e32 v2, v0
	s_or_b32 s16, vcc_lo, s16
	s_andn2_b32 exec_lo, exec_lo, s16
	s_cbranch_execnz .LBB7_25
.LBB7_26:
	s_or_b32 exec_lo, exec_lo, s15
	v_mov_b32_e32 v3, 0
	s_mov_b32 s16, exec_lo
	s_mov_b32 s15, exec_lo
	v_mbcnt_lo_u32_b32 v2, s16, 0
	global_load_dwordx2 v[0:1], v3, s[6:7] offset:16
	v_cmpx_eq_u32_e32 0, v2
	s_cbranch_execz .LBB7_28
; %bb.27:
	s_bcnt1_i32_b32 s16, s16
	v_mov_b32_e32 v2, s16
	s_waitcnt vmcnt(0)
	global_atomic_add_x2 v[0:1], v[2:3], off offset:8
.LBB7_28:
	s_or_b32 exec_lo, exec_lo, s15
	s_waitcnt vmcnt(0)
	global_load_dwordx2 v[2:3], v[0:1], off offset:16
	s_waitcnt vmcnt(0)
	v_cmp_eq_u64_e32 vcc_lo, 0, v[2:3]
	s_cbranch_vccnz .LBB7_30
; %bb.29:
	global_load_dword v0, v[0:1], off offset:24
	v_mov_b32_e32 v1, 0
	s_waitcnt vmcnt(0)
	v_and_b32_e32 v4, 0x7fffff, v0
	s_waitcnt_vscnt null, 0x0
	global_store_dwordx2 v[2:3], v[0:1], off
	v_readfirstlane_b32 m0, v4
	s_sendmsg sendmsg(MSG_INTERRUPT)
.LBB7_30:
	s_or_b32 exec_lo, exec_lo, s5
	s_branch .LBB7_34
	.p2align	6
.LBB7_31:                               ;   in Loop: Header=BB7_34 Depth=1
	s_or_b32 exec_lo, exec_lo, s5
	v_readfirstlane_b32 s5, v0
	s_cmp_eq_u32 s5, 0
	s_cbranch_scc1 .LBB7_33
; %bb.32:                               ;   in Loop: Header=BB7_34 Depth=1
	s_sleep 1
	s_cbranch_execnz .LBB7_34
	s_branch .LBB7_36
	.p2align	6
.LBB7_33:
	s_branch .LBB7_36
.LBB7_34:                               ; =>This Inner Loop Header: Depth=1
	v_mov_b32_e32 v0, 1
	s_and_saveexec_b32 s5, s4
	s_cbranch_execz .LBB7_31
; %bb.35:                               ;   in Loop: Header=BB7_34 Depth=1
	global_load_dword v0, v[8:9], off offset:20 glc dlc
	s_waitcnt vmcnt(0)
	buffer_gl1_inv
	buffer_gl0_inv
	v_and_b32_e32 v0, 1, v0
	s_branch .LBB7_31
.LBB7_36:
	global_load_dwordx2 v[4:5], v[10:11], off
	s_and_saveexec_b32 s5, s4
	s_cbranch_execz .LBB7_40
; %bb.37:
	v_mov_b32_e32 v8, 0
	s_clause 0x2
	global_load_dwordx2 v[2:3], v8, s[6:7] offset:40
	global_load_dwordx2 v[9:10], v8, s[6:7] offset:24 glc dlc
	global_load_dwordx2 v[6:7], v8, s[6:7]
	s_waitcnt vmcnt(2)
	v_add_co_u32 v11, vcc_lo, v2, 1
	v_add_co_ci_u32_e32 v12, vcc_lo, 0, v3, vcc_lo
	v_add_co_u32 v0, vcc_lo, v11, s10
	v_add_co_ci_u32_e32 v1, vcc_lo, s11, v12, vcc_lo
	v_cmp_eq_u64_e32 vcc_lo, 0, v[0:1]
	v_cndmask_b32_e32 v1, v1, v12, vcc_lo
	v_cndmask_b32_e32 v0, v0, v11, vcc_lo
	v_and_b32_e32 v3, v1, v3
	v_and_b32_e32 v2, v0, v2
	v_mul_lo_u32 v3, v3, 24
	v_mul_hi_u32 v11, v2, 24
	v_mul_lo_u32 v2, v2, 24
	v_add_nc_u32_e32 v3, v11, v3
	s_waitcnt vmcnt(0)
	v_add_co_u32 v6, vcc_lo, v6, v2
	v_mov_b32_e32 v2, v9
	v_add_co_ci_u32_e32 v7, vcc_lo, v7, v3, vcc_lo
	v_mov_b32_e32 v3, v10
	global_store_dwordx2 v[6:7], v[9:10], off
	s_waitcnt_vscnt null, 0x0
	global_atomic_cmpswap_x2 v[2:3], v8, v[0:3], s[6:7] offset:24 glc
	s_waitcnt vmcnt(0)
	v_cmp_ne_u64_e32 vcc_lo, v[2:3], v[9:10]
	s_and_b32 exec_lo, exec_lo, vcc_lo
	s_cbranch_execz .LBB7_40
; %bb.38:
	s_mov_b32 s4, 0
.LBB7_39:                               ; =>This Inner Loop Header: Depth=1
	s_sleep 1
	global_store_dwordx2 v[6:7], v[2:3], off
	s_waitcnt_vscnt null, 0x0
	global_atomic_cmpswap_x2 v[9:10], v8, v[0:3], s[6:7] offset:24 glc
	s_waitcnt vmcnt(0)
	v_cmp_eq_u64_e32 vcc_lo, v[9:10], v[2:3]
	v_mov_b32_e32 v2, v9
	v_mov_b32_e32 v3, v10
	s_or_b32 s4, vcc_lo, s4
	s_andn2_b32 exec_lo, exec_lo, s4
	s_cbranch_execnz .LBB7_39
.LBB7_40:
	s_or_b32 exec_lo, exec_lo, s5
	s_getpc_b64 s[10:11]
	s_add_u32 s10, s10, .str.5@rel32@lo+4
	s_addc_u32 s11, s11, .str.5@rel32@hi+12
	s_cmp_lg_u64 s[10:11], 0
	s_cselect_b32 s15, -1, 0
	s_and_b32 vcc_lo, exec_lo, s15
	s_cbranch_vccz .LBB7_119
; %bb.41:
	s_waitcnt vmcnt(0)
	v_and_b32_e32 v28, 2, v4
	v_mov_b32_e32 v7, 0
	v_and_b32_e32 v0, -3, v4
	v_mov_b32_e32 v1, v5
	v_mov_b32_e32 v8, 2
	;; [unrolled: 1-line block ×3, first 2 shown]
	s_mov_b64 s[16:17], 3
	s_branch .LBB7_43
.LBB7_42:                               ;   in Loop: Header=BB7_43 Depth=1
	s_or_b32 exec_lo, exec_lo, s5
	s_sub_u32 s16, s16, s18
	s_subb_u32 s17, s17, s19
	s_add_u32 s10, s10, s18
	s_addc_u32 s11, s11, s19
	s_cmp_lg_u64 s[16:17], 0
	s_cbranch_scc0 .LBB7_118
.LBB7_43:                               ; =>This Loop Header: Depth=1
                                        ;     Child Loop BB7_52 Depth 2
                                        ;     Child Loop BB7_48 Depth 2
	;; [unrolled: 1-line block ×11, first 2 shown]
	v_cmp_lt_u64_e64 s4, s[16:17], 56
	v_cmp_gt_u64_e64 s5, s[16:17], 7
                                        ; implicit-def: $vgpr2_vgpr3
                                        ; implicit-def: $sgpr24
	s_and_b32 s4, s4, exec_lo
	s_cselect_b32 s19, s17, 0
	s_cselect_b32 s18, s16, 56
	s_and_b32 vcc_lo, exec_lo, s5
	s_mov_b32 s4, -1
	s_cbranch_vccz .LBB7_50
; %bb.44:                               ;   in Loop: Header=BB7_43 Depth=1
	s_andn2_b32 vcc_lo, exec_lo, s4
	s_mov_b64 s[4:5], s[10:11]
	s_cbranch_vccz .LBB7_54
.LBB7_45:                               ;   in Loop: Header=BB7_43 Depth=1
	s_cmp_gt_u32 s24, 7
	s_cbranch_scc1 .LBB7_55
.LBB7_46:                               ;   in Loop: Header=BB7_43 Depth=1
	v_mov_b32_e32 v10, 0
	v_mov_b32_e32 v11, 0
	s_cmp_eq_u32 s24, 0
	s_cbranch_scc1 .LBB7_49
; %bb.47:                               ;   in Loop: Header=BB7_43 Depth=1
	s_mov_b64 s[20:21], 0
	s_mov_b64 s[22:23], 0
.LBB7_48:                               ;   Parent Loop BB7_43 Depth=1
                                        ; =>  This Inner Loop Header: Depth=2
	s_add_u32 s26, s4, s22
	s_addc_u32 s27, s5, s23
	s_add_u32 s22, s22, 1
	global_load_ubyte v6, v7, s[26:27]
	s_addc_u32 s23, s23, 0
	s_waitcnt vmcnt(0)
	v_and_b32_e32 v6, 0xffff, v6
	v_lshlrev_b64 v[12:13], s20, v[6:7]
	s_add_u32 s20, s20, 8
	s_addc_u32 s21, s21, 0
	s_cmp_lg_u32 s24, s22
	v_or_b32_e32 v10, v12, v10
	v_or_b32_e32 v11, v13, v11
	s_cbranch_scc1 .LBB7_48
.LBB7_49:                               ;   in Loop: Header=BB7_43 Depth=1
	s_mov_b32 s25, 0
	s_cbranch_execz .LBB7_56
	s_branch .LBB7_57
.LBB7_50:                               ;   in Loop: Header=BB7_43 Depth=1
	s_waitcnt vmcnt(0)
	v_mov_b32_e32 v2, 0
	v_mov_b32_e32 v3, 0
	s_cmp_eq_u64 s[16:17], 0
	s_mov_b64 s[4:5], 0
	s_cbranch_scc1 .LBB7_53
; %bb.51:                               ;   in Loop: Header=BB7_43 Depth=1
	v_mov_b32_e32 v2, 0
	v_mov_b32_e32 v3, 0
	s_lshl_b64 s[20:21], s[18:19], 3
	s_mov_b64 s[22:23], s[10:11]
.LBB7_52:                               ;   Parent Loop BB7_43 Depth=1
                                        ; =>  This Inner Loop Header: Depth=2
	global_load_ubyte v6, v7, s[22:23]
	s_waitcnt vmcnt(0)
	v_and_b32_e32 v6, 0xffff, v6
	v_lshlrev_b64 v[10:11], s4, v[6:7]
	s_add_u32 s4, s4, 8
	s_addc_u32 s5, s5, 0
	s_add_u32 s22, s22, 1
	s_addc_u32 s23, s23, 0
	s_cmp_lg_u32 s20, s4
	v_or_b32_e32 v2, v10, v2
	v_or_b32_e32 v3, v11, v3
	s_cbranch_scc1 .LBB7_52
.LBB7_53:                               ;   in Loop: Header=BB7_43 Depth=1
	s_mov_b32 s24, 0
	s_mov_b64 s[4:5], s[10:11]
	s_cbranch_execnz .LBB7_45
.LBB7_54:                               ;   in Loop: Header=BB7_43 Depth=1
	global_load_dwordx2 v[2:3], v7, s[10:11]
	s_add_i32 s24, s18, -8
	s_add_u32 s4, s10, 8
	s_addc_u32 s5, s11, 0
	s_cmp_gt_u32 s24, 7
	s_cbranch_scc0 .LBB7_46
.LBB7_55:                               ;   in Loop: Header=BB7_43 Depth=1
                                        ; implicit-def: $vgpr10_vgpr11
                                        ; implicit-def: $sgpr25
.LBB7_56:                               ;   in Loop: Header=BB7_43 Depth=1
	global_load_dwordx2 v[10:11], v7, s[4:5]
	s_add_i32 s25, s24, -8
	s_add_u32 s4, s4, 8
	s_addc_u32 s5, s5, 0
.LBB7_57:                               ;   in Loop: Header=BB7_43 Depth=1
	s_cmp_gt_u32 s25, 7
	s_cbranch_scc1 .LBB7_62
; %bb.58:                               ;   in Loop: Header=BB7_43 Depth=1
	v_mov_b32_e32 v12, 0
	v_mov_b32_e32 v13, 0
	s_cmp_eq_u32 s25, 0
	s_cbranch_scc1 .LBB7_61
; %bb.59:                               ;   in Loop: Header=BB7_43 Depth=1
	s_mov_b64 s[20:21], 0
	s_mov_b64 s[22:23], 0
.LBB7_60:                               ;   Parent Loop BB7_43 Depth=1
                                        ; =>  This Inner Loop Header: Depth=2
	s_add_u32 s26, s4, s22
	s_addc_u32 s27, s5, s23
	s_add_u32 s22, s22, 1
	global_load_ubyte v6, v7, s[26:27]
	s_addc_u32 s23, s23, 0
	s_waitcnt vmcnt(0)
	v_and_b32_e32 v6, 0xffff, v6
	v_lshlrev_b64 v[14:15], s20, v[6:7]
	s_add_u32 s20, s20, 8
	s_addc_u32 s21, s21, 0
	s_cmp_lg_u32 s25, s22
	v_or_b32_e32 v12, v14, v12
	v_or_b32_e32 v13, v15, v13
	s_cbranch_scc1 .LBB7_60
.LBB7_61:                               ;   in Loop: Header=BB7_43 Depth=1
	s_mov_b32 s24, 0
	s_cbranch_execz .LBB7_63
	s_branch .LBB7_64
.LBB7_62:                               ;   in Loop: Header=BB7_43 Depth=1
                                        ; implicit-def: $sgpr24
.LBB7_63:                               ;   in Loop: Header=BB7_43 Depth=1
	global_load_dwordx2 v[12:13], v7, s[4:5]
	s_add_i32 s24, s25, -8
	s_add_u32 s4, s4, 8
	s_addc_u32 s5, s5, 0
.LBB7_64:                               ;   in Loop: Header=BB7_43 Depth=1
	s_cmp_gt_u32 s24, 7
	s_cbranch_scc1 .LBB7_69
; %bb.65:                               ;   in Loop: Header=BB7_43 Depth=1
	v_mov_b32_e32 v14, 0
	v_mov_b32_e32 v15, 0
	s_cmp_eq_u32 s24, 0
	s_cbranch_scc1 .LBB7_68
; %bb.66:                               ;   in Loop: Header=BB7_43 Depth=1
	s_mov_b64 s[20:21], 0
	s_mov_b64 s[22:23], 0
.LBB7_67:                               ;   Parent Loop BB7_43 Depth=1
                                        ; =>  This Inner Loop Header: Depth=2
	s_add_u32 s26, s4, s22
	s_addc_u32 s27, s5, s23
	s_add_u32 s22, s22, 1
	global_load_ubyte v6, v7, s[26:27]
	s_addc_u32 s23, s23, 0
	s_waitcnt vmcnt(0)
	v_and_b32_e32 v6, 0xffff, v6
	v_lshlrev_b64 v[16:17], s20, v[6:7]
	s_add_u32 s20, s20, 8
	s_addc_u32 s21, s21, 0
	s_cmp_lg_u32 s24, s22
	v_or_b32_e32 v14, v16, v14
	v_or_b32_e32 v15, v17, v15
	s_cbranch_scc1 .LBB7_67
.LBB7_68:                               ;   in Loop: Header=BB7_43 Depth=1
	s_mov_b32 s25, 0
	s_cbranch_execz .LBB7_70
	s_branch .LBB7_71
.LBB7_69:                               ;   in Loop: Header=BB7_43 Depth=1
                                        ; implicit-def: $vgpr14_vgpr15
                                        ; implicit-def: $sgpr25
.LBB7_70:                               ;   in Loop: Header=BB7_43 Depth=1
	global_load_dwordx2 v[14:15], v7, s[4:5]
	s_add_i32 s25, s24, -8
	s_add_u32 s4, s4, 8
	s_addc_u32 s5, s5, 0
.LBB7_71:                               ;   in Loop: Header=BB7_43 Depth=1
	s_cmp_gt_u32 s25, 7
	s_cbranch_scc1 .LBB7_76
; %bb.72:                               ;   in Loop: Header=BB7_43 Depth=1
	v_mov_b32_e32 v16, 0
	v_mov_b32_e32 v17, 0
	s_cmp_eq_u32 s25, 0
	s_cbranch_scc1 .LBB7_75
; %bb.73:                               ;   in Loop: Header=BB7_43 Depth=1
	s_mov_b64 s[20:21], 0
	s_mov_b64 s[22:23], 0
.LBB7_74:                               ;   Parent Loop BB7_43 Depth=1
                                        ; =>  This Inner Loop Header: Depth=2
	s_add_u32 s26, s4, s22
	s_addc_u32 s27, s5, s23
	s_add_u32 s22, s22, 1
	global_load_ubyte v6, v7, s[26:27]
	s_addc_u32 s23, s23, 0
	s_waitcnt vmcnt(0)
	v_and_b32_e32 v6, 0xffff, v6
	v_lshlrev_b64 v[18:19], s20, v[6:7]
	s_add_u32 s20, s20, 8
	s_addc_u32 s21, s21, 0
	s_cmp_lg_u32 s25, s22
	v_or_b32_e32 v16, v18, v16
	v_or_b32_e32 v17, v19, v17
	s_cbranch_scc1 .LBB7_74
.LBB7_75:                               ;   in Loop: Header=BB7_43 Depth=1
	s_mov_b32 s24, 0
	s_cbranch_execz .LBB7_77
	s_branch .LBB7_78
.LBB7_76:                               ;   in Loop: Header=BB7_43 Depth=1
                                        ; implicit-def: $sgpr24
.LBB7_77:                               ;   in Loop: Header=BB7_43 Depth=1
	global_load_dwordx2 v[16:17], v7, s[4:5]
	s_add_i32 s24, s25, -8
	s_add_u32 s4, s4, 8
	s_addc_u32 s5, s5, 0
.LBB7_78:                               ;   in Loop: Header=BB7_43 Depth=1
	s_cmp_gt_u32 s24, 7
	s_cbranch_scc1 .LBB7_83
; %bb.79:                               ;   in Loop: Header=BB7_43 Depth=1
	v_mov_b32_e32 v18, 0
	v_mov_b32_e32 v19, 0
	s_cmp_eq_u32 s24, 0
	s_cbranch_scc1 .LBB7_82
; %bb.80:                               ;   in Loop: Header=BB7_43 Depth=1
	s_mov_b64 s[20:21], 0
	s_mov_b64 s[22:23], 0
.LBB7_81:                               ;   Parent Loop BB7_43 Depth=1
                                        ; =>  This Inner Loop Header: Depth=2
	s_add_u32 s26, s4, s22
	s_addc_u32 s27, s5, s23
	s_add_u32 s22, s22, 1
	global_load_ubyte v6, v7, s[26:27]
	s_addc_u32 s23, s23, 0
	s_waitcnt vmcnt(0)
	v_and_b32_e32 v6, 0xffff, v6
	v_lshlrev_b64 v[20:21], s20, v[6:7]
	s_add_u32 s20, s20, 8
	s_addc_u32 s21, s21, 0
	s_cmp_lg_u32 s24, s22
	v_or_b32_e32 v18, v20, v18
	v_or_b32_e32 v19, v21, v19
	s_cbranch_scc1 .LBB7_81
.LBB7_82:                               ;   in Loop: Header=BB7_43 Depth=1
	s_mov_b32 s25, 0
	s_cbranch_execz .LBB7_84
	s_branch .LBB7_85
.LBB7_83:                               ;   in Loop: Header=BB7_43 Depth=1
                                        ; implicit-def: $vgpr18_vgpr19
                                        ; implicit-def: $sgpr25
.LBB7_84:                               ;   in Loop: Header=BB7_43 Depth=1
	global_load_dwordx2 v[18:19], v7, s[4:5]
	s_add_i32 s25, s24, -8
	s_add_u32 s4, s4, 8
	s_addc_u32 s5, s5, 0
.LBB7_85:                               ;   in Loop: Header=BB7_43 Depth=1
	s_cmp_gt_u32 s25, 7
	s_cbranch_scc1 .LBB7_90
; %bb.86:                               ;   in Loop: Header=BB7_43 Depth=1
	v_mov_b32_e32 v20, 0
	v_mov_b32_e32 v21, 0
	s_cmp_eq_u32 s25, 0
	s_cbranch_scc1 .LBB7_89
; %bb.87:                               ;   in Loop: Header=BB7_43 Depth=1
	s_mov_b64 s[20:21], 0
	s_mov_b64 s[22:23], s[4:5]
.LBB7_88:                               ;   Parent Loop BB7_43 Depth=1
                                        ; =>  This Inner Loop Header: Depth=2
	global_load_ubyte v6, v7, s[22:23]
	s_add_i32 s25, s25, -1
	s_waitcnt vmcnt(0)
	v_and_b32_e32 v6, 0xffff, v6
	v_lshlrev_b64 v[22:23], s20, v[6:7]
	s_add_u32 s20, s20, 8
	s_addc_u32 s21, s21, 0
	s_add_u32 s22, s22, 1
	s_addc_u32 s23, s23, 0
	s_cmp_lg_u32 s25, 0
	v_or_b32_e32 v20, v22, v20
	v_or_b32_e32 v21, v23, v21
	s_cbranch_scc1 .LBB7_88
.LBB7_89:                               ;   in Loop: Header=BB7_43 Depth=1
	s_cbranch_execz .LBB7_91
	s_branch .LBB7_92
.LBB7_90:                               ;   in Loop: Header=BB7_43 Depth=1
.LBB7_91:                               ;   in Loop: Header=BB7_43 Depth=1
	global_load_dwordx2 v[20:21], v7, s[4:5]
.LBB7_92:                               ;   in Loop: Header=BB7_43 Depth=1
	v_readfirstlane_b32 s4, v32
	v_mov_b32_e32 v26, 0
	v_mov_b32_e32 v27, 0
	v_cmp_eq_u32_e64 s4, s4, v32
	s_and_saveexec_b32 s5, s4
	s_cbranch_execz .LBB7_98
; %bb.93:                               ;   in Loop: Header=BB7_43 Depth=1
	global_load_dwordx2 v[24:25], v7, s[6:7] offset:24 glc dlc
	s_waitcnt vmcnt(0)
	buffer_gl1_inv
	buffer_gl0_inv
	s_clause 0x1
	global_load_dwordx2 v[22:23], v7, s[6:7] offset:40
	global_load_dwordx2 v[26:27], v7, s[6:7]
	s_mov_b32 s20, exec_lo
	s_waitcnt vmcnt(1)
	v_and_b32_e32 v6, v23, v25
	v_and_b32_e32 v22, v22, v24
	v_mul_lo_u32 v6, v6, 24
	v_mul_hi_u32 v23, v22, 24
	v_mul_lo_u32 v22, v22, 24
	v_add_nc_u32_e32 v6, v23, v6
	s_waitcnt vmcnt(0)
	v_add_co_u32 v22, vcc_lo, v26, v22
	v_add_co_ci_u32_e32 v23, vcc_lo, v27, v6, vcc_lo
	global_load_dwordx2 v[22:23], v[22:23], off glc dlc
	s_waitcnt vmcnt(0)
	global_atomic_cmpswap_x2 v[26:27], v7, v[22:25], s[6:7] offset:24 glc
	s_waitcnt vmcnt(0)
	buffer_gl1_inv
	buffer_gl0_inv
	v_cmpx_ne_u64_e64 v[26:27], v[24:25]
	s_cbranch_execz .LBB7_97
; %bb.94:                               ;   in Loop: Header=BB7_43 Depth=1
	s_mov_b32 s21, 0
	.p2align	6
.LBB7_95:                               ;   Parent Loop BB7_43 Depth=1
                                        ; =>  This Inner Loop Header: Depth=2
	s_sleep 1
	s_clause 0x1
	global_load_dwordx2 v[22:23], v7, s[6:7] offset:40
	global_load_dwordx2 v[29:30], v7, s[6:7]
	v_mov_b32_e32 v24, v26
	v_mov_b32_e32 v25, v27
	s_waitcnt vmcnt(1)
	v_and_b32_e32 v6, v22, v24
	v_and_b32_e32 v22, v23, v25
	s_waitcnt vmcnt(0)
	v_mad_u64_u32 v[26:27], null, v6, 24, v[29:30]
	v_mov_b32_e32 v6, v27
	v_mad_u64_u32 v[22:23], null, v22, 24, v[6:7]
	v_mov_b32_e32 v27, v22
	global_load_dwordx2 v[22:23], v[26:27], off glc dlc
	s_waitcnt vmcnt(0)
	global_atomic_cmpswap_x2 v[26:27], v7, v[22:25], s[6:7] offset:24 glc
	s_waitcnt vmcnt(0)
	buffer_gl1_inv
	buffer_gl0_inv
	v_cmp_eq_u64_e32 vcc_lo, v[26:27], v[24:25]
	s_or_b32 s21, vcc_lo, s21
	s_andn2_b32 exec_lo, exec_lo, s21
	s_cbranch_execnz .LBB7_95
; %bb.96:                               ;   in Loop: Header=BB7_43 Depth=1
	s_or_b32 exec_lo, exec_lo, s21
.LBB7_97:                               ;   in Loop: Header=BB7_43 Depth=1
	s_or_b32 exec_lo, exec_lo, s20
.LBB7_98:                               ;   in Loop: Header=BB7_43 Depth=1
	s_or_b32 exec_lo, exec_lo, s5
	s_clause 0x1
	global_load_dwordx2 v[29:30], v7, s[6:7] offset:40
	global_load_dwordx4 v[22:25], v7, s[6:7]
	v_readfirstlane_b32 s20, v26
	v_readfirstlane_b32 s21, v27
	s_mov_b32 s5, exec_lo
	s_waitcnt vmcnt(1)
	v_readfirstlane_b32 s22, v29
	v_readfirstlane_b32 s23, v30
	s_and_b64 s[22:23], s[20:21], s[22:23]
	s_mul_i32 s24, s23, 24
	s_mul_hi_u32 s25, s22, 24
	s_mul_i32 s26, s22, 24
	s_add_i32 s25, s25, s24
	s_waitcnt vmcnt(0)
	v_add_co_u32 v26, vcc_lo, v22, s26
	v_add_co_ci_u32_e32 v27, vcc_lo, s25, v23, vcc_lo
	s_and_saveexec_b32 s24, s4
	s_cbranch_execz .LBB7_100
; %bb.99:                               ;   in Loop: Header=BB7_43 Depth=1
	v_mov_b32_e32 v6, s5
	global_store_dwordx4 v[26:27], v[6:9], off offset:8
.LBB7_100:                              ;   in Loop: Header=BB7_43 Depth=1
	s_or_b32 exec_lo, exec_lo, s24
	s_lshl_b64 s[22:23], s[22:23], 12
	v_cmp_gt_u64_e64 vcc_lo, s[16:17], 56
	v_or_b32_e32 v29, v0, v28
	v_add_co_u32 v24, s5, v24, s22
	v_add_co_ci_u32_e64 v25, s5, s23, v25, s5
	s_lshl_b32 s5, s18, 2
	v_or_b32_e32 v6, 0, v1
	v_cndmask_b32_e32 v0, v29, v0, vcc_lo
	s_add_i32 s5, s5, 28
	v_readfirstlane_b32 s22, v24
	s_and_b32 s5, s5, 0x1e0
	v_cndmask_b32_e32 v1, v6, v1, vcc_lo
	v_readfirstlane_b32 s23, v25
	v_and_or_b32 v0, 0xffffff1f, v0, s5
	global_store_dwordx4 v31, v[0:3], s[22:23]
	global_store_dwordx4 v31, v[10:13], s[22:23] offset:16
	global_store_dwordx4 v31, v[14:17], s[22:23] offset:32
	;; [unrolled: 1-line block ×3, first 2 shown]
	s_and_saveexec_b32 s5, s4
	s_cbranch_execz .LBB7_108
; %bb.101:                              ;   in Loop: Header=BB7_43 Depth=1
	s_clause 0x1
	global_load_dwordx2 v[14:15], v7, s[6:7] offset:32 glc dlc
	global_load_dwordx2 v[0:1], v7, s[6:7] offset:40
	v_mov_b32_e32 v12, s20
	v_mov_b32_e32 v13, s21
	s_waitcnt vmcnt(0)
	v_readfirstlane_b32 s22, v0
	v_readfirstlane_b32 s23, v1
	s_and_b64 s[22:23], s[22:23], s[20:21]
	s_mul_i32 s23, s23, 24
	s_mul_hi_u32 s24, s22, 24
	s_mul_i32 s22, s22, 24
	s_add_i32 s24, s24, s23
	v_add_co_u32 v10, vcc_lo, v22, s22
	v_add_co_ci_u32_e32 v11, vcc_lo, s24, v23, vcc_lo
	s_mov_b32 s22, exec_lo
	global_store_dwordx2 v[10:11], v[14:15], off
	s_waitcnt_vscnt null, 0x0
	global_atomic_cmpswap_x2 v[2:3], v7, v[12:15], s[6:7] offset:32 glc
	s_waitcnt vmcnt(0)
	v_cmpx_ne_u64_e64 v[2:3], v[14:15]
	s_cbranch_execz .LBB7_104
; %bb.102:                              ;   in Loop: Header=BB7_43 Depth=1
	s_mov_b32 s23, 0
.LBB7_103:                              ;   Parent Loop BB7_43 Depth=1
                                        ; =>  This Inner Loop Header: Depth=2
	v_mov_b32_e32 v0, s20
	v_mov_b32_e32 v1, s21
	s_sleep 1
	global_store_dwordx2 v[10:11], v[2:3], off
	s_waitcnt_vscnt null, 0x0
	global_atomic_cmpswap_x2 v[0:1], v7, v[0:3], s[6:7] offset:32 glc
	s_waitcnt vmcnt(0)
	v_cmp_eq_u64_e32 vcc_lo, v[0:1], v[2:3]
	v_mov_b32_e32 v3, v1
	v_mov_b32_e32 v2, v0
	s_or_b32 s23, vcc_lo, s23
	s_andn2_b32 exec_lo, exec_lo, s23
	s_cbranch_execnz .LBB7_103
.LBB7_104:                              ;   in Loop: Header=BB7_43 Depth=1
	s_or_b32 exec_lo, exec_lo, s22
	global_load_dwordx2 v[0:1], v7, s[6:7] offset:16
	s_mov_b32 s23, exec_lo
	s_mov_b32 s22, exec_lo
	v_mbcnt_lo_u32_b32 v2, s23, 0
	v_cmpx_eq_u32_e32 0, v2
	s_cbranch_execz .LBB7_106
; %bb.105:                              ;   in Loop: Header=BB7_43 Depth=1
	s_bcnt1_i32_b32 s23, s23
	v_mov_b32_e32 v6, s23
	s_waitcnt vmcnt(0)
	global_atomic_add_x2 v[0:1], v[6:7], off offset:8
.LBB7_106:                              ;   in Loop: Header=BB7_43 Depth=1
	s_or_b32 exec_lo, exec_lo, s22
	s_waitcnt vmcnt(0)
	global_load_dwordx2 v[2:3], v[0:1], off offset:16
	s_waitcnt vmcnt(0)
	v_cmp_eq_u64_e32 vcc_lo, 0, v[2:3]
	s_cbranch_vccnz .LBB7_108
; %bb.107:                              ;   in Loop: Header=BB7_43 Depth=1
	global_load_dword v6, v[0:1], off offset:24
	s_waitcnt vmcnt(0)
	v_and_b32_e32 v0, 0x7fffff, v6
	s_waitcnt_vscnt null, 0x0
	global_store_dwordx2 v[2:3], v[6:7], off
	v_readfirstlane_b32 m0, v0
	s_sendmsg sendmsg(MSG_INTERRUPT)
.LBB7_108:                              ;   in Loop: Header=BB7_43 Depth=1
	s_or_b32 exec_lo, exec_lo, s5
	v_add_co_u32 v0, vcc_lo, v24, v31
	v_add_co_ci_u32_e32 v1, vcc_lo, 0, v25, vcc_lo
	s_branch .LBB7_112
	.p2align	6
.LBB7_109:                              ;   in Loop: Header=BB7_112 Depth=2
	s_or_b32 exec_lo, exec_lo, s5
	v_readfirstlane_b32 s5, v2
	s_cmp_eq_u32 s5, 0
	s_cbranch_scc1 .LBB7_111
; %bb.110:                              ;   in Loop: Header=BB7_112 Depth=2
	s_sleep 1
	s_cbranch_execnz .LBB7_112
	s_branch .LBB7_114
	.p2align	6
.LBB7_111:                              ;   in Loop: Header=BB7_43 Depth=1
	s_branch .LBB7_114
.LBB7_112:                              ;   Parent Loop BB7_43 Depth=1
                                        ; =>  This Inner Loop Header: Depth=2
	v_mov_b32_e32 v2, 1
	s_and_saveexec_b32 s5, s4
	s_cbranch_execz .LBB7_109
; %bb.113:                              ;   in Loop: Header=BB7_112 Depth=2
	global_load_dword v2, v[26:27], off offset:20 glc dlc
	s_waitcnt vmcnt(0)
	buffer_gl1_inv
	buffer_gl0_inv
	v_and_b32_e32 v2, 1, v2
	s_branch .LBB7_109
.LBB7_114:                              ;   in Loop: Header=BB7_43 Depth=1
	global_load_dwordx4 v[0:3], v[0:1], off
	s_and_saveexec_b32 s5, s4
	s_cbranch_execz .LBB7_42
; %bb.115:                              ;   in Loop: Header=BB7_43 Depth=1
	s_clause 0x2
	global_load_dwordx2 v[2:3], v7, s[6:7] offset:40
	global_load_dwordx2 v[14:15], v7, s[6:7] offset:24 glc dlc
	global_load_dwordx2 v[12:13], v7, s[6:7]
	s_waitcnt vmcnt(2)
	v_add_co_u32 v6, vcc_lo, v2, 1
	v_add_co_ci_u32_e32 v16, vcc_lo, 0, v3, vcc_lo
	v_add_co_u32 v10, vcc_lo, v6, s20
	v_add_co_ci_u32_e32 v11, vcc_lo, s21, v16, vcc_lo
	v_cmp_eq_u64_e32 vcc_lo, 0, v[10:11]
	v_cndmask_b32_e32 v11, v11, v16, vcc_lo
	v_cndmask_b32_e32 v10, v10, v6, vcc_lo
	v_and_b32_e32 v3, v11, v3
	v_and_b32_e32 v2, v10, v2
	v_mul_lo_u32 v3, v3, 24
	v_mul_hi_u32 v6, v2, 24
	v_mul_lo_u32 v2, v2, 24
	v_add_nc_u32_e32 v3, v6, v3
	s_waitcnt vmcnt(0)
	v_add_co_u32 v2, vcc_lo, v12, v2
	v_mov_b32_e32 v12, v14
	v_add_co_ci_u32_e32 v3, vcc_lo, v13, v3, vcc_lo
	v_mov_b32_e32 v13, v15
	global_store_dwordx2 v[2:3], v[14:15], off
	s_waitcnt_vscnt null, 0x0
	global_atomic_cmpswap_x2 v[12:13], v7, v[10:13], s[6:7] offset:24 glc
	s_waitcnt vmcnt(0)
	v_cmp_ne_u64_e32 vcc_lo, v[12:13], v[14:15]
	s_and_b32 exec_lo, exec_lo, vcc_lo
	s_cbranch_execz .LBB7_42
; %bb.116:                              ;   in Loop: Header=BB7_43 Depth=1
	s_mov_b32 s4, 0
.LBB7_117:                              ;   Parent Loop BB7_43 Depth=1
                                        ; =>  This Inner Loop Header: Depth=2
	s_sleep 1
	global_store_dwordx2 v[2:3], v[12:13], off
	s_waitcnt_vscnt null, 0x0
	global_atomic_cmpswap_x2 v[14:15], v7, v[10:13], s[6:7] offset:24 glc
	s_waitcnt vmcnt(0)
	v_cmp_eq_u64_e32 vcc_lo, v[14:15], v[12:13]
	v_mov_b32_e32 v12, v14
	v_mov_b32_e32 v13, v15
	s_or_b32 s4, vcc_lo, s4
	s_andn2_b32 exec_lo, exec_lo, s4
	s_cbranch_execnz .LBB7_117
	s_branch .LBB7_42
.LBB7_118:
	s_branch .LBB7_147
.LBB7_119:
                                        ; implicit-def: $vgpr0_vgpr1
	s_cbranch_execz .LBB7_147
; %bb.120:
	v_readfirstlane_b32 s4, v32
	v_mov_b32_e32 v7, 0
	v_mov_b32_e32 v8, 0
	v_cmp_eq_u32_e64 s4, s4, v32
	s_and_saveexec_b32 s5, s4
	s_cbranch_execz .LBB7_126
; %bb.121:
	s_waitcnt vmcnt(0)
	v_mov_b32_e32 v0, 0
	s_mov_b32 s10, exec_lo
	global_load_dwordx2 v[9:10], v0, s[6:7] offset:24 glc dlc
	s_waitcnt vmcnt(0)
	buffer_gl1_inv
	buffer_gl0_inv
	s_clause 0x1
	global_load_dwordx2 v[1:2], v0, s[6:7] offset:40
	global_load_dwordx2 v[6:7], v0, s[6:7]
	s_waitcnt vmcnt(1)
	v_and_b32_e32 v2, v2, v10
	v_and_b32_e32 v1, v1, v9
	v_mul_lo_u32 v2, v2, 24
	v_mul_hi_u32 v3, v1, 24
	v_mul_lo_u32 v1, v1, 24
	v_add_nc_u32_e32 v2, v3, v2
	s_waitcnt vmcnt(0)
	v_add_co_u32 v1, vcc_lo, v6, v1
	v_add_co_ci_u32_e32 v2, vcc_lo, v7, v2, vcc_lo
	global_load_dwordx2 v[7:8], v[1:2], off glc dlc
	s_waitcnt vmcnt(0)
	global_atomic_cmpswap_x2 v[7:8], v0, v[7:10], s[6:7] offset:24 glc
	s_waitcnt vmcnt(0)
	buffer_gl1_inv
	buffer_gl0_inv
	v_cmpx_ne_u64_e64 v[7:8], v[9:10]
	s_cbranch_execz .LBB7_125
; %bb.122:
	s_mov_b32 s11, 0
	.p2align	6
.LBB7_123:                              ; =>This Inner Loop Header: Depth=1
	s_sleep 1
	s_clause 0x1
	global_load_dwordx2 v[1:2], v0, s[6:7] offset:40
	global_load_dwordx2 v[11:12], v0, s[6:7]
	v_mov_b32_e32 v10, v8
	v_mov_b32_e32 v9, v7
	s_waitcnt vmcnt(1)
	v_and_b32_e32 v1, v1, v9
	v_and_b32_e32 v2, v2, v10
	s_waitcnt vmcnt(0)
	v_mad_u64_u32 v[6:7], null, v1, 24, v[11:12]
	v_mov_b32_e32 v1, v7
	v_mad_u64_u32 v[1:2], null, v2, 24, v[1:2]
	v_mov_b32_e32 v7, v1
	global_load_dwordx2 v[7:8], v[6:7], off glc dlc
	s_waitcnt vmcnt(0)
	global_atomic_cmpswap_x2 v[7:8], v0, v[7:10], s[6:7] offset:24 glc
	s_waitcnt vmcnt(0)
	buffer_gl1_inv
	buffer_gl0_inv
	v_cmp_eq_u64_e32 vcc_lo, v[7:8], v[9:10]
	s_or_b32 s11, vcc_lo, s11
	s_andn2_b32 exec_lo, exec_lo, s11
	s_cbranch_execnz .LBB7_123
; %bb.124:
	s_or_b32 exec_lo, exec_lo, s11
.LBB7_125:
	s_or_b32 exec_lo, exec_lo, s10
.LBB7_126:
	s_or_b32 exec_lo, exec_lo, s5
	v_mov_b32_e32 v6, 0
	v_readfirstlane_b32 s10, v7
	v_readfirstlane_b32 s11, v8
	s_mov_b32 s5, exec_lo
	s_clause 0x1
	global_load_dwordx2 v[9:10], v6, s[6:7] offset:40
	global_load_dwordx4 v[0:3], v6, s[6:7]
	s_waitcnt vmcnt(1)
	v_readfirstlane_b32 s16, v9
	v_readfirstlane_b32 s17, v10
	s_and_b64 s[16:17], s[10:11], s[16:17]
	s_mul_i32 s18, s17, 24
	s_mul_hi_u32 s19, s16, 24
	s_mul_i32 s20, s16, 24
	s_add_i32 s19, s19, s18
	s_waitcnt vmcnt(0)
	v_add_co_u32 v8, vcc_lo, v0, s20
	v_add_co_ci_u32_e32 v9, vcc_lo, s19, v1, vcc_lo
	s_and_saveexec_b32 s18, s4
	s_cbranch_execz .LBB7_128
; %bb.127:
	v_mov_b32_e32 v10, s5
	v_mov_b32_e32 v11, v6
	;; [unrolled: 1-line block ×4, first 2 shown]
	global_store_dwordx4 v[8:9], v[10:13], off offset:8
.LBB7_128:
	s_or_b32 exec_lo, exec_lo, s18
	s_lshl_b64 s[16:17], s[16:17], 12
	v_and_or_b32 v4, 0xffffff1f, v4, 32
	v_add_co_u32 v2, vcc_lo, v2, s16
	v_add_co_ci_u32_e32 v3, vcc_lo, s17, v3, vcc_lo
	s_mov_b32 s16, 0
	v_add_co_u32 v10, vcc_lo, v2, v31
	s_mov_b32 s17, s16
	s_mov_b32 s18, s16
	;; [unrolled: 1-line block ×3, first 2 shown]
	v_mov_b32_e32 v7, v6
	v_readfirstlane_b32 s20, v2
	v_readfirstlane_b32 s21, v3
	v_mov_b32_e32 v12, s16
	v_add_co_ci_u32_e32 v11, vcc_lo, 0, v3, vcc_lo
	v_mov_b32_e32 v13, s17
	v_mov_b32_e32 v14, s18
	;; [unrolled: 1-line block ×3, first 2 shown]
	global_store_dwordx4 v31, v[4:7], s[20:21]
	global_store_dwordx4 v31, v[12:15], s[20:21] offset:16
	global_store_dwordx4 v31, v[12:15], s[20:21] offset:32
	;; [unrolled: 1-line block ×3, first 2 shown]
	s_and_saveexec_b32 s5, s4
	s_cbranch_execz .LBB7_136
; %bb.129:
	v_mov_b32_e32 v6, 0
	v_mov_b32_e32 v12, s10
	;; [unrolled: 1-line block ×3, first 2 shown]
	s_clause 0x1
	global_load_dwordx2 v[14:15], v6, s[6:7] offset:32 glc dlc
	global_load_dwordx2 v[2:3], v6, s[6:7] offset:40
	s_waitcnt vmcnt(0)
	v_readfirstlane_b32 s16, v2
	v_readfirstlane_b32 s17, v3
	s_and_b64 s[16:17], s[16:17], s[10:11]
	s_mul_i32 s17, s17, 24
	s_mul_hi_u32 s18, s16, 24
	s_mul_i32 s16, s16, 24
	s_add_i32 s18, s18, s17
	v_add_co_u32 v4, vcc_lo, v0, s16
	v_add_co_ci_u32_e32 v5, vcc_lo, s18, v1, vcc_lo
	s_mov_b32 s16, exec_lo
	global_store_dwordx2 v[4:5], v[14:15], off
	s_waitcnt_vscnt null, 0x0
	global_atomic_cmpswap_x2 v[2:3], v6, v[12:15], s[6:7] offset:32 glc
	s_waitcnt vmcnt(0)
	v_cmpx_ne_u64_e64 v[2:3], v[14:15]
	s_cbranch_execz .LBB7_132
; %bb.130:
	s_mov_b32 s17, 0
.LBB7_131:                              ; =>This Inner Loop Header: Depth=1
	v_mov_b32_e32 v0, s10
	v_mov_b32_e32 v1, s11
	s_sleep 1
	global_store_dwordx2 v[4:5], v[2:3], off
	s_waitcnt_vscnt null, 0x0
	global_atomic_cmpswap_x2 v[0:1], v6, v[0:3], s[6:7] offset:32 glc
	s_waitcnt vmcnt(0)
	v_cmp_eq_u64_e32 vcc_lo, v[0:1], v[2:3]
	v_mov_b32_e32 v3, v1
	v_mov_b32_e32 v2, v0
	s_or_b32 s17, vcc_lo, s17
	s_andn2_b32 exec_lo, exec_lo, s17
	s_cbranch_execnz .LBB7_131
.LBB7_132:
	s_or_b32 exec_lo, exec_lo, s16
	v_mov_b32_e32 v3, 0
	s_mov_b32 s17, exec_lo
	s_mov_b32 s16, exec_lo
	v_mbcnt_lo_u32_b32 v2, s17, 0
	global_load_dwordx2 v[0:1], v3, s[6:7] offset:16
	v_cmpx_eq_u32_e32 0, v2
	s_cbranch_execz .LBB7_134
; %bb.133:
	s_bcnt1_i32_b32 s17, s17
	v_mov_b32_e32 v2, s17
	s_waitcnt vmcnt(0)
	global_atomic_add_x2 v[0:1], v[2:3], off offset:8
.LBB7_134:
	s_or_b32 exec_lo, exec_lo, s16
	s_waitcnt vmcnt(0)
	global_load_dwordx2 v[2:3], v[0:1], off offset:16
	s_waitcnt vmcnt(0)
	v_cmp_eq_u64_e32 vcc_lo, 0, v[2:3]
	s_cbranch_vccnz .LBB7_136
; %bb.135:
	global_load_dword v0, v[0:1], off offset:24
	v_mov_b32_e32 v1, 0
	s_waitcnt vmcnt(0)
	v_and_b32_e32 v4, 0x7fffff, v0
	s_waitcnt_vscnt null, 0x0
	global_store_dwordx2 v[2:3], v[0:1], off
	v_readfirstlane_b32 m0, v4
	s_sendmsg sendmsg(MSG_INTERRUPT)
.LBB7_136:
	s_or_b32 exec_lo, exec_lo, s5
	s_branch .LBB7_140
	.p2align	6
.LBB7_137:                              ;   in Loop: Header=BB7_140 Depth=1
	s_or_b32 exec_lo, exec_lo, s5
	v_readfirstlane_b32 s5, v0
	s_cmp_eq_u32 s5, 0
	s_cbranch_scc1 .LBB7_139
; %bb.138:                              ;   in Loop: Header=BB7_140 Depth=1
	s_sleep 1
	s_cbranch_execnz .LBB7_140
	s_branch .LBB7_142
	.p2align	6
.LBB7_139:
	s_branch .LBB7_142
.LBB7_140:                              ; =>This Inner Loop Header: Depth=1
	v_mov_b32_e32 v0, 1
	s_and_saveexec_b32 s5, s4
	s_cbranch_execz .LBB7_137
; %bb.141:                              ;   in Loop: Header=BB7_140 Depth=1
	global_load_dword v0, v[8:9], off offset:20 glc dlc
	s_waitcnt vmcnt(0)
	buffer_gl1_inv
	buffer_gl0_inv
	v_and_b32_e32 v0, 1, v0
	s_branch .LBB7_137
.LBB7_142:
	global_load_dwordx2 v[0:1], v[10:11], off
	s_and_saveexec_b32 s5, s4
	s_cbranch_execz .LBB7_146
; %bb.143:
	v_mov_b32_e32 v8, 0
	s_clause 0x2
	global_load_dwordx2 v[4:5], v8, s[6:7] offset:40
	global_load_dwordx2 v[9:10], v8, s[6:7] offset:24 glc dlc
	global_load_dwordx2 v[6:7], v8, s[6:7]
	s_waitcnt vmcnt(2)
	v_add_co_u32 v11, vcc_lo, v4, 1
	v_add_co_ci_u32_e32 v12, vcc_lo, 0, v5, vcc_lo
	v_add_co_u32 v2, vcc_lo, v11, s10
	v_add_co_ci_u32_e32 v3, vcc_lo, s11, v12, vcc_lo
	v_cmp_eq_u64_e32 vcc_lo, 0, v[2:3]
	v_cndmask_b32_e32 v3, v3, v12, vcc_lo
	v_cndmask_b32_e32 v2, v2, v11, vcc_lo
	v_and_b32_e32 v5, v3, v5
	v_and_b32_e32 v4, v2, v4
	v_mul_lo_u32 v5, v5, 24
	v_mul_hi_u32 v11, v4, 24
	v_mul_lo_u32 v4, v4, 24
	v_add_nc_u32_e32 v5, v11, v5
	s_waitcnt vmcnt(0)
	v_add_co_u32 v6, vcc_lo, v6, v4
	v_mov_b32_e32 v4, v9
	v_add_co_ci_u32_e32 v7, vcc_lo, v7, v5, vcc_lo
	v_mov_b32_e32 v5, v10
	global_store_dwordx2 v[6:7], v[9:10], off
	s_waitcnt_vscnt null, 0x0
	global_atomic_cmpswap_x2 v[4:5], v8, v[2:5], s[6:7] offset:24 glc
	s_waitcnt vmcnt(0)
	v_cmp_ne_u64_e32 vcc_lo, v[4:5], v[9:10]
	s_and_b32 exec_lo, exec_lo, vcc_lo
	s_cbranch_execz .LBB7_146
; %bb.144:
	s_mov_b32 s4, 0
.LBB7_145:                              ; =>This Inner Loop Header: Depth=1
	s_sleep 1
	global_store_dwordx2 v[6:7], v[4:5], off
	s_waitcnt_vscnt null, 0x0
	global_atomic_cmpswap_x2 v[9:10], v8, v[2:5], s[6:7] offset:24 glc
	s_waitcnt vmcnt(0)
	v_cmp_eq_u64_e32 vcc_lo, v[9:10], v[4:5]
	v_mov_b32_e32 v4, v9
	v_mov_b32_e32 v5, v10
	s_or_b32 s4, vcc_lo, s4
	s_andn2_b32 exec_lo, exec_lo, s4
	s_cbranch_execnz .LBB7_145
.LBB7_146:
	s_or_b32 exec_lo, exec_lo, s5
.LBB7_147:
	s_getpc_b64 s[10:11]
	s_add_u32 s10, s10, __PRETTY_FUNCTION__._ZL21merge_many_duplicatesRN8migraphx4test12test_managerE@rel32@lo+4
	s_addc_u32 s11, s11, __PRETTY_FUNCTION__._ZL21merge_many_duplicatesRN8migraphx4test12test_managerE@rel32@hi+12
	s_cmp_lg_u64 s[10:11], 0
	s_cbranch_scc0 .LBB7_226
; %bb.148:
	s_waitcnt vmcnt(0)
	v_and_b32_e32 v6, -3, v0
	v_mov_b32_e32 v7, v1
	v_mov_b32_e32 v3, 0
	;; [unrolled: 1-line block ×4, first 2 shown]
	s_mov_b64 s[16:17], 59
	s_branch .LBB7_150
.LBB7_149:                              ;   in Loop: Header=BB7_150 Depth=1
	s_or_b32 exec_lo, exec_lo, s5
	s_sub_u32 s16, s16, s18
	s_subb_u32 s17, s17, s19
	s_add_u32 s10, s10, s18
	s_addc_u32 s11, s11, s19
	s_cmp_lg_u64 s[16:17], 0
	s_cbranch_scc0 .LBB7_225
.LBB7_150:                              ; =>This Loop Header: Depth=1
                                        ;     Child Loop BB7_159 Depth 2
                                        ;     Child Loop BB7_155 Depth 2
	;; [unrolled: 1-line block ×11, first 2 shown]
	v_cmp_lt_u64_e64 s4, s[16:17], 56
	v_cmp_gt_u64_e64 s5, s[16:17], 7
                                        ; implicit-def: $sgpr24
	s_and_b32 s4, s4, exec_lo
	s_cselect_b32 s19, s17, 0
	s_cselect_b32 s18, s16, 56
	s_and_b32 vcc_lo, exec_lo, s5
	s_mov_b32 s4, -1
	s_cbranch_vccz .LBB7_157
; %bb.151:                              ;   in Loop: Header=BB7_150 Depth=1
	s_andn2_b32 vcc_lo, exec_lo, s4
	s_mov_b64 s[4:5], s[10:11]
	s_cbranch_vccz .LBB7_161
.LBB7_152:                              ;   in Loop: Header=BB7_150 Depth=1
	s_cmp_gt_u32 s24, 7
	s_cbranch_scc1 .LBB7_162
.LBB7_153:                              ;   in Loop: Header=BB7_150 Depth=1
	v_mov_b32_e32 v10, 0
	v_mov_b32_e32 v11, 0
	s_cmp_eq_u32 s24, 0
	s_cbranch_scc1 .LBB7_156
; %bb.154:                              ;   in Loop: Header=BB7_150 Depth=1
	s_mov_b64 s[20:21], 0
	s_mov_b64 s[22:23], 0
.LBB7_155:                              ;   Parent Loop BB7_150 Depth=1
                                        ; =>  This Inner Loop Header: Depth=2
	s_add_u32 s26, s4, s22
	s_addc_u32 s27, s5, s23
	s_add_u32 s22, s22, 1
	global_load_ubyte v2, v3, s[26:27]
	s_addc_u32 s23, s23, 0
	s_waitcnt vmcnt(0)
	v_and_b32_e32 v2, 0xffff, v2
	v_lshlrev_b64 v[12:13], s20, v[2:3]
	s_add_u32 s20, s20, 8
	s_addc_u32 s21, s21, 0
	s_cmp_lg_u32 s24, s22
	v_or_b32_e32 v10, v12, v10
	v_or_b32_e32 v11, v13, v11
	s_cbranch_scc1 .LBB7_155
.LBB7_156:                              ;   in Loop: Header=BB7_150 Depth=1
	s_mov_b32 s25, 0
	s_cbranch_execz .LBB7_163
	s_branch .LBB7_164
.LBB7_157:                              ;   in Loop: Header=BB7_150 Depth=1
	s_waitcnt vmcnt(0)
	v_mov_b32_e32 v8, 0
	v_mov_b32_e32 v9, 0
	s_cmp_eq_u64 s[16:17], 0
	s_mov_b64 s[4:5], 0
	s_cbranch_scc1 .LBB7_160
; %bb.158:                              ;   in Loop: Header=BB7_150 Depth=1
	v_mov_b32_e32 v8, 0
	v_mov_b32_e32 v9, 0
	s_lshl_b64 s[20:21], s[18:19], 3
	s_mov_b64 s[22:23], s[10:11]
.LBB7_159:                              ;   Parent Loop BB7_150 Depth=1
                                        ; =>  This Inner Loop Header: Depth=2
	global_load_ubyte v2, v3, s[22:23]
	s_waitcnt vmcnt(0)
	v_and_b32_e32 v2, 0xffff, v2
	v_lshlrev_b64 v[10:11], s4, v[2:3]
	s_add_u32 s4, s4, 8
	s_addc_u32 s5, s5, 0
	s_add_u32 s22, s22, 1
	s_addc_u32 s23, s23, 0
	s_cmp_lg_u32 s20, s4
	v_or_b32_e32 v8, v10, v8
	v_or_b32_e32 v9, v11, v9
	s_cbranch_scc1 .LBB7_159
.LBB7_160:                              ;   in Loop: Header=BB7_150 Depth=1
	s_mov_b32 s24, 0
	s_mov_b64 s[4:5], s[10:11]
	s_cbranch_execnz .LBB7_152
.LBB7_161:                              ;   in Loop: Header=BB7_150 Depth=1
	global_load_dwordx2 v[8:9], v3, s[10:11]
	s_add_i32 s24, s18, -8
	s_add_u32 s4, s10, 8
	s_addc_u32 s5, s11, 0
	s_cmp_gt_u32 s24, 7
	s_cbranch_scc0 .LBB7_153
.LBB7_162:                              ;   in Loop: Header=BB7_150 Depth=1
                                        ; implicit-def: $vgpr10_vgpr11
                                        ; implicit-def: $sgpr25
.LBB7_163:                              ;   in Loop: Header=BB7_150 Depth=1
	global_load_dwordx2 v[10:11], v3, s[4:5]
	s_add_i32 s25, s24, -8
	s_add_u32 s4, s4, 8
	s_addc_u32 s5, s5, 0
.LBB7_164:                              ;   in Loop: Header=BB7_150 Depth=1
	s_cmp_gt_u32 s25, 7
	s_cbranch_scc1 .LBB7_169
; %bb.165:                              ;   in Loop: Header=BB7_150 Depth=1
	v_mov_b32_e32 v12, 0
	v_mov_b32_e32 v13, 0
	s_cmp_eq_u32 s25, 0
	s_cbranch_scc1 .LBB7_168
; %bb.166:                              ;   in Loop: Header=BB7_150 Depth=1
	s_mov_b64 s[20:21], 0
	s_mov_b64 s[22:23], 0
.LBB7_167:                              ;   Parent Loop BB7_150 Depth=1
                                        ; =>  This Inner Loop Header: Depth=2
	s_add_u32 s26, s4, s22
	s_addc_u32 s27, s5, s23
	s_add_u32 s22, s22, 1
	global_load_ubyte v2, v3, s[26:27]
	s_addc_u32 s23, s23, 0
	s_waitcnt vmcnt(0)
	v_and_b32_e32 v2, 0xffff, v2
	v_lshlrev_b64 v[14:15], s20, v[2:3]
	s_add_u32 s20, s20, 8
	s_addc_u32 s21, s21, 0
	s_cmp_lg_u32 s25, s22
	v_or_b32_e32 v12, v14, v12
	v_or_b32_e32 v13, v15, v13
	s_cbranch_scc1 .LBB7_167
.LBB7_168:                              ;   in Loop: Header=BB7_150 Depth=1
	s_mov_b32 s24, 0
	s_cbranch_execz .LBB7_170
	s_branch .LBB7_171
.LBB7_169:                              ;   in Loop: Header=BB7_150 Depth=1
                                        ; implicit-def: $sgpr24
.LBB7_170:                              ;   in Loop: Header=BB7_150 Depth=1
	global_load_dwordx2 v[12:13], v3, s[4:5]
	s_add_i32 s24, s25, -8
	s_add_u32 s4, s4, 8
	s_addc_u32 s5, s5, 0
.LBB7_171:                              ;   in Loop: Header=BB7_150 Depth=1
	s_cmp_gt_u32 s24, 7
	s_cbranch_scc1 .LBB7_176
; %bb.172:                              ;   in Loop: Header=BB7_150 Depth=1
	v_mov_b32_e32 v14, 0
	v_mov_b32_e32 v15, 0
	s_cmp_eq_u32 s24, 0
	s_cbranch_scc1 .LBB7_175
; %bb.173:                              ;   in Loop: Header=BB7_150 Depth=1
	s_mov_b64 s[20:21], 0
	s_mov_b64 s[22:23], 0
.LBB7_174:                              ;   Parent Loop BB7_150 Depth=1
                                        ; =>  This Inner Loop Header: Depth=2
	s_add_u32 s26, s4, s22
	s_addc_u32 s27, s5, s23
	s_add_u32 s22, s22, 1
	global_load_ubyte v2, v3, s[26:27]
	s_addc_u32 s23, s23, 0
	s_waitcnt vmcnt(0)
	v_and_b32_e32 v2, 0xffff, v2
	v_lshlrev_b64 v[16:17], s20, v[2:3]
	s_add_u32 s20, s20, 8
	s_addc_u32 s21, s21, 0
	s_cmp_lg_u32 s24, s22
	v_or_b32_e32 v14, v16, v14
	v_or_b32_e32 v15, v17, v15
	s_cbranch_scc1 .LBB7_174
.LBB7_175:                              ;   in Loop: Header=BB7_150 Depth=1
	s_mov_b32 s25, 0
	s_cbranch_execz .LBB7_177
	s_branch .LBB7_178
.LBB7_176:                              ;   in Loop: Header=BB7_150 Depth=1
                                        ; implicit-def: $vgpr14_vgpr15
                                        ; implicit-def: $sgpr25
.LBB7_177:                              ;   in Loop: Header=BB7_150 Depth=1
	global_load_dwordx2 v[14:15], v3, s[4:5]
	s_add_i32 s25, s24, -8
	s_add_u32 s4, s4, 8
	s_addc_u32 s5, s5, 0
.LBB7_178:                              ;   in Loop: Header=BB7_150 Depth=1
	s_cmp_gt_u32 s25, 7
	s_cbranch_scc1 .LBB7_183
; %bb.179:                              ;   in Loop: Header=BB7_150 Depth=1
	v_mov_b32_e32 v16, 0
	v_mov_b32_e32 v17, 0
	s_cmp_eq_u32 s25, 0
	s_cbranch_scc1 .LBB7_182
; %bb.180:                              ;   in Loop: Header=BB7_150 Depth=1
	s_mov_b64 s[20:21], 0
	s_mov_b64 s[22:23], 0
.LBB7_181:                              ;   Parent Loop BB7_150 Depth=1
                                        ; =>  This Inner Loop Header: Depth=2
	s_add_u32 s26, s4, s22
	s_addc_u32 s27, s5, s23
	s_add_u32 s22, s22, 1
	global_load_ubyte v2, v3, s[26:27]
	s_addc_u32 s23, s23, 0
	s_waitcnt vmcnt(0)
	v_and_b32_e32 v2, 0xffff, v2
	v_lshlrev_b64 v[18:19], s20, v[2:3]
	s_add_u32 s20, s20, 8
	s_addc_u32 s21, s21, 0
	s_cmp_lg_u32 s25, s22
	v_or_b32_e32 v16, v18, v16
	v_or_b32_e32 v17, v19, v17
	s_cbranch_scc1 .LBB7_181
.LBB7_182:                              ;   in Loop: Header=BB7_150 Depth=1
	s_mov_b32 s24, 0
	s_cbranch_execz .LBB7_184
	s_branch .LBB7_185
.LBB7_183:                              ;   in Loop: Header=BB7_150 Depth=1
                                        ; implicit-def: $sgpr24
.LBB7_184:                              ;   in Loop: Header=BB7_150 Depth=1
	global_load_dwordx2 v[16:17], v3, s[4:5]
	s_add_i32 s24, s25, -8
	s_add_u32 s4, s4, 8
	s_addc_u32 s5, s5, 0
.LBB7_185:                              ;   in Loop: Header=BB7_150 Depth=1
	s_cmp_gt_u32 s24, 7
	s_cbranch_scc1 .LBB7_190
; %bb.186:                              ;   in Loop: Header=BB7_150 Depth=1
	v_mov_b32_e32 v18, 0
	v_mov_b32_e32 v19, 0
	s_cmp_eq_u32 s24, 0
	s_cbranch_scc1 .LBB7_189
; %bb.187:                              ;   in Loop: Header=BB7_150 Depth=1
	s_mov_b64 s[20:21], 0
	s_mov_b64 s[22:23], 0
.LBB7_188:                              ;   Parent Loop BB7_150 Depth=1
                                        ; =>  This Inner Loop Header: Depth=2
	s_add_u32 s26, s4, s22
	s_addc_u32 s27, s5, s23
	s_add_u32 s22, s22, 1
	global_load_ubyte v2, v3, s[26:27]
	s_addc_u32 s23, s23, 0
	s_waitcnt vmcnt(0)
	v_and_b32_e32 v2, 0xffff, v2
	v_lshlrev_b64 v[20:21], s20, v[2:3]
	s_add_u32 s20, s20, 8
	s_addc_u32 s21, s21, 0
	s_cmp_lg_u32 s24, s22
	v_or_b32_e32 v18, v20, v18
	v_or_b32_e32 v19, v21, v19
	s_cbranch_scc1 .LBB7_188
.LBB7_189:                              ;   in Loop: Header=BB7_150 Depth=1
	s_mov_b32 s25, 0
	s_cbranch_execz .LBB7_191
	s_branch .LBB7_192
.LBB7_190:                              ;   in Loop: Header=BB7_150 Depth=1
                                        ; implicit-def: $vgpr18_vgpr19
                                        ; implicit-def: $sgpr25
.LBB7_191:                              ;   in Loop: Header=BB7_150 Depth=1
	global_load_dwordx2 v[18:19], v3, s[4:5]
	s_add_i32 s25, s24, -8
	s_add_u32 s4, s4, 8
	s_addc_u32 s5, s5, 0
.LBB7_192:                              ;   in Loop: Header=BB7_150 Depth=1
	s_cmp_gt_u32 s25, 7
	s_cbranch_scc1 .LBB7_197
; %bb.193:                              ;   in Loop: Header=BB7_150 Depth=1
	v_mov_b32_e32 v20, 0
	v_mov_b32_e32 v21, 0
	s_cmp_eq_u32 s25, 0
	s_cbranch_scc1 .LBB7_196
; %bb.194:                              ;   in Loop: Header=BB7_150 Depth=1
	s_mov_b64 s[20:21], 0
	s_mov_b64 s[22:23], s[4:5]
.LBB7_195:                              ;   Parent Loop BB7_150 Depth=1
                                        ; =>  This Inner Loop Header: Depth=2
	global_load_ubyte v2, v3, s[22:23]
	s_add_i32 s25, s25, -1
	s_waitcnt vmcnt(0)
	v_and_b32_e32 v2, 0xffff, v2
	v_lshlrev_b64 v[22:23], s20, v[2:3]
	s_add_u32 s20, s20, 8
	s_addc_u32 s21, s21, 0
	s_add_u32 s22, s22, 1
	s_addc_u32 s23, s23, 0
	s_cmp_lg_u32 s25, 0
	v_or_b32_e32 v20, v22, v20
	v_or_b32_e32 v21, v23, v21
	s_cbranch_scc1 .LBB7_195
.LBB7_196:                              ;   in Loop: Header=BB7_150 Depth=1
	s_cbranch_execz .LBB7_198
	s_branch .LBB7_199
.LBB7_197:                              ;   in Loop: Header=BB7_150 Depth=1
.LBB7_198:                              ;   in Loop: Header=BB7_150 Depth=1
	global_load_dwordx2 v[20:21], v3, s[4:5]
.LBB7_199:                              ;   in Loop: Header=BB7_150 Depth=1
	v_readfirstlane_b32 s4, v32
	v_mov_b32_e32 v26, 0
	v_mov_b32_e32 v27, 0
	v_cmp_eq_u32_e64 s4, s4, v32
	s_and_saveexec_b32 s5, s4
	s_cbranch_execz .LBB7_205
; %bb.200:                              ;   in Loop: Header=BB7_150 Depth=1
	global_load_dwordx2 v[24:25], v3, s[6:7] offset:24 glc dlc
	s_waitcnt vmcnt(0)
	buffer_gl1_inv
	buffer_gl0_inv
	s_clause 0x1
	global_load_dwordx2 v[22:23], v3, s[6:7] offset:40
	global_load_dwordx2 v[26:27], v3, s[6:7]
	s_mov_b32 s20, exec_lo
	s_waitcnt vmcnt(1)
	v_and_b32_e32 v2, v23, v25
	v_and_b32_e32 v22, v22, v24
	v_mul_lo_u32 v2, v2, 24
	v_mul_hi_u32 v23, v22, 24
	v_mul_lo_u32 v22, v22, 24
	v_add_nc_u32_e32 v2, v23, v2
	s_waitcnt vmcnt(0)
	v_add_co_u32 v22, vcc_lo, v26, v22
	v_add_co_ci_u32_e32 v23, vcc_lo, v27, v2, vcc_lo
	global_load_dwordx2 v[22:23], v[22:23], off glc dlc
	s_waitcnt vmcnt(0)
	global_atomic_cmpswap_x2 v[26:27], v3, v[22:25], s[6:7] offset:24 glc
	s_waitcnt vmcnt(0)
	buffer_gl1_inv
	buffer_gl0_inv
	v_cmpx_ne_u64_e64 v[26:27], v[24:25]
	s_cbranch_execz .LBB7_204
; %bb.201:                              ;   in Loop: Header=BB7_150 Depth=1
	s_mov_b32 s21, 0
	.p2align	6
.LBB7_202:                              ;   Parent Loop BB7_150 Depth=1
                                        ; =>  This Inner Loop Header: Depth=2
	s_sleep 1
	s_clause 0x1
	global_load_dwordx2 v[22:23], v3, s[6:7] offset:40
	global_load_dwordx2 v[28:29], v3, s[6:7]
	v_mov_b32_e32 v24, v26
	v_mov_b32_e32 v25, v27
	s_waitcnt vmcnt(1)
	v_and_b32_e32 v2, v22, v24
	v_and_b32_e32 v22, v23, v25
	s_waitcnt vmcnt(0)
	v_mad_u64_u32 v[26:27], null, v2, 24, v[28:29]
	v_mov_b32_e32 v2, v27
	v_mad_u64_u32 v[22:23], null, v22, 24, v[2:3]
	v_mov_b32_e32 v27, v22
	global_load_dwordx2 v[22:23], v[26:27], off glc dlc
	s_waitcnt vmcnt(0)
	global_atomic_cmpswap_x2 v[26:27], v3, v[22:25], s[6:7] offset:24 glc
	s_waitcnt vmcnt(0)
	buffer_gl1_inv
	buffer_gl0_inv
	v_cmp_eq_u64_e32 vcc_lo, v[26:27], v[24:25]
	s_or_b32 s21, vcc_lo, s21
	s_andn2_b32 exec_lo, exec_lo, s21
	s_cbranch_execnz .LBB7_202
; %bb.203:                              ;   in Loop: Header=BB7_150 Depth=1
	s_or_b32 exec_lo, exec_lo, s21
.LBB7_204:                              ;   in Loop: Header=BB7_150 Depth=1
	s_or_b32 exec_lo, exec_lo, s20
.LBB7_205:                              ;   in Loop: Header=BB7_150 Depth=1
	s_or_b32 exec_lo, exec_lo, s5
	s_clause 0x1
	global_load_dwordx2 v[28:29], v3, s[6:7] offset:40
	global_load_dwordx4 v[22:25], v3, s[6:7]
	v_readfirstlane_b32 s20, v26
	v_readfirstlane_b32 s21, v27
	s_mov_b32 s5, exec_lo
	s_waitcnt vmcnt(1)
	v_readfirstlane_b32 s22, v28
	v_readfirstlane_b32 s23, v29
	s_and_b64 s[22:23], s[20:21], s[22:23]
	s_mul_i32 s24, s23, 24
	s_mul_hi_u32 s25, s22, 24
	s_mul_i32 s26, s22, 24
	s_add_i32 s25, s25, s24
	s_waitcnt vmcnt(0)
	v_add_co_u32 v26, vcc_lo, v22, s26
	v_add_co_ci_u32_e32 v27, vcc_lo, s25, v23, vcc_lo
	s_and_saveexec_b32 s24, s4
	s_cbranch_execz .LBB7_207
; %bb.206:                              ;   in Loop: Header=BB7_150 Depth=1
	v_mov_b32_e32 v2, s5
	global_store_dwordx4 v[26:27], v[2:5], off offset:8
.LBB7_207:                              ;   in Loop: Header=BB7_150 Depth=1
	s_or_b32 exec_lo, exec_lo, s24
	s_lshl_b64 s[22:23], s[22:23], 12
	v_or_b32_e32 v2, 2, v6
	v_add_co_u32 v24, vcc_lo, v24, s22
	v_add_co_ci_u32_e32 v25, vcc_lo, s23, v25, vcc_lo
	v_cmp_gt_u64_e64 vcc_lo, s[16:17], 56
	s_lshl_b32 s5, s18, 2
	v_readfirstlane_b32 s22, v24
	s_add_i32 s5, s5, 28
	v_readfirstlane_b32 s23, v25
	s_and_b32 s5, s5, 0x1e0
	v_cndmask_b32_e32 v2, v2, v6, vcc_lo
	v_and_or_b32 v6, 0xffffff1f, v2, s5
	global_store_dwordx4 v31, v[10:13], s[22:23] offset:16
	global_store_dwordx4 v31, v[6:9], s[22:23]
	global_store_dwordx4 v31, v[14:17], s[22:23] offset:32
	global_store_dwordx4 v31, v[18:21], s[22:23] offset:48
	s_and_saveexec_b32 s5, s4
	s_cbranch_execz .LBB7_215
; %bb.208:                              ;   in Loop: Header=BB7_150 Depth=1
	s_clause 0x1
	global_load_dwordx2 v[14:15], v3, s[6:7] offset:32 glc dlc
	global_load_dwordx2 v[6:7], v3, s[6:7] offset:40
	v_mov_b32_e32 v12, s20
	v_mov_b32_e32 v13, s21
	s_waitcnt vmcnt(0)
	v_readfirstlane_b32 s22, v6
	v_readfirstlane_b32 s23, v7
	s_and_b64 s[22:23], s[22:23], s[20:21]
	s_mul_i32 s23, s23, 24
	s_mul_hi_u32 s24, s22, 24
	s_mul_i32 s22, s22, 24
	s_add_i32 s24, s24, s23
	v_add_co_u32 v10, vcc_lo, v22, s22
	v_add_co_ci_u32_e32 v11, vcc_lo, s24, v23, vcc_lo
	s_mov_b32 s22, exec_lo
	global_store_dwordx2 v[10:11], v[14:15], off
	s_waitcnt_vscnt null, 0x0
	global_atomic_cmpswap_x2 v[8:9], v3, v[12:15], s[6:7] offset:32 glc
	s_waitcnt vmcnt(0)
	v_cmpx_ne_u64_e64 v[8:9], v[14:15]
	s_cbranch_execz .LBB7_211
; %bb.209:                              ;   in Loop: Header=BB7_150 Depth=1
	s_mov_b32 s23, 0
.LBB7_210:                              ;   Parent Loop BB7_150 Depth=1
                                        ; =>  This Inner Loop Header: Depth=2
	v_mov_b32_e32 v6, s20
	v_mov_b32_e32 v7, s21
	s_sleep 1
	global_store_dwordx2 v[10:11], v[8:9], off
	s_waitcnt_vscnt null, 0x0
	global_atomic_cmpswap_x2 v[6:7], v3, v[6:9], s[6:7] offset:32 glc
	s_waitcnt vmcnt(0)
	v_cmp_eq_u64_e32 vcc_lo, v[6:7], v[8:9]
	v_mov_b32_e32 v9, v7
	v_mov_b32_e32 v8, v6
	s_or_b32 s23, vcc_lo, s23
	s_andn2_b32 exec_lo, exec_lo, s23
	s_cbranch_execnz .LBB7_210
.LBB7_211:                              ;   in Loop: Header=BB7_150 Depth=1
	s_or_b32 exec_lo, exec_lo, s22
	global_load_dwordx2 v[6:7], v3, s[6:7] offset:16
	s_mov_b32 s23, exec_lo
	s_mov_b32 s22, exec_lo
	v_mbcnt_lo_u32_b32 v2, s23, 0
	v_cmpx_eq_u32_e32 0, v2
	s_cbranch_execz .LBB7_213
; %bb.212:                              ;   in Loop: Header=BB7_150 Depth=1
	s_bcnt1_i32_b32 s23, s23
	v_mov_b32_e32 v2, s23
	s_waitcnt vmcnt(0)
	global_atomic_add_x2 v[6:7], v[2:3], off offset:8
.LBB7_213:                              ;   in Loop: Header=BB7_150 Depth=1
	s_or_b32 exec_lo, exec_lo, s22
	s_waitcnt vmcnt(0)
	global_load_dwordx2 v[8:9], v[6:7], off offset:16
	s_waitcnt vmcnt(0)
	v_cmp_eq_u64_e32 vcc_lo, 0, v[8:9]
	s_cbranch_vccnz .LBB7_215
; %bb.214:                              ;   in Loop: Header=BB7_150 Depth=1
	global_load_dword v2, v[6:7], off offset:24
	s_waitcnt vmcnt(0)
	v_and_b32_e32 v6, 0x7fffff, v2
	s_waitcnt_vscnt null, 0x0
	global_store_dwordx2 v[8:9], v[2:3], off
	v_readfirstlane_b32 m0, v6
	s_sendmsg sendmsg(MSG_INTERRUPT)
.LBB7_215:                              ;   in Loop: Header=BB7_150 Depth=1
	s_or_b32 exec_lo, exec_lo, s5
	v_add_co_u32 v6, vcc_lo, v24, v31
	v_add_co_ci_u32_e32 v7, vcc_lo, 0, v25, vcc_lo
	s_branch .LBB7_219
	.p2align	6
.LBB7_216:                              ;   in Loop: Header=BB7_219 Depth=2
	s_or_b32 exec_lo, exec_lo, s5
	v_readfirstlane_b32 s5, v2
	s_cmp_eq_u32 s5, 0
	s_cbranch_scc1 .LBB7_218
; %bb.217:                              ;   in Loop: Header=BB7_219 Depth=2
	s_sleep 1
	s_cbranch_execnz .LBB7_219
	s_branch .LBB7_221
	.p2align	6
.LBB7_218:                              ;   in Loop: Header=BB7_150 Depth=1
	s_branch .LBB7_221
.LBB7_219:                              ;   Parent Loop BB7_150 Depth=1
                                        ; =>  This Inner Loop Header: Depth=2
	v_mov_b32_e32 v2, 1
	s_and_saveexec_b32 s5, s4
	s_cbranch_execz .LBB7_216
; %bb.220:                              ;   in Loop: Header=BB7_219 Depth=2
	global_load_dword v2, v[26:27], off offset:20 glc dlc
	s_waitcnt vmcnt(0)
	buffer_gl1_inv
	buffer_gl0_inv
	v_and_b32_e32 v2, 1, v2
	s_branch .LBB7_216
.LBB7_221:                              ;   in Loop: Header=BB7_150 Depth=1
	global_load_dwordx4 v[6:9], v[6:7], off
	s_and_saveexec_b32 s5, s4
	s_cbranch_execz .LBB7_149
; %bb.222:                              ;   in Loop: Header=BB7_150 Depth=1
	s_clause 0x2
	global_load_dwordx2 v[10:11], v3, s[6:7] offset:40
	global_load_dwordx2 v[14:15], v3, s[6:7] offset:24 glc dlc
	global_load_dwordx2 v[12:13], v3, s[6:7]
	s_waitcnt vmcnt(2)
	v_add_co_u32 v2, vcc_lo, v10, 1
	v_add_co_ci_u32_e32 v16, vcc_lo, 0, v11, vcc_lo
	v_add_co_u32 v8, vcc_lo, v2, s20
	v_add_co_ci_u32_e32 v9, vcc_lo, s21, v16, vcc_lo
	v_cmp_eq_u64_e32 vcc_lo, 0, v[8:9]
	v_cndmask_b32_e32 v9, v9, v16, vcc_lo
	v_cndmask_b32_e32 v8, v8, v2, vcc_lo
	v_and_b32_e32 v2, v9, v11
	v_and_b32_e32 v10, v8, v10
	v_mul_lo_u32 v2, v2, 24
	v_mul_hi_u32 v11, v10, 24
	v_mul_lo_u32 v10, v10, 24
	v_add_nc_u32_e32 v2, v11, v2
	s_waitcnt vmcnt(0)
	v_add_co_u32 v12, vcc_lo, v12, v10
	v_mov_b32_e32 v10, v14
	v_mov_b32_e32 v11, v15
	v_add_co_ci_u32_e32 v13, vcc_lo, v13, v2, vcc_lo
	global_store_dwordx2 v[12:13], v[14:15], off
	s_waitcnt_vscnt null, 0x0
	global_atomic_cmpswap_x2 v[10:11], v3, v[8:11], s[6:7] offset:24 glc
	s_waitcnt vmcnt(0)
	v_cmp_ne_u64_e32 vcc_lo, v[10:11], v[14:15]
	s_and_b32 exec_lo, exec_lo, vcc_lo
	s_cbranch_execz .LBB7_149
; %bb.223:                              ;   in Loop: Header=BB7_150 Depth=1
	s_mov_b32 s4, 0
.LBB7_224:                              ;   Parent Loop BB7_150 Depth=1
                                        ; =>  This Inner Loop Header: Depth=2
	s_sleep 1
	global_store_dwordx2 v[12:13], v[10:11], off
	s_waitcnt_vscnt null, 0x0
	global_atomic_cmpswap_x2 v[14:15], v3, v[8:11], s[6:7] offset:24 glc
	s_waitcnt vmcnt(0)
	v_cmp_eq_u64_e32 vcc_lo, v[14:15], v[10:11]
	v_mov_b32_e32 v10, v14
	v_mov_b32_e32 v11, v15
	s_or_b32 s4, vcc_lo, s4
	s_andn2_b32 exec_lo, exec_lo, s4
	s_cbranch_execnz .LBB7_224
	s_branch .LBB7_149
.LBB7_225:
	s_branch .LBB7_254
.LBB7_226:
	s_cbranch_execz .LBB7_254
; %bb.227:
	v_readfirstlane_b32 s4, v32
	s_waitcnt vmcnt(0)
	v_mov_b32_e32 v8, 0
	v_mov_b32_e32 v9, 0
	v_cmp_eq_u32_e64 s4, s4, v32
	s_and_saveexec_b32 s5, s4
	s_cbranch_execz .LBB7_233
; %bb.228:
	v_mov_b32_e32 v2, 0
	s_mov_b32 s10, exec_lo
	global_load_dwordx2 v[5:6], v2, s[6:7] offset:24 glc dlc
	s_waitcnt vmcnt(0)
	buffer_gl1_inv
	buffer_gl0_inv
	s_clause 0x1
	global_load_dwordx2 v[3:4], v2, s[6:7] offset:40
	global_load_dwordx2 v[7:8], v2, s[6:7]
	s_waitcnt vmcnt(1)
	v_and_b32_e32 v4, v4, v6
	v_and_b32_e32 v3, v3, v5
	v_mul_lo_u32 v4, v4, 24
	v_mul_hi_u32 v9, v3, 24
	v_mul_lo_u32 v3, v3, 24
	v_add_nc_u32_e32 v4, v9, v4
	s_waitcnt vmcnt(0)
	v_add_co_u32 v3, vcc_lo, v7, v3
	v_add_co_ci_u32_e32 v4, vcc_lo, v8, v4, vcc_lo
	global_load_dwordx2 v[3:4], v[3:4], off glc dlc
	s_waitcnt vmcnt(0)
	global_atomic_cmpswap_x2 v[8:9], v2, v[3:6], s[6:7] offset:24 glc
	s_waitcnt vmcnt(0)
	buffer_gl1_inv
	buffer_gl0_inv
	v_cmpx_ne_u64_e64 v[8:9], v[5:6]
	s_cbranch_execz .LBB7_232
; %bb.229:
	s_mov_b32 s11, 0
	.p2align	6
.LBB7_230:                              ; =>This Inner Loop Header: Depth=1
	s_sleep 1
	s_clause 0x1
	global_load_dwordx2 v[3:4], v2, s[6:7] offset:40
	global_load_dwordx2 v[10:11], v2, s[6:7]
	v_mov_b32_e32 v5, v8
	v_mov_b32_e32 v6, v9
	s_waitcnt vmcnt(1)
	v_and_b32_e32 v3, v3, v5
	v_and_b32_e32 v4, v4, v6
	s_waitcnt vmcnt(0)
	v_mad_u64_u32 v[7:8], null, v3, 24, v[10:11]
	v_mov_b32_e32 v3, v8
	v_mad_u64_u32 v[3:4], null, v4, 24, v[3:4]
	v_mov_b32_e32 v8, v3
	global_load_dwordx2 v[3:4], v[7:8], off glc dlc
	s_waitcnt vmcnt(0)
	global_atomic_cmpswap_x2 v[8:9], v2, v[3:6], s[6:7] offset:24 glc
	s_waitcnt vmcnt(0)
	buffer_gl1_inv
	buffer_gl0_inv
	v_cmp_eq_u64_e32 vcc_lo, v[8:9], v[5:6]
	s_or_b32 s11, vcc_lo, s11
	s_andn2_b32 exec_lo, exec_lo, s11
	s_cbranch_execnz .LBB7_230
; %bb.231:
	s_or_b32 exec_lo, exec_lo, s11
.LBB7_232:
	s_or_b32 exec_lo, exec_lo, s10
.LBB7_233:
	s_or_b32 exec_lo, exec_lo, s5
	v_mov_b32_e32 v2, 0
	v_readfirstlane_b32 s10, v8
	v_readfirstlane_b32 s11, v9
	s_mov_b32 s5, exec_lo
	s_clause 0x1
	global_load_dwordx2 v[10:11], v2, s[6:7] offset:40
	global_load_dwordx4 v[4:7], v2, s[6:7]
	s_waitcnt vmcnt(1)
	v_readfirstlane_b32 s16, v10
	v_readfirstlane_b32 s17, v11
	s_and_b64 s[16:17], s[10:11], s[16:17]
	s_mul_i32 s18, s17, 24
	s_mul_hi_u32 s19, s16, 24
	s_mul_i32 s20, s16, 24
	s_add_i32 s19, s19, s18
	s_waitcnt vmcnt(0)
	v_add_co_u32 v8, vcc_lo, v4, s20
	v_add_co_ci_u32_e32 v9, vcc_lo, s19, v5, vcc_lo
	s_and_saveexec_b32 s18, s4
	s_cbranch_execz .LBB7_235
; %bb.234:
	v_mov_b32_e32 v10, s5
	v_mov_b32_e32 v11, v2
	;; [unrolled: 1-line block ×4, first 2 shown]
	global_store_dwordx4 v[8:9], v[10:13], off offset:8
.LBB7_235:
	s_or_b32 exec_lo, exec_lo, s18
	s_lshl_b64 s[16:17], s[16:17], 12
	v_and_or_b32 v0, 0xffffff1d, v0, 34
	v_add_co_u32 v6, vcc_lo, v6, s16
	v_add_co_ci_u32_e32 v7, vcc_lo, s17, v7, vcc_lo
	s_mov_b32 s16, 0
	v_mov_b32_e32 v3, v2
	s_mov_b32 s17, s16
	s_mov_b32 s18, s16
	;; [unrolled: 1-line block ×3, first 2 shown]
	v_readfirstlane_b32 s20, v6
	v_readfirstlane_b32 s21, v7
	v_mov_b32_e32 v10, s16
	v_mov_b32_e32 v11, s17
	;; [unrolled: 1-line block ×4, first 2 shown]
	global_store_dwordx4 v31, v[0:3], s[20:21]
	global_store_dwordx4 v31, v[10:13], s[20:21] offset:16
	global_store_dwordx4 v31, v[10:13], s[20:21] offset:32
	;; [unrolled: 1-line block ×3, first 2 shown]
	s_and_saveexec_b32 s5, s4
	s_cbranch_execz .LBB7_243
; %bb.236:
	v_mov_b32_e32 v6, 0
	v_mov_b32_e32 v10, s10
	;; [unrolled: 1-line block ×3, first 2 shown]
	s_clause 0x1
	global_load_dwordx2 v[12:13], v6, s[6:7] offset:32 glc dlc
	global_load_dwordx2 v[0:1], v6, s[6:7] offset:40
	s_waitcnt vmcnt(0)
	v_readfirstlane_b32 s16, v0
	v_readfirstlane_b32 s17, v1
	s_and_b64 s[16:17], s[16:17], s[10:11]
	s_mul_i32 s17, s17, 24
	s_mul_hi_u32 s18, s16, 24
	s_mul_i32 s16, s16, 24
	s_add_i32 s18, s18, s17
	v_add_co_u32 v4, vcc_lo, v4, s16
	v_add_co_ci_u32_e32 v5, vcc_lo, s18, v5, vcc_lo
	s_mov_b32 s16, exec_lo
	global_store_dwordx2 v[4:5], v[12:13], off
	s_waitcnt_vscnt null, 0x0
	global_atomic_cmpswap_x2 v[2:3], v6, v[10:13], s[6:7] offset:32 glc
	s_waitcnt vmcnt(0)
	v_cmpx_ne_u64_e64 v[2:3], v[12:13]
	s_cbranch_execz .LBB7_239
; %bb.237:
	s_mov_b32 s17, 0
.LBB7_238:                              ; =>This Inner Loop Header: Depth=1
	v_mov_b32_e32 v0, s10
	v_mov_b32_e32 v1, s11
	s_sleep 1
	global_store_dwordx2 v[4:5], v[2:3], off
	s_waitcnt_vscnt null, 0x0
	global_atomic_cmpswap_x2 v[0:1], v6, v[0:3], s[6:7] offset:32 glc
	s_waitcnt vmcnt(0)
	v_cmp_eq_u64_e32 vcc_lo, v[0:1], v[2:3]
	v_mov_b32_e32 v3, v1
	v_mov_b32_e32 v2, v0
	s_or_b32 s17, vcc_lo, s17
	s_andn2_b32 exec_lo, exec_lo, s17
	s_cbranch_execnz .LBB7_238
.LBB7_239:
	s_or_b32 exec_lo, exec_lo, s16
	v_mov_b32_e32 v3, 0
	s_mov_b32 s17, exec_lo
	s_mov_b32 s16, exec_lo
	v_mbcnt_lo_u32_b32 v2, s17, 0
	global_load_dwordx2 v[0:1], v3, s[6:7] offset:16
	v_cmpx_eq_u32_e32 0, v2
	s_cbranch_execz .LBB7_241
; %bb.240:
	s_bcnt1_i32_b32 s17, s17
	v_mov_b32_e32 v2, s17
	s_waitcnt vmcnt(0)
	global_atomic_add_x2 v[0:1], v[2:3], off offset:8
.LBB7_241:
	s_or_b32 exec_lo, exec_lo, s16
	s_waitcnt vmcnt(0)
	global_load_dwordx2 v[2:3], v[0:1], off offset:16
	s_waitcnt vmcnt(0)
	v_cmp_eq_u64_e32 vcc_lo, 0, v[2:3]
	s_cbranch_vccnz .LBB7_243
; %bb.242:
	global_load_dword v0, v[0:1], off offset:24
	v_mov_b32_e32 v1, 0
	s_waitcnt vmcnt(0)
	v_and_b32_e32 v4, 0x7fffff, v0
	s_waitcnt_vscnt null, 0x0
	global_store_dwordx2 v[2:3], v[0:1], off
	v_readfirstlane_b32 m0, v4
	s_sendmsg sendmsg(MSG_INTERRUPT)
.LBB7_243:
	s_or_b32 exec_lo, exec_lo, s5
	s_branch .LBB7_247
	.p2align	6
.LBB7_244:                              ;   in Loop: Header=BB7_247 Depth=1
	s_or_b32 exec_lo, exec_lo, s5
	v_readfirstlane_b32 s5, v0
	s_cmp_eq_u32 s5, 0
	s_cbranch_scc1 .LBB7_246
; %bb.245:                              ;   in Loop: Header=BB7_247 Depth=1
	s_sleep 1
	s_cbranch_execnz .LBB7_247
	s_branch .LBB7_249
	.p2align	6
.LBB7_246:
	s_branch .LBB7_249
.LBB7_247:                              ; =>This Inner Loop Header: Depth=1
	v_mov_b32_e32 v0, 1
	s_and_saveexec_b32 s5, s4
	s_cbranch_execz .LBB7_244
; %bb.248:                              ;   in Loop: Header=BB7_247 Depth=1
	global_load_dword v0, v[8:9], off offset:20 glc dlc
	s_waitcnt vmcnt(0)
	buffer_gl1_inv
	buffer_gl0_inv
	v_and_b32_e32 v0, 1, v0
	s_branch .LBB7_244
.LBB7_249:
	s_and_saveexec_b32 s5, s4
	s_cbranch_execz .LBB7_253
; %bb.250:
	v_mov_b32_e32 v6, 0
	s_clause 0x2
	global_load_dwordx2 v[2:3], v6, s[6:7] offset:40
	global_load_dwordx2 v[7:8], v6, s[6:7] offset:24 glc dlc
	global_load_dwordx2 v[4:5], v6, s[6:7]
	s_waitcnt vmcnt(2)
	v_add_co_u32 v9, vcc_lo, v2, 1
	v_add_co_ci_u32_e32 v10, vcc_lo, 0, v3, vcc_lo
	v_add_co_u32 v0, vcc_lo, v9, s10
	v_add_co_ci_u32_e32 v1, vcc_lo, s11, v10, vcc_lo
	v_cmp_eq_u64_e32 vcc_lo, 0, v[0:1]
	v_cndmask_b32_e32 v1, v1, v10, vcc_lo
	v_cndmask_b32_e32 v0, v0, v9, vcc_lo
	v_and_b32_e32 v3, v1, v3
	v_and_b32_e32 v2, v0, v2
	v_mul_lo_u32 v3, v3, 24
	v_mul_hi_u32 v9, v2, 24
	v_mul_lo_u32 v2, v2, 24
	v_add_nc_u32_e32 v3, v9, v3
	s_waitcnt vmcnt(0)
	v_add_co_u32 v4, vcc_lo, v4, v2
	v_mov_b32_e32 v2, v7
	v_add_co_ci_u32_e32 v5, vcc_lo, v5, v3, vcc_lo
	v_mov_b32_e32 v3, v8
	global_store_dwordx2 v[4:5], v[7:8], off
	s_waitcnt_vscnt null, 0x0
	global_atomic_cmpswap_x2 v[2:3], v6, v[0:3], s[6:7] offset:24 glc
	s_waitcnt vmcnt(0)
	v_cmp_ne_u64_e32 vcc_lo, v[2:3], v[7:8]
	s_and_b32 exec_lo, exec_lo, vcc_lo
	s_cbranch_execz .LBB7_253
; %bb.251:
	s_mov_b32 s4, 0
.LBB7_252:                              ; =>This Inner Loop Header: Depth=1
	s_sleep 1
	global_store_dwordx2 v[4:5], v[2:3], off
	s_waitcnt_vscnt null, 0x0
	global_atomic_cmpswap_x2 v[7:8], v6, v[0:3], s[6:7] offset:24 glc
	s_waitcnt vmcnt(0)
	v_cmp_eq_u64_e32 vcc_lo, v[7:8], v[2:3]
	v_mov_b32_e32 v2, v7
	v_mov_b32_e32 v3, v8
	s_or_b32 s4, vcc_lo, s4
	s_andn2_b32 exec_lo, exec_lo, s4
	s_cbranch_execnz .LBB7_252
.LBB7_253:
	s_or_b32 exec_lo, exec_lo, s5
.LBB7_254:
	v_readfirstlane_b32 s4, v32
	s_waitcnt vmcnt(0)
	v_mov_b32_e32 v6, 0
	v_mov_b32_e32 v7, 0
	v_cmp_eq_u32_e64 s4, s4, v32
	s_and_saveexec_b32 s5, s4
	s_cbranch_execz .LBB7_260
; %bb.255:
	v_mov_b32_e32 v0, 0
	s_mov_b32 s10, exec_lo
	global_load_dwordx2 v[3:4], v0, s[6:7] offset:24 glc dlc
	s_waitcnt vmcnt(0)
	buffer_gl1_inv
	buffer_gl0_inv
	s_clause 0x1
	global_load_dwordx2 v[1:2], v0, s[6:7] offset:40
	global_load_dwordx2 v[5:6], v0, s[6:7]
	s_waitcnt vmcnt(1)
	v_and_b32_e32 v2, v2, v4
	v_and_b32_e32 v1, v1, v3
	v_mul_lo_u32 v2, v2, 24
	v_mul_hi_u32 v7, v1, 24
	v_mul_lo_u32 v1, v1, 24
	v_add_nc_u32_e32 v2, v7, v2
	s_waitcnt vmcnt(0)
	v_add_co_u32 v1, vcc_lo, v5, v1
	v_add_co_ci_u32_e32 v2, vcc_lo, v6, v2, vcc_lo
	global_load_dwordx2 v[1:2], v[1:2], off glc dlc
	s_waitcnt vmcnt(0)
	global_atomic_cmpswap_x2 v[6:7], v0, v[1:4], s[6:7] offset:24 glc
	s_waitcnt vmcnt(0)
	buffer_gl1_inv
	buffer_gl0_inv
	v_cmpx_ne_u64_e64 v[6:7], v[3:4]
	s_cbranch_execz .LBB7_259
; %bb.256:
	s_mov_b32 s11, 0
	.p2align	6
.LBB7_257:                              ; =>This Inner Loop Header: Depth=1
	s_sleep 1
	s_clause 0x1
	global_load_dwordx2 v[1:2], v0, s[6:7] offset:40
	global_load_dwordx2 v[8:9], v0, s[6:7]
	v_mov_b32_e32 v3, v6
	v_mov_b32_e32 v4, v7
	s_waitcnt vmcnt(1)
	v_and_b32_e32 v1, v1, v3
	v_and_b32_e32 v2, v2, v4
	s_waitcnt vmcnt(0)
	v_mad_u64_u32 v[5:6], null, v1, 24, v[8:9]
	v_mov_b32_e32 v1, v6
	v_mad_u64_u32 v[1:2], null, v2, 24, v[1:2]
	v_mov_b32_e32 v6, v1
	global_load_dwordx2 v[1:2], v[5:6], off glc dlc
	s_waitcnt vmcnt(0)
	global_atomic_cmpswap_x2 v[6:7], v0, v[1:4], s[6:7] offset:24 glc
	s_waitcnt vmcnt(0)
	buffer_gl1_inv
	buffer_gl0_inv
	v_cmp_eq_u64_e32 vcc_lo, v[6:7], v[3:4]
	s_or_b32 s11, vcc_lo, s11
	s_andn2_b32 exec_lo, exec_lo, s11
	s_cbranch_execnz .LBB7_257
; %bb.258:
	s_or_b32 exec_lo, exec_lo, s11
.LBB7_259:
	s_or_b32 exec_lo, exec_lo, s10
.LBB7_260:
	s_or_b32 exec_lo, exec_lo, s5
	v_mov_b32_e32 v5, 0
	v_readfirstlane_b32 s10, v6
	v_readfirstlane_b32 s11, v7
	s_mov_b32 s5, exec_lo
	s_clause 0x1
	global_load_dwordx2 v[8:9], v5, s[6:7] offset:40
	global_load_dwordx4 v[0:3], v5, s[6:7]
	s_waitcnt vmcnt(1)
	v_readfirstlane_b32 s16, v8
	v_readfirstlane_b32 s17, v9
	s_and_b64 s[16:17], s[10:11], s[16:17]
	s_mul_i32 s18, s17, 24
	s_mul_hi_u32 s19, s16, 24
	s_mul_i32 s20, s16, 24
	s_add_i32 s19, s19, s18
	s_waitcnt vmcnt(0)
	v_add_co_u32 v8, vcc_lo, v0, s20
	v_add_co_ci_u32_e32 v9, vcc_lo, s19, v1, vcc_lo
	s_and_saveexec_b32 s18, s4
	s_cbranch_execz .LBB7_262
; %bb.261:
	v_mov_b32_e32 v4, s5
	v_mov_b32_e32 v6, 2
	;; [unrolled: 1-line block ×3, first 2 shown]
	global_store_dwordx4 v[8:9], v[4:7], off offset:8
.LBB7_262:
	s_or_b32 exec_lo, exec_lo, s18
	s_lshl_b64 s[16:17], s[16:17], 12
	v_mov_b32_e32 v4, 33
	v_add_co_u32 v2, vcc_lo, v2, s16
	v_add_co_ci_u32_e32 v3, vcc_lo, s17, v3, vcc_lo
	s_mov_b32 s16, 0
	v_add_co_u32 v10, vcc_lo, v2, v31
	s_mov_b32 s17, s16
	s_mov_b32 s18, s16
	;; [unrolled: 1-line block ×3, first 2 shown]
	v_mov_b32_e32 v6, v5
	v_mov_b32_e32 v7, v5
	v_readfirstlane_b32 s20, v2
	v_readfirstlane_b32 s21, v3
	v_mov_b32_e32 v12, s16
	v_add_co_ci_u32_e32 v11, vcc_lo, 0, v3, vcc_lo
	v_mov_b32_e32 v13, s17
	v_mov_b32_e32 v14, s18
	;; [unrolled: 1-line block ×3, first 2 shown]
	global_store_dwordx4 v31, v[4:7], s[20:21]
	global_store_dwordx4 v31, v[12:15], s[20:21] offset:16
	global_store_dwordx4 v31, v[12:15], s[20:21] offset:32
	;; [unrolled: 1-line block ×3, first 2 shown]
	s_and_saveexec_b32 s5, s4
	s_cbranch_execz .LBB7_270
; %bb.263:
	v_mov_b32_e32 v6, 0
	v_mov_b32_e32 v12, s10
	;; [unrolled: 1-line block ×3, first 2 shown]
	s_clause 0x1
	global_load_dwordx2 v[14:15], v6, s[6:7] offset:32 glc dlc
	global_load_dwordx2 v[2:3], v6, s[6:7] offset:40
	s_waitcnt vmcnt(0)
	v_readfirstlane_b32 s16, v2
	v_readfirstlane_b32 s17, v3
	s_and_b64 s[16:17], s[16:17], s[10:11]
	s_mul_i32 s17, s17, 24
	s_mul_hi_u32 s18, s16, 24
	s_mul_i32 s16, s16, 24
	s_add_i32 s18, s18, s17
	v_add_co_u32 v4, vcc_lo, v0, s16
	v_add_co_ci_u32_e32 v5, vcc_lo, s18, v1, vcc_lo
	s_mov_b32 s16, exec_lo
	global_store_dwordx2 v[4:5], v[14:15], off
	s_waitcnt_vscnt null, 0x0
	global_atomic_cmpswap_x2 v[2:3], v6, v[12:15], s[6:7] offset:32 glc
	s_waitcnt vmcnt(0)
	v_cmpx_ne_u64_e64 v[2:3], v[14:15]
	s_cbranch_execz .LBB7_266
; %bb.264:
	s_mov_b32 s17, 0
.LBB7_265:                              ; =>This Inner Loop Header: Depth=1
	v_mov_b32_e32 v0, s10
	v_mov_b32_e32 v1, s11
	s_sleep 1
	global_store_dwordx2 v[4:5], v[2:3], off
	s_waitcnt_vscnt null, 0x0
	global_atomic_cmpswap_x2 v[0:1], v6, v[0:3], s[6:7] offset:32 glc
	s_waitcnt vmcnt(0)
	v_cmp_eq_u64_e32 vcc_lo, v[0:1], v[2:3]
	v_mov_b32_e32 v3, v1
	v_mov_b32_e32 v2, v0
	s_or_b32 s17, vcc_lo, s17
	s_andn2_b32 exec_lo, exec_lo, s17
	s_cbranch_execnz .LBB7_265
.LBB7_266:
	s_or_b32 exec_lo, exec_lo, s16
	v_mov_b32_e32 v3, 0
	s_mov_b32 s17, exec_lo
	s_mov_b32 s16, exec_lo
	v_mbcnt_lo_u32_b32 v2, s17, 0
	global_load_dwordx2 v[0:1], v3, s[6:7] offset:16
	v_cmpx_eq_u32_e32 0, v2
	s_cbranch_execz .LBB7_268
; %bb.267:
	s_bcnt1_i32_b32 s17, s17
	v_mov_b32_e32 v2, s17
	s_waitcnt vmcnt(0)
	global_atomic_add_x2 v[0:1], v[2:3], off offset:8
.LBB7_268:
	s_or_b32 exec_lo, exec_lo, s16
	s_waitcnt vmcnt(0)
	global_load_dwordx2 v[2:3], v[0:1], off offset:16
	s_waitcnt vmcnt(0)
	v_cmp_eq_u64_e32 vcc_lo, 0, v[2:3]
	s_cbranch_vccnz .LBB7_270
; %bb.269:
	global_load_dword v0, v[0:1], off offset:24
	v_mov_b32_e32 v1, 0
	s_waitcnt vmcnt(0)
	v_and_b32_e32 v4, 0x7fffff, v0
	s_waitcnt_vscnt null, 0x0
	global_store_dwordx2 v[2:3], v[0:1], off
	v_readfirstlane_b32 m0, v4
	s_sendmsg sendmsg(MSG_INTERRUPT)
.LBB7_270:
	s_or_b32 exec_lo, exec_lo, s5
	s_branch .LBB7_274
	.p2align	6
.LBB7_271:                              ;   in Loop: Header=BB7_274 Depth=1
	s_or_b32 exec_lo, exec_lo, s5
	v_readfirstlane_b32 s5, v0
	s_cmp_eq_u32 s5, 0
	s_cbranch_scc1 .LBB7_273
; %bb.272:                              ;   in Loop: Header=BB7_274 Depth=1
	s_sleep 1
	s_cbranch_execnz .LBB7_274
	s_branch .LBB7_276
	.p2align	6
.LBB7_273:
	s_branch .LBB7_276
.LBB7_274:                              ; =>This Inner Loop Header: Depth=1
	v_mov_b32_e32 v0, 1
	s_and_saveexec_b32 s5, s4
	s_cbranch_execz .LBB7_271
; %bb.275:                              ;   in Loop: Header=BB7_274 Depth=1
	global_load_dword v0, v[8:9], off offset:20 glc dlc
	s_waitcnt vmcnt(0)
	buffer_gl1_inv
	buffer_gl0_inv
	v_and_b32_e32 v0, 1, v0
	s_branch .LBB7_271
.LBB7_276:
	global_load_dwordx2 v[0:1], v[10:11], off
	s_and_saveexec_b32 s5, s4
	s_cbranch_execz .LBB7_280
; %bb.277:
	v_mov_b32_e32 v8, 0
	s_clause 0x2
	global_load_dwordx2 v[4:5], v8, s[6:7] offset:40
	global_load_dwordx2 v[9:10], v8, s[6:7] offset:24 glc dlc
	global_load_dwordx2 v[6:7], v8, s[6:7]
	s_waitcnt vmcnt(2)
	v_add_co_u32 v11, vcc_lo, v4, 1
	v_add_co_ci_u32_e32 v12, vcc_lo, 0, v5, vcc_lo
	v_add_co_u32 v2, vcc_lo, v11, s10
	v_add_co_ci_u32_e32 v3, vcc_lo, s11, v12, vcc_lo
	v_cmp_eq_u64_e32 vcc_lo, 0, v[2:3]
	v_cndmask_b32_e32 v3, v3, v12, vcc_lo
	v_cndmask_b32_e32 v2, v2, v11, vcc_lo
	v_and_b32_e32 v5, v3, v5
	v_and_b32_e32 v4, v2, v4
	v_mul_lo_u32 v5, v5, 24
	v_mul_hi_u32 v11, v4, 24
	v_mul_lo_u32 v4, v4, 24
	v_add_nc_u32_e32 v5, v11, v5
	s_waitcnt vmcnt(0)
	v_add_co_u32 v6, vcc_lo, v6, v4
	v_mov_b32_e32 v4, v9
	v_add_co_ci_u32_e32 v7, vcc_lo, v7, v5, vcc_lo
	v_mov_b32_e32 v5, v10
	global_store_dwordx2 v[6:7], v[9:10], off
	s_waitcnt_vscnt null, 0x0
	global_atomic_cmpswap_x2 v[4:5], v8, v[2:5], s[6:7] offset:24 glc
	s_waitcnt vmcnt(0)
	v_cmp_ne_u64_e32 vcc_lo, v[4:5], v[9:10]
	s_and_b32 exec_lo, exec_lo, vcc_lo
	s_cbranch_execz .LBB7_280
; %bb.278:
	s_mov_b32 s4, 0
.LBB7_279:                              ; =>This Inner Loop Header: Depth=1
	s_sleep 1
	global_store_dwordx2 v[6:7], v[4:5], off
	s_waitcnt_vscnt null, 0x0
	global_atomic_cmpswap_x2 v[9:10], v8, v[2:5], s[6:7] offset:24 glc
	s_waitcnt vmcnt(0)
	v_cmp_eq_u64_e32 vcc_lo, v[9:10], v[4:5]
	v_mov_b32_e32 v4, v9
	v_mov_b32_e32 v5, v10
	s_or_b32 s4, vcc_lo, s4
	s_andn2_b32 exec_lo, exec_lo, s4
	s_cbranch_execnz .LBB7_279
.LBB7_280:
	s_or_b32 exec_lo, exec_lo, s5
	s_getpc_b64 s[10:11]
	s_add_u32 s10, s10, .str.6@rel32@lo+4
	s_addc_u32 s11, s11, .str.6@rel32@hi+12
	s_cmp_lg_u64 s[10:11], 0
	s_cselect_b32 s24, -1, 0
	s_and_b32 vcc_lo, exec_lo, s24
	s_cbranch_vccz .LBB7_359
; %bb.281:
	s_waitcnt vmcnt(0)
	v_and_b32_e32 v33, 2, v0
	v_mov_b32_e32 v6, 0
	v_and_b32_e32 v2, -3, v0
	v_mov_b32_e32 v3, v1
	v_mov_b32_e32 v7, 2
	;; [unrolled: 1-line block ×3, first 2 shown]
	s_mov_b64 s[16:17], 3
	s_branch .LBB7_283
.LBB7_282:                              ;   in Loop: Header=BB7_283 Depth=1
	s_or_b32 exec_lo, exec_lo, s5
	s_sub_u32 s16, s16, s18
	s_subb_u32 s17, s17, s19
	s_add_u32 s10, s10, s18
	s_addc_u32 s11, s11, s19
	s_cmp_lg_u64 s[16:17], 0
	s_cbranch_scc0 .LBB7_358
.LBB7_283:                              ; =>This Loop Header: Depth=1
                                        ;     Child Loop BB7_292 Depth 2
                                        ;     Child Loop BB7_288 Depth 2
	;; [unrolled: 1-line block ×11, first 2 shown]
	v_cmp_lt_u64_e64 s4, s[16:17], 56
	v_cmp_gt_u64_e64 s5, s[16:17], 7
                                        ; implicit-def: $vgpr11_vgpr12
                                        ; implicit-def: $sgpr25
	s_and_b32 s4, s4, exec_lo
	s_cselect_b32 s19, s17, 0
	s_cselect_b32 s18, s16, 56
	s_and_b32 vcc_lo, exec_lo, s5
	s_mov_b32 s4, -1
	s_cbranch_vccz .LBB7_290
; %bb.284:                              ;   in Loop: Header=BB7_283 Depth=1
	s_andn2_b32 vcc_lo, exec_lo, s4
	s_mov_b64 s[4:5], s[10:11]
	s_cbranch_vccz .LBB7_294
.LBB7_285:                              ;   in Loop: Header=BB7_283 Depth=1
	s_cmp_gt_u32 s25, 7
	s_cbranch_scc1 .LBB7_295
.LBB7_286:                              ;   in Loop: Header=BB7_283 Depth=1
	v_mov_b32_e32 v13, 0
	v_mov_b32_e32 v14, 0
	s_cmp_eq_u32 s25, 0
	s_cbranch_scc1 .LBB7_289
; %bb.287:                              ;   in Loop: Header=BB7_283 Depth=1
	s_mov_b64 s[20:21], 0
	s_mov_b64 s[22:23], 0
.LBB7_288:                              ;   Parent Loop BB7_283 Depth=1
                                        ; =>  This Inner Loop Header: Depth=2
	s_add_u32 s26, s4, s22
	s_addc_u32 s27, s5, s23
	s_add_u32 s22, s22, 1
	global_load_ubyte v4, v6, s[26:27]
	s_addc_u32 s23, s23, 0
	s_waitcnt vmcnt(0)
	v_and_b32_e32 v5, 0xffff, v4
	v_lshlrev_b64 v[4:5], s20, v[5:6]
	s_add_u32 s20, s20, 8
	s_addc_u32 s21, s21, 0
	s_cmp_lg_u32 s25, s22
	v_or_b32_e32 v13, v4, v13
	v_or_b32_e32 v14, v5, v14
	s_cbranch_scc1 .LBB7_288
.LBB7_289:                              ;   in Loop: Header=BB7_283 Depth=1
	s_mov_b32 s26, 0
	s_cbranch_execz .LBB7_296
	s_branch .LBB7_297
.LBB7_290:                              ;   in Loop: Header=BB7_283 Depth=1
	v_mov_b32_e32 v11, 0
	v_mov_b32_e32 v12, 0
	s_cmp_eq_u64 s[16:17], 0
	s_mov_b64 s[4:5], 0
	s_cbranch_scc1 .LBB7_293
; %bb.291:                              ;   in Loop: Header=BB7_283 Depth=1
	v_mov_b32_e32 v11, 0
	v_mov_b32_e32 v12, 0
	s_lshl_b64 s[20:21], s[18:19], 3
	s_mov_b64 s[22:23], s[10:11]
.LBB7_292:                              ;   Parent Loop BB7_283 Depth=1
                                        ; =>  This Inner Loop Header: Depth=2
	global_load_ubyte v4, v6, s[22:23]
	s_waitcnt vmcnt(0)
	v_and_b32_e32 v5, 0xffff, v4
	v_lshlrev_b64 v[4:5], s4, v[5:6]
	s_add_u32 s4, s4, 8
	s_addc_u32 s5, s5, 0
	s_add_u32 s22, s22, 1
	s_addc_u32 s23, s23, 0
	s_cmp_lg_u32 s20, s4
	v_or_b32_e32 v11, v4, v11
	v_or_b32_e32 v12, v5, v12
	s_cbranch_scc1 .LBB7_292
.LBB7_293:                              ;   in Loop: Header=BB7_283 Depth=1
	s_mov_b32 s25, 0
	s_mov_b64 s[4:5], s[10:11]
	s_cbranch_execnz .LBB7_285
.LBB7_294:                              ;   in Loop: Header=BB7_283 Depth=1
	global_load_dwordx2 v[11:12], v6, s[10:11]
	s_add_i32 s25, s18, -8
	s_add_u32 s4, s10, 8
	s_addc_u32 s5, s11, 0
	s_cmp_gt_u32 s25, 7
	s_cbranch_scc0 .LBB7_286
.LBB7_295:                              ;   in Loop: Header=BB7_283 Depth=1
                                        ; implicit-def: $vgpr13_vgpr14
                                        ; implicit-def: $sgpr26
.LBB7_296:                              ;   in Loop: Header=BB7_283 Depth=1
	global_load_dwordx2 v[13:14], v6, s[4:5]
	s_add_i32 s26, s25, -8
	s_add_u32 s4, s4, 8
	s_addc_u32 s5, s5, 0
.LBB7_297:                              ;   in Loop: Header=BB7_283 Depth=1
	s_cmp_gt_u32 s26, 7
	s_cbranch_scc1 .LBB7_302
; %bb.298:                              ;   in Loop: Header=BB7_283 Depth=1
	v_mov_b32_e32 v15, 0
	v_mov_b32_e32 v16, 0
	s_cmp_eq_u32 s26, 0
	s_cbranch_scc1 .LBB7_301
; %bb.299:                              ;   in Loop: Header=BB7_283 Depth=1
	s_mov_b64 s[20:21], 0
	s_mov_b64 s[22:23], 0
.LBB7_300:                              ;   Parent Loop BB7_283 Depth=1
                                        ; =>  This Inner Loop Header: Depth=2
	s_add_u32 s28, s4, s22
	s_addc_u32 s29, s5, s23
	s_add_u32 s22, s22, 1
	global_load_ubyte v4, v6, s[28:29]
	s_addc_u32 s23, s23, 0
	s_waitcnt vmcnt(0)
	v_and_b32_e32 v5, 0xffff, v4
	v_lshlrev_b64 v[4:5], s20, v[5:6]
	s_add_u32 s20, s20, 8
	s_addc_u32 s21, s21, 0
	s_cmp_lg_u32 s26, s22
	v_or_b32_e32 v15, v4, v15
	v_or_b32_e32 v16, v5, v16
	s_cbranch_scc1 .LBB7_300
.LBB7_301:                              ;   in Loop: Header=BB7_283 Depth=1
	s_mov_b32 s25, 0
	s_cbranch_execz .LBB7_303
	s_branch .LBB7_304
.LBB7_302:                              ;   in Loop: Header=BB7_283 Depth=1
                                        ; implicit-def: $sgpr25
.LBB7_303:                              ;   in Loop: Header=BB7_283 Depth=1
	global_load_dwordx2 v[15:16], v6, s[4:5]
	s_add_i32 s25, s26, -8
	s_add_u32 s4, s4, 8
	s_addc_u32 s5, s5, 0
.LBB7_304:                              ;   in Loop: Header=BB7_283 Depth=1
	s_cmp_gt_u32 s25, 7
	s_cbranch_scc1 .LBB7_309
; %bb.305:                              ;   in Loop: Header=BB7_283 Depth=1
	v_mov_b32_e32 v17, 0
	v_mov_b32_e32 v18, 0
	s_cmp_eq_u32 s25, 0
	s_cbranch_scc1 .LBB7_308
; %bb.306:                              ;   in Loop: Header=BB7_283 Depth=1
	s_mov_b64 s[20:21], 0
	s_mov_b64 s[22:23], 0
.LBB7_307:                              ;   Parent Loop BB7_283 Depth=1
                                        ; =>  This Inner Loop Header: Depth=2
	s_add_u32 s26, s4, s22
	s_addc_u32 s27, s5, s23
	s_add_u32 s22, s22, 1
	global_load_ubyte v4, v6, s[26:27]
	s_addc_u32 s23, s23, 0
	s_waitcnt vmcnt(0)
	v_and_b32_e32 v5, 0xffff, v4
	v_lshlrev_b64 v[4:5], s20, v[5:6]
	s_add_u32 s20, s20, 8
	s_addc_u32 s21, s21, 0
	s_cmp_lg_u32 s25, s22
	v_or_b32_e32 v17, v4, v17
	v_or_b32_e32 v18, v5, v18
	s_cbranch_scc1 .LBB7_307
.LBB7_308:                              ;   in Loop: Header=BB7_283 Depth=1
	s_mov_b32 s26, 0
	s_cbranch_execz .LBB7_310
	s_branch .LBB7_311
.LBB7_309:                              ;   in Loop: Header=BB7_283 Depth=1
                                        ; implicit-def: $vgpr17_vgpr18
                                        ; implicit-def: $sgpr26
.LBB7_310:                              ;   in Loop: Header=BB7_283 Depth=1
	global_load_dwordx2 v[17:18], v6, s[4:5]
	s_add_i32 s26, s25, -8
	s_add_u32 s4, s4, 8
	s_addc_u32 s5, s5, 0
.LBB7_311:                              ;   in Loop: Header=BB7_283 Depth=1
	s_cmp_gt_u32 s26, 7
	s_cbranch_scc1 .LBB7_316
; %bb.312:                              ;   in Loop: Header=BB7_283 Depth=1
	v_mov_b32_e32 v19, 0
	v_mov_b32_e32 v20, 0
	s_cmp_eq_u32 s26, 0
	s_cbranch_scc1 .LBB7_315
; %bb.313:                              ;   in Loop: Header=BB7_283 Depth=1
	s_mov_b64 s[20:21], 0
	s_mov_b64 s[22:23], 0
.LBB7_314:                              ;   Parent Loop BB7_283 Depth=1
                                        ; =>  This Inner Loop Header: Depth=2
	s_add_u32 s28, s4, s22
	s_addc_u32 s29, s5, s23
	s_add_u32 s22, s22, 1
	global_load_ubyte v4, v6, s[28:29]
	s_addc_u32 s23, s23, 0
	s_waitcnt vmcnt(0)
	v_and_b32_e32 v5, 0xffff, v4
	v_lshlrev_b64 v[4:5], s20, v[5:6]
	s_add_u32 s20, s20, 8
	s_addc_u32 s21, s21, 0
	s_cmp_lg_u32 s26, s22
	v_or_b32_e32 v19, v4, v19
	v_or_b32_e32 v20, v5, v20
	s_cbranch_scc1 .LBB7_314
.LBB7_315:                              ;   in Loop: Header=BB7_283 Depth=1
	s_mov_b32 s25, 0
	s_cbranch_execz .LBB7_317
	s_branch .LBB7_318
.LBB7_316:                              ;   in Loop: Header=BB7_283 Depth=1
                                        ; implicit-def: $sgpr25
.LBB7_317:                              ;   in Loop: Header=BB7_283 Depth=1
	global_load_dwordx2 v[19:20], v6, s[4:5]
	s_add_i32 s25, s26, -8
	s_add_u32 s4, s4, 8
	s_addc_u32 s5, s5, 0
.LBB7_318:                              ;   in Loop: Header=BB7_283 Depth=1
	s_cmp_gt_u32 s25, 7
	s_cbranch_scc1 .LBB7_323
; %bb.319:                              ;   in Loop: Header=BB7_283 Depth=1
	v_mov_b32_e32 v21, 0
	v_mov_b32_e32 v22, 0
	s_cmp_eq_u32 s25, 0
	s_cbranch_scc1 .LBB7_322
; %bb.320:                              ;   in Loop: Header=BB7_283 Depth=1
	s_mov_b64 s[20:21], 0
	s_mov_b64 s[22:23], 0
.LBB7_321:                              ;   Parent Loop BB7_283 Depth=1
                                        ; =>  This Inner Loop Header: Depth=2
	s_add_u32 s26, s4, s22
	s_addc_u32 s27, s5, s23
	s_add_u32 s22, s22, 1
	global_load_ubyte v4, v6, s[26:27]
	s_addc_u32 s23, s23, 0
	s_waitcnt vmcnt(0)
	v_and_b32_e32 v5, 0xffff, v4
	v_lshlrev_b64 v[4:5], s20, v[5:6]
	s_add_u32 s20, s20, 8
	s_addc_u32 s21, s21, 0
	s_cmp_lg_u32 s25, s22
	v_or_b32_e32 v21, v4, v21
	v_or_b32_e32 v22, v5, v22
	s_cbranch_scc1 .LBB7_321
.LBB7_322:                              ;   in Loop: Header=BB7_283 Depth=1
	s_mov_b32 s26, 0
	s_cbranch_execz .LBB7_324
	s_branch .LBB7_325
.LBB7_323:                              ;   in Loop: Header=BB7_283 Depth=1
                                        ; implicit-def: $vgpr21_vgpr22
                                        ; implicit-def: $sgpr26
.LBB7_324:                              ;   in Loop: Header=BB7_283 Depth=1
	global_load_dwordx2 v[21:22], v6, s[4:5]
	s_add_i32 s26, s25, -8
	s_add_u32 s4, s4, 8
	s_addc_u32 s5, s5, 0
.LBB7_325:                              ;   in Loop: Header=BB7_283 Depth=1
	s_cmp_gt_u32 s26, 7
	s_cbranch_scc1 .LBB7_330
; %bb.326:                              ;   in Loop: Header=BB7_283 Depth=1
	v_mov_b32_e32 v23, 0
	v_mov_b32_e32 v24, 0
	s_cmp_eq_u32 s26, 0
	s_cbranch_scc1 .LBB7_329
; %bb.327:                              ;   in Loop: Header=BB7_283 Depth=1
	s_mov_b64 s[20:21], 0
	s_mov_b64 s[22:23], s[4:5]
.LBB7_328:                              ;   Parent Loop BB7_283 Depth=1
                                        ; =>  This Inner Loop Header: Depth=2
	global_load_ubyte v4, v6, s[22:23]
	s_add_i32 s26, s26, -1
	s_waitcnt vmcnt(0)
	v_and_b32_e32 v5, 0xffff, v4
	v_lshlrev_b64 v[4:5], s20, v[5:6]
	s_add_u32 s20, s20, 8
	s_addc_u32 s21, s21, 0
	s_add_u32 s22, s22, 1
	s_addc_u32 s23, s23, 0
	s_cmp_lg_u32 s26, 0
	v_or_b32_e32 v23, v4, v23
	v_or_b32_e32 v24, v5, v24
	s_cbranch_scc1 .LBB7_328
.LBB7_329:                              ;   in Loop: Header=BB7_283 Depth=1
	s_cbranch_execz .LBB7_331
	s_branch .LBB7_332
.LBB7_330:                              ;   in Loop: Header=BB7_283 Depth=1
.LBB7_331:                              ;   in Loop: Header=BB7_283 Depth=1
	global_load_dwordx2 v[23:24], v6, s[4:5]
.LBB7_332:                              ;   in Loop: Header=BB7_283 Depth=1
	v_readfirstlane_b32 s4, v32
	s_waitcnt vmcnt(0)
	v_mov_b32_e32 v4, 0
	v_mov_b32_e32 v5, 0
	v_cmp_eq_u32_e64 s4, s4, v32
	s_and_saveexec_b32 s5, s4
	s_cbranch_execz .LBB7_338
; %bb.333:                              ;   in Loop: Header=BB7_283 Depth=1
	global_load_dwordx2 v[27:28], v6, s[6:7] offset:24 glc dlc
	s_waitcnt vmcnt(0)
	buffer_gl1_inv
	buffer_gl0_inv
	s_clause 0x1
	global_load_dwordx2 v[4:5], v6, s[6:7] offset:40
	global_load_dwordx2 v[9:10], v6, s[6:7]
	s_mov_b32 s20, exec_lo
	s_waitcnt vmcnt(1)
	v_and_b32_e32 v5, v5, v28
	v_and_b32_e32 v4, v4, v27
	v_mul_lo_u32 v5, v5, 24
	v_mul_hi_u32 v25, v4, 24
	v_mul_lo_u32 v4, v4, 24
	v_add_nc_u32_e32 v5, v25, v5
	s_waitcnt vmcnt(0)
	v_add_co_u32 v4, vcc_lo, v9, v4
	v_add_co_ci_u32_e32 v5, vcc_lo, v10, v5, vcc_lo
	global_load_dwordx2 v[25:26], v[4:5], off glc dlc
	s_waitcnt vmcnt(0)
	global_atomic_cmpswap_x2 v[4:5], v6, v[25:28], s[6:7] offset:24 glc
	s_waitcnt vmcnt(0)
	buffer_gl1_inv
	buffer_gl0_inv
	v_cmpx_ne_u64_e64 v[4:5], v[27:28]
	s_cbranch_execz .LBB7_337
; %bb.334:                              ;   in Loop: Header=BB7_283 Depth=1
	s_mov_b32 s21, 0
	.p2align	6
.LBB7_335:                              ;   Parent Loop BB7_283 Depth=1
                                        ; =>  This Inner Loop Header: Depth=2
	s_sleep 1
	s_clause 0x1
	global_load_dwordx2 v[9:10], v6, s[6:7] offset:40
	global_load_dwordx2 v[25:26], v6, s[6:7]
	v_mov_b32_e32 v28, v5
	v_mov_b32_e32 v27, v4
	s_waitcnt vmcnt(1)
	v_and_b32_e32 v4, v9, v27
	v_and_b32_e32 v9, v10, v28
	s_waitcnt vmcnt(0)
	v_mad_u64_u32 v[4:5], null, v4, 24, v[25:26]
	v_mad_u64_u32 v[9:10], null, v9, 24, v[5:6]
	v_mov_b32_e32 v5, v9
	global_load_dwordx2 v[25:26], v[4:5], off glc dlc
	s_waitcnt vmcnt(0)
	global_atomic_cmpswap_x2 v[4:5], v6, v[25:28], s[6:7] offset:24 glc
	s_waitcnt vmcnt(0)
	buffer_gl1_inv
	buffer_gl0_inv
	v_cmp_eq_u64_e32 vcc_lo, v[4:5], v[27:28]
	s_or_b32 s21, vcc_lo, s21
	s_andn2_b32 exec_lo, exec_lo, s21
	s_cbranch_execnz .LBB7_335
; %bb.336:                              ;   in Loop: Header=BB7_283 Depth=1
	s_or_b32 exec_lo, exec_lo, s21
.LBB7_337:                              ;   in Loop: Header=BB7_283 Depth=1
	s_or_b32 exec_lo, exec_lo, s20
.LBB7_338:                              ;   in Loop: Header=BB7_283 Depth=1
	s_or_b32 exec_lo, exec_lo, s5
	s_clause 0x1
	global_load_dwordx2 v[9:10], v6, s[6:7] offset:40
	global_load_dwordx4 v[25:28], v6, s[6:7]
	v_readfirstlane_b32 s20, v4
	v_readfirstlane_b32 s21, v5
	s_mov_b32 s5, exec_lo
	s_waitcnt vmcnt(1)
	v_readfirstlane_b32 s22, v9
	v_readfirstlane_b32 s23, v10
	s_and_b64 s[22:23], s[20:21], s[22:23]
	s_mul_i32 s25, s23, 24
	s_mul_hi_u32 s26, s22, 24
	s_mul_i32 s27, s22, 24
	s_add_i32 s26, s26, s25
	s_waitcnt vmcnt(0)
	v_add_co_u32 v29, vcc_lo, v25, s27
	v_add_co_ci_u32_e32 v30, vcc_lo, s26, v26, vcc_lo
	s_and_saveexec_b32 s25, s4
	s_cbranch_execz .LBB7_340
; %bb.339:                              ;   in Loop: Header=BB7_283 Depth=1
	v_mov_b32_e32 v5, s5
	global_store_dwordx4 v[29:30], v[5:8], off offset:8
.LBB7_340:                              ;   in Loop: Header=BB7_283 Depth=1
	s_or_b32 exec_lo, exec_lo, s25
	s_lshl_b64 s[22:23], s[22:23], 12
	v_cmp_gt_u64_e64 vcc_lo, s[16:17], 56
	v_or_b32_e32 v5, v2, v33
	v_add_co_u32 v27, s5, v27, s22
	v_add_co_ci_u32_e64 v28, s5, s23, v28, s5
	s_lshl_b32 s5, s18, 2
	v_or_b32_e32 v4, 0, v3
	v_cndmask_b32_e32 v2, v5, v2, vcc_lo
	s_add_i32 s5, s5, 28
	v_readfirstlane_b32 s22, v27
	s_and_b32 s5, s5, 0x1e0
	v_cndmask_b32_e32 v10, v4, v3, vcc_lo
	v_readfirstlane_b32 s23, v28
	v_and_or_b32 v9, 0xffffff1f, v2, s5
	global_store_dwordx4 v31, v[9:12], s[22:23]
	global_store_dwordx4 v31, v[13:16], s[22:23] offset:16
	global_store_dwordx4 v31, v[17:20], s[22:23] offset:32
	;; [unrolled: 1-line block ×3, first 2 shown]
	s_and_saveexec_b32 s5, s4
	s_cbranch_execz .LBB7_348
; %bb.341:                              ;   in Loop: Header=BB7_283 Depth=1
	s_clause 0x1
	global_load_dwordx2 v[13:14], v6, s[6:7] offset:32 glc dlc
	global_load_dwordx2 v[2:3], v6, s[6:7] offset:40
	v_mov_b32_e32 v11, s20
	v_mov_b32_e32 v12, s21
	s_waitcnt vmcnt(0)
	v_readfirstlane_b32 s22, v2
	v_readfirstlane_b32 s23, v3
	s_and_b64 s[22:23], s[22:23], s[20:21]
	s_mul_i32 s23, s23, 24
	s_mul_hi_u32 s25, s22, 24
	s_mul_i32 s22, s22, 24
	s_add_i32 s25, s25, s23
	v_add_co_u32 v9, vcc_lo, v25, s22
	v_add_co_ci_u32_e32 v10, vcc_lo, s25, v26, vcc_lo
	s_mov_b32 s22, exec_lo
	global_store_dwordx2 v[9:10], v[13:14], off
	s_waitcnt_vscnt null, 0x0
	global_atomic_cmpswap_x2 v[4:5], v6, v[11:14], s[6:7] offset:32 glc
	s_waitcnt vmcnt(0)
	v_cmpx_ne_u64_e64 v[4:5], v[13:14]
	s_cbranch_execz .LBB7_344
; %bb.342:                              ;   in Loop: Header=BB7_283 Depth=1
	s_mov_b32 s23, 0
.LBB7_343:                              ;   Parent Loop BB7_283 Depth=1
                                        ; =>  This Inner Loop Header: Depth=2
	v_mov_b32_e32 v2, s20
	v_mov_b32_e32 v3, s21
	s_sleep 1
	global_store_dwordx2 v[9:10], v[4:5], off
	s_waitcnt_vscnt null, 0x0
	global_atomic_cmpswap_x2 v[2:3], v6, v[2:5], s[6:7] offset:32 glc
	s_waitcnt vmcnt(0)
	v_cmp_eq_u64_e32 vcc_lo, v[2:3], v[4:5]
	v_mov_b32_e32 v5, v3
	v_mov_b32_e32 v4, v2
	s_or_b32 s23, vcc_lo, s23
	s_andn2_b32 exec_lo, exec_lo, s23
	s_cbranch_execnz .LBB7_343
.LBB7_344:                              ;   in Loop: Header=BB7_283 Depth=1
	s_or_b32 exec_lo, exec_lo, s22
	global_load_dwordx2 v[2:3], v6, s[6:7] offset:16
	s_mov_b32 s23, exec_lo
	s_mov_b32 s22, exec_lo
	v_mbcnt_lo_u32_b32 v4, s23, 0
	v_cmpx_eq_u32_e32 0, v4
	s_cbranch_execz .LBB7_346
; %bb.345:                              ;   in Loop: Header=BB7_283 Depth=1
	s_bcnt1_i32_b32 s23, s23
	v_mov_b32_e32 v5, s23
	s_waitcnt vmcnt(0)
	global_atomic_add_x2 v[2:3], v[5:6], off offset:8
.LBB7_346:                              ;   in Loop: Header=BB7_283 Depth=1
	s_or_b32 exec_lo, exec_lo, s22
	s_waitcnt vmcnt(0)
	global_load_dwordx2 v[9:10], v[2:3], off offset:16
	s_waitcnt vmcnt(0)
	v_cmp_eq_u64_e32 vcc_lo, 0, v[9:10]
	s_cbranch_vccnz .LBB7_348
; %bb.347:                              ;   in Loop: Header=BB7_283 Depth=1
	global_load_dword v5, v[2:3], off offset:24
	s_waitcnt vmcnt(0)
	v_and_b32_e32 v2, 0x7fffff, v5
	s_waitcnt_vscnt null, 0x0
	global_store_dwordx2 v[9:10], v[5:6], off
	v_readfirstlane_b32 m0, v2
	s_sendmsg sendmsg(MSG_INTERRUPT)
.LBB7_348:                              ;   in Loop: Header=BB7_283 Depth=1
	s_or_b32 exec_lo, exec_lo, s5
	v_add_co_u32 v2, vcc_lo, v27, v31
	v_add_co_ci_u32_e32 v3, vcc_lo, 0, v28, vcc_lo
	s_branch .LBB7_352
	.p2align	6
.LBB7_349:                              ;   in Loop: Header=BB7_352 Depth=2
	s_or_b32 exec_lo, exec_lo, s5
	v_readfirstlane_b32 s5, v4
	s_cmp_eq_u32 s5, 0
	s_cbranch_scc1 .LBB7_351
; %bb.350:                              ;   in Loop: Header=BB7_352 Depth=2
	s_sleep 1
	s_cbranch_execnz .LBB7_352
	s_branch .LBB7_354
	.p2align	6
.LBB7_351:                              ;   in Loop: Header=BB7_283 Depth=1
	s_branch .LBB7_354
.LBB7_352:                              ;   Parent Loop BB7_283 Depth=1
                                        ; =>  This Inner Loop Header: Depth=2
	v_mov_b32_e32 v4, 1
	s_and_saveexec_b32 s5, s4
	s_cbranch_execz .LBB7_349
; %bb.353:                              ;   in Loop: Header=BB7_352 Depth=2
	global_load_dword v4, v[29:30], off offset:20 glc dlc
	s_waitcnt vmcnt(0)
	buffer_gl1_inv
	buffer_gl0_inv
	v_and_b32_e32 v4, 1, v4
	s_branch .LBB7_349
.LBB7_354:                              ;   in Loop: Header=BB7_283 Depth=1
	global_load_dwordx4 v[2:5], v[2:3], off
	s_and_saveexec_b32 s5, s4
	s_cbranch_execz .LBB7_282
; %bb.355:                              ;   in Loop: Header=BB7_283 Depth=1
	s_clause 0x2
	global_load_dwordx2 v[4:5], v6, s[6:7] offset:40
	global_load_dwordx2 v[13:14], v6, s[6:7] offset:24 glc dlc
	global_load_dwordx2 v[11:12], v6, s[6:7]
	s_waitcnt vmcnt(2)
	v_add_co_u32 v15, vcc_lo, v4, 1
	v_add_co_ci_u32_e32 v16, vcc_lo, 0, v5, vcc_lo
	v_add_co_u32 v9, vcc_lo, v15, s20
	v_add_co_ci_u32_e32 v10, vcc_lo, s21, v16, vcc_lo
	v_cmp_eq_u64_e32 vcc_lo, 0, v[9:10]
	v_cndmask_b32_e32 v10, v10, v16, vcc_lo
	v_cndmask_b32_e32 v9, v9, v15, vcc_lo
	v_and_b32_e32 v5, v10, v5
	v_and_b32_e32 v4, v9, v4
	v_mul_lo_u32 v5, v5, 24
	v_mul_hi_u32 v15, v4, 24
	v_mul_lo_u32 v4, v4, 24
	v_add_nc_u32_e32 v5, v15, v5
	s_waitcnt vmcnt(0)
	v_add_co_u32 v4, vcc_lo, v11, v4
	v_mov_b32_e32 v11, v13
	v_add_co_ci_u32_e32 v5, vcc_lo, v12, v5, vcc_lo
	v_mov_b32_e32 v12, v14
	global_store_dwordx2 v[4:5], v[13:14], off
	s_waitcnt_vscnt null, 0x0
	global_atomic_cmpswap_x2 v[11:12], v6, v[9:12], s[6:7] offset:24 glc
	s_waitcnt vmcnt(0)
	v_cmp_ne_u64_e32 vcc_lo, v[11:12], v[13:14]
	s_and_b32 exec_lo, exec_lo, vcc_lo
	s_cbranch_execz .LBB7_282
; %bb.356:                              ;   in Loop: Header=BB7_283 Depth=1
	s_mov_b32 s4, 0
.LBB7_357:                              ;   Parent Loop BB7_283 Depth=1
                                        ; =>  This Inner Loop Header: Depth=2
	s_sleep 1
	global_store_dwordx2 v[4:5], v[11:12], off
	s_waitcnt_vscnt null, 0x0
	global_atomic_cmpswap_x2 v[13:14], v6, v[9:12], s[6:7] offset:24 glc
	s_waitcnt vmcnt(0)
	v_cmp_eq_u64_e32 vcc_lo, v[13:14], v[11:12]
	v_mov_b32_e32 v11, v13
	v_mov_b32_e32 v12, v14
	s_or_b32 s4, vcc_lo, s4
	s_andn2_b32 exec_lo, exec_lo, s4
	s_cbranch_execnz .LBB7_357
	s_branch .LBB7_282
.LBB7_358:
	s_branch .LBB7_387
.LBB7_359:
                                        ; implicit-def: $vgpr2_vgpr3
	s_cbranch_execz .LBB7_387
; %bb.360:
	v_readfirstlane_b32 s4, v32
	v_mov_b32_e32 v8, 0
	v_mov_b32_e32 v9, 0
	v_cmp_eq_u32_e64 s4, s4, v32
	s_and_saveexec_b32 s5, s4
	s_cbranch_execz .LBB7_366
; %bb.361:
	s_waitcnt vmcnt(0)
	v_mov_b32_e32 v2, 0
	s_mov_b32 s10, exec_lo
	global_load_dwordx2 v[5:6], v2, s[6:7] offset:24 glc dlc
	s_waitcnt vmcnt(0)
	buffer_gl1_inv
	buffer_gl0_inv
	s_clause 0x1
	global_load_dwordx2 v[3:4], v2, s[6:7] offset:40
	global_load_dwordx2 v[7:8], v2, s[6:7]
	s_waitcnt vmcnt(1)
	v_and_b32_e32 v4, v4, v6
	v_and_b32_e32 v3, v3, v5
	v_mul_lo_u32 v4, v4, 24
	v_mul_hi_u32 v9, v3, 24
	v_mul_lo_u32 v3, v3, 24
	v_add_nc_u32_e32 v4, v9, v4
	s_waitcnt vmcnt(0)
	v_add_co_u32 v3, vcc_lo, v7, v3
	v_add_co_ci_u32_e32 v4, vcc_lo, v8, v4, vcc_lo
	global_load_dwordx2 v[3:4], v[3:4], off glc dlc
	s_waitcnt vmcnt(0)
	global_atomic_cmpswap_x2 v[8:9], v2, v[3:6], s[6:7] offset:24 glc
	s_waitcnt vmcnt(0)
	buffer_gl1_inv
	buffer_gl0_inv
	v_cmpx_ne_u64_e64 v[8:9], v[5:6]
	s_cbranch_execz .LBB7_365
; %bb.362:
	s_mov_b32 s11, 0
	.p2align	6
.LBB7_363:                              ; =>This Inner Loop Header: Depth=1
	s_sleep 1
	s_clause 0x1
	global_load_dwordx2 v[3:4], v2, s[6:7] offset:40
	global_load_dwordx2 v[10:11], v2, s[6:7]
	v_mov_b32_e32 v5, v8
	v_mov_b32_e32 v6, v9
	s_waitcnt vmcnt(1)
	v_and_b32_e32 v3, v3, v5
	v_and_b32_e32 v4, v4, v6
	s_waitcnt vmcnt(0)
	v_mad_u64_u32 v[7:8], null, v3, 24, v[10:11]
	v_mov_b32_e32 v3, v8
	v_mad_u64_u32 v[3:4], null, v4, 24, v[3:4]
	v_mov_b32_e32 v8, v3
	global_load_dwordx2 v[3:4], v[7:8], off glc dlc
	s_waitcnt vmcnt(0)
	global_atomic_cmpswap_x2 v[8:9], v2, v[3:6], s[6:7] offset:24 glc
	s_waitcnt vmcnt(0)
	buffer_gl1_inv
	buffer_gl0_inv
	v_cmp_eq_u64_e32 vcc_lo, v[8:9], v[5:6]
	s_or_b32 s11, vcc_lo, s11
	s_andn2_b32 exec_lo, exec_lo, s11
	s_cbranch_execnz .LBB7_363
; %bb.364:
	s_or_b32 exec_lo, exec_lo, s11
.LBB7_365:
	s_or_b32 exec_lo, exec_lo, s10
.LBB7_366:
	s_or_b32 exec_lo, exec_lo, s5
	s_waitcnt vmcnt(0)
	v_mov_b32_e32 v2, 0
	v_readfirstlane_b32 s10, v8
	v_readfirstlane_b32 s11, v9
	s_mov_b32 s5, exec_lo
	s_clause 0x1
	global_load_dwordx2 v[10:11], v2, s[6:7] offset:40
	global_load_dwordx4 v[4:7], v2, s[6:7]
	s_waitcnt vmcnt(1)
	v_readfirstlane_b32 s16, v10
	v_readfirstlane_b32 s17, v11
	s_and_b64 s[16:17], s[10:11], s[16:17]
	s_mul_i32 s18, s17, 24
	s_mul_hi_u32 s19, s16, 24
	s_mul_i32 s20, s16, 24
	s_add_i32 s19, s19, s18
	s_waitcnt vmcnt(0)
	v_add_co_u32 v8, vcc_lo, v4, s20
	v_add_co_ci_u32_e32 v9, vcc_lo, s19, v5, vcc_lo
	s_and_saveexec_b32 s18, s4
	s_cbranch_execz .LBB7_368
; %bb.367:
	v_mov_b32_e32 v10, s5
	v_mov_b32_e32 v11, v2
	;; [unrolled: 1-line block ×4, first 2 shown]
	global_store_dwordx4 v[8:9], v[10:13], off offset:8
.LBB7_368:
	s_or_b32 exec_lo, exec_lo, s18
	s_lshl_b64 s[16:17], s[16:17], 12
	v_and_or_b32 v0, 0xffffff1f, v0, 32
	v_add_co_u32 v6, vcc_lo, v6, s16
	v_add_co_ci_u32_e32 v7, vcc_lo, s17, v7, vcc_lo
	s_mov_b32 s16, 0
	v_readfirstlane_b32 s20, v6
	v_add_co_u32 v6, vcc_lo, v6, v31
	s_mov_b32 s17, s16
	s_mov_b32 s18, s16
	s_mov_b32 s19, s16
	v_mov_b32_e32 v3, v2
	v_readfirstlane_b32 s21, v7
	v_mov_b32_e32 v10, s16
	v_add_co_ci_u32_e32 v7, vcc_lo, 0, v7, vcc_lo
	v_mov_b32_e32 v11, s17
	v_mov_b32_e32 v12, s18
	;; [unrolled: 1-line block ×3, first 2 shown]
	global_store_dwordx4 v31, v[0:3], s[20:21]
	global_store_dwordx4 v31, v[10:13], s[20:21] offset:16
	global_store_dwordx4 v31, v[10:13], s[20:21] offset:32
	;; [unrolled: 1-line block ×3, first 2 shown]
	s_and_saveexec_b32 s5, s4
	s_cbranch_execz .LBB7_376
; %bb.369:
	v_mov_b32_e32 v10, 0
	v_mov_b32_e32 v11, s10
	v_mov_b32_e32 v12, s11
	s_clause 0x1
	global_load_dwordx2 v[13:14], v10, s[6:7] offset:32 glc dlc
	global_load_dwordx2 v[0:1], v10, s[6:7] offset:40
	s_waitcnt vmcnt(0)
	v_readfirstlane_b32 s16, v0
	v_readfirstlane_b32 s17, v1
	s_and_b64 s[16:17], s[16:17], s[10:11]
	s_mul_i32 s17, s17, 24
	s_mul_hi_u32 s18, s16, 24
	s_mul_i32 s16, s16, 24
	s_add_i32 s18, s18, s17
	v_add_co_u32 v4, vcc_lo, v4, s16
	v_add_co_ci_u32_e32 v5, vcc_lo, s18, v5, vcc_lo
	s_mov_b32 s16, exec_lo
	global_store_dwordx2 v[4:5], v[13:14], off
	s_waitcnt_vscnt null, 0x0
	global_atomic_cmpswap_x2 v[2:3], v10, v[11:14], s[6:7] offset:32 glc
	s_waitcnt vmcnt(0)
	v_cmpx_ne_u64_e64 v[2:3], v[13:14]
	s_cbranch_execz .LBB7_372
; %bb.370:
	s_mov_b32 s17, 0
.LBB7_371:                              ; =>This Inner Loop Header: Depth=1
	v_mov_b32_e32 v0, s10
	v_mov_b32_e32 v1, s11
	s_sleep 1
	global_store_dwordx2 v[4:5], v[2:3], off
	s_waitcnt_vscnt null, 0x0
	global_atomic_cmpswap_x2 v[0:1], v10, v[0:3], s[6:7] offset:32 glc
	s_waitcnt vmcnt(0)
	v_cmp_eq_u64_e32 vcc_lo, v[0:1], v[2:3]
	v_mov_b32_e32 v3, v1
	v_mov_b32_e32 v2, v0
	s_or_b32 s17, vcc_lo, s17
	s_andn2_b32 exec_lo, exec_lo, s17
	s_cbranch_execnz .LBB7_371
.LBB7_372:
	s_or_b32 exec_lo, exec_lo, s16
	v_mov_b32_e32 v3, 0
	s_mov_b32 s17, exec_lo
	s_mov_b32 s16, exec_lo
	v_mbcnt_lo_u32_b32 v2, s17, 0
	global_load_dwordx2 v[0:1], v3, s[6:7] offset:16
	v_cmpx_eq_u32_e32 0, v2
	s_cbranch_execz .LBB7_374
; %bb.373:
	s_bcnt1_i32_b32 s17, s17
	v_mov_b32_e32 v2, s17
	s_waitcnt vmcnt(0)
	global_atomic_add_x2 v[0:1], v[2:3], off offset:8
.LBB7_374:
	s_or_b32 exec_lo, exec_lo, s16
	s_waitcnt vmcnt(0)
	global_load_dwordx2 v[2:3], v[0:1], off offset:16
	s_waitcnt vmcnt(0)
	v_cmp_eq_u64_e32 vcc_lo, 0, v[2:3]
	s_cbranch_vccnz .LBB7_376
; %bb.375:
	global_load_dword v0, v[0:1], off offset:24
	v_mov_b32_e32 v1, 0
	s_waitcnt vmcnt(0)
	v_and_b32_e32 v4, 0x7fffff, v0
	s_waitcnt_vscnt null, 0x0
	global_store_dwordx2 v[2:3], v[0:1], off
	v_readfirstlane_b32 m0, v4
	s_sendmsg sendmsg(MSG_INTERRUPT)
.LBB7_376:
	s_or_b32 exec_lo, exec_lo, s5
	s_branch .LBB7_380
	.p2align	6
.LBB7_377:                              ;   in Loop: Header=BB7_380 Depth=1
	s_or_b32 exec_lo, exec_lo, s5
	v_readfirstlane_b32 s5, v0
	s_cmp_eq_u32 s5, 0
	s_cbranch_scc1 .LBB7_379
; %bb.378:                              ;   in Loop: Header=BB7_380 Depth=1
	s_sleep 1
	s_cbranch_execnz .LBB7_380
	s_branch .LBB7_382
	.p2align	6
.LBB7_379:
	s_branch .LBB7_382
.LBB7_380:                              ; =>This Inner Loop Header: Depth=1
	v_mov_b32_e32 v0, 1
	s_and_saveexec_b32 s5, s4
	s_cbranch_execz .LBB7_377
; %bb.381:                              ;   in Loop: Header=BB7_380 Depth=1
	global_load_dword v0, v[8:9], off offset:20 glc dlc
	s_waitcnt vmcnt(0)
	buffer_gl1_inv
	buffer_gl0_inv
	v_and_b32_e32 v0, 1, v0
	s_branch .LBB7_377
.LBB7_382:
	global_load_dwordx2 v[2:3], v[6:7], off
	s_and_saveexec_b32 s5, s4
	s_cbranch_execz .LBB7_386
; %bb.383:
	v_mov_b32_e32 v8, 0
	s_clause 0x2
	global_load_dwordx2 v[0:1], v8, s[6:7] offset:40
	global_load_dwordx2 v[9:10], v8, s[6:7] offset:24 glc dlc
	global_load_dwordx2 v[6:7], v8, s[6:7]
	s_waitcnt vmcnt(2)
	v_add_co_u32 v11, vcc_lo, v0, 1
	v_add_co_ci_u32_e32 v12, vcc_lo, 0, v1, vcc_lo
	v_add_co_u32 v4, vcc_lo, v11, s10
	v_add_co_ci_u32_e32 v5, vcc_lo, s11, v12, vcc_lo
	v_cmp_eq_u64_e32 vcc_lo, 0, v[4:5]
	v_cndmask_b32_e32 v5, v5, v12, vcc_lo
	v_cndmask_b32_e32 v4, v4, v11, vcc_lo
	v_and_b32_e32 v1, v5, v1
	v_and_b32_e32 v0, v4, v0
	v_mul_lo_u32 v1, v1, 24
	v_mul_hi_u32 v11, v0, 24
	v_mul_lo_u32 v0, v0, 24
	v_add_nc_u32_e32 v1, v11, v1
	s_waitcnt vmcnt(0)
	v_add_co_u32 v0, vcc_lo, v6, v0
	v_mov_b32_e32 v6, v9
	v_add_co_ci_u32_e32 v1, vcc_lo, v7, v1, vcc_lo
	v_mov_b32_e32 v7, v10
	global_store_dwordx2 v[0:1], v[9:10], off
	s_waitcnt_vscnt null, 0x0
	global_atomic_cmpswap_x2 v[6:7], v8, v[4:7], s[6:7] offset:24 glc
	s_waitcnt vmcnt(0)
	v_cmp_ne_u64_e32 vcc_lo, v[6:7], v[9:10]
	s_and_b32 exec_lo, exec_lo, vcc_lo
	s_cbranch_execz .LBB7_386
; %bb.384:
	s_mov_b32 s4, 0
.LBB7_385:                              ; =>This Inner Loop Header: Depth=1
	s_sleep 1
	global_store_dwordx2 v[0:1], v[6:7], off
	s_waitcnt_vscnt null, 0x0
	global_atomic_cmpswap_x2 v[9:10], v8, v[4:7], s[6:7] offset:24 glc
	s_waitcnt vmcnt(0)
	v_cmp_eq_u64_e32 vcc_lo, v[9:10], v[6:7]
	v_mov_b32_e32 v6, v9
	v_mov_b32_e32 v7, v10
	s_or_b32 s4, vcc_lo, s4
	s_andn2_b32 exec_lo, exec_lo, s4
	s_cbranch_execnz .LBB7_385
.LBB7_386:
	s_or_b32 exec_lo, exec_lo, s5
.LBB7_387:
	v_readfirstlane_b32 s4, v32
	s_waitcnt vmcnt(0)
	v_mov_b32_e32 v0, 0
	v_mov_b32_e32 v1, 0
	v_cmp_eq_u32_e64 s4, s4, v32
	s_and_saveexec_b32 s5, s4
	s_cbranch_execz .LBB7_393
; %bb.388:
	v_mov_b32_e32 v4, 0
	s_mov_b32 s10, exec_lo
	global_load_dwordx2 v[7:8], v4, s[6:7] offset:24 glc dlc
	s_waitcnt vmcnt(0)
	buffer_gl1_inv
	buffer_gl0_inv
	s_clause 0x1
	global_load_dwordx2 v[0:1], v4, s[6:7] offset:40
	global_load_dwordx2 v[5:6], v4, s[6:7]
	s_waitcnt vmcnt(1)
	v_and_b32_e32 v1, v1, v8
	v_and_b32_e32 v0, v0, v7
	v_mul_lo_u32 v1, v1, 24
	v_mul_hi_u32 v9, v0, 24
	v_mul_lo_u32 v0, v0, 24
	v_add_nc_u32_e32 v1, v9, v1
	s_waitcnt vmcnt(0)
	v_add_co_u32 v0, vcc_lo, v5, v0
	v_add_co_ci_u32_e32 v1, vcc_lo, v6, v1, vcc_lo
	global_load_dwordx2 v[5:6], v[0:1], off glc dlc
	s_waitcnt vmcnt(0)
	global_atomic_cmpswap_x2 v[0:1], v4, v[5:8], s[6:7] offset:24 glc
	s_waitcnt vmcnt(0)
	buffer_gl1_inv
	buffer_gl0_inv
	v_cmpx_ne_u64_e64 v[0:1], v[7:8]
	s_cbranch_execz .LBB7_392
; %bb.389:
	s_mov_b32 s11, 0
	.p2align	6
.LBB7_390:                              ; =>This Inner Loop Header: Depth=1
	s_sleep 1
	s_clause 0x1
	global_load_dwordx2 v[5:6], v4, s[6:7] offset:40
	global_load_dwordx2 v[9:10], v4, s[6:7]
	v_mov_b32_e32 v8, v1
	v_mov_b32_e32 v7, v0
	s_waitcnt vmcnt(1)
	v_and_b32_e32 v0, v5, v7
	v_and_b32_e32 v5, v6, v8
	s_waitcnt vmcnt(0)
	v_mad_u64_u32 v[0:1], null, v0, 24, v[9:10]
	v_mad_u64_u32 v[5:6], null, v5, 24, v[1:2]
	v_mov_b32_e32 v1, v5
	global_load_dwordx2 v[5:6], v[0:1], off glc dlc
	s_waitcnt vmcnt(0)
	global_atomic_cmpswap_x2 v[0:1], v4, v[5:8], s[6:7] offset:24 glc
	s_waitcnt vmcnt(0)
	buffer_gl1_inv
	buffer_gl0_inv
	v_cmp_eq_u64_e32 vcc_lo, v[0:1], v[7:8]
	s_or_b32 s11, vcc_lo, s11
	s_andn2_b32 exec_lo, exec_lo, s11
	s_cbranch_execnz .LBB7_390
; %bb.391:
	s_or_b32 exec_lo, exec_lo, s11
.LBB7_392:
	s_or_b32 exec_lo, exec_lo, s10
.LBB7_393:
	s_or_b32 exec_lo, exec_lo, s5
	v_mov_b32_e32 v5, 0
	v_readfirstlane_b32 s10, v0
	v_readfirstlane_b32 s11, v1
	s_mov_b32 s5, exec_lo
	s_clause 0x1
	global_load_dwordx2 v[10:11], v5, s[6:7] offset:40
	global_load_dwordx4 v[6:9], v5, s[6:7]
	s_waitcnt vmcnt(1)
	v_readfirstlane_b32 s16, v10
	v_readfirstlane_b32 s17, v11
	s_and_b64 s[16:17], s[10:11], s[16:17]
	s_mul_i32 s18, s17, 24
	s_mul_hi_u32 s19, s16, 24
	s_mul_i32 s20, s16, 24
	s_add_i32 s19, s19, s18
	s_waitcnt vmcnt(0)
	v_add_co_u32 v10, vcc_lo, v6, s20
	v_add_co_ci_u32_e32 v11, vcc_lo, s19, v7, vcc_lo
	s_and_saveexec_b32 s18, s4
	s_cbranch_execz .LBB7_395
; %bb.394:
	v_mov_b32_e32 v4, s5
	v_mov_b32_e32 v13, v5
	;; [unrolled: 1-line block ×5, first 2 shown]
	global_store_dwordx4 v[10:11], v[12:15], off offset:8
.LBB7_395:
	s_or_b32 exec_lo, exec_lo, s18
	s_lshl_b64 s[16:17], s[16:17], 12
	v_and_or_b32 v2, 0xffffff1d, v2, 34
	v_add_co_u32 v0, vcc_lo, v8, s16
	v_add_co_ci_u32_e32 v1, vcc_lo, s17, v9, vcc_lo
	s_mov_b32 s16, 0
	v_mov_b32_e32 v4, 10
	s_mov_b32 s17, s16
	s_mov_b32 s18, s16
	;; [unrolled: 1-line block ×3, first 2 shown]
	v_readfirstlane_b32 s20, v0
	v_readfirstlane_b32 s21, v1
	v_mov_b32_e32 v12, s16
	v_mov_b32_e32 v13, s17
	;; [unrolled: 1-line block ×4, first 2 shown]
	global_store_dwordx4 v31, v[2:5], s[20:21]
	global_store_dwordx4 v31, v[12:15], s[20:21] offset:16
	global_store_dwordx4 v31, v[12:15], s[20:21] offset:32
	;; [unrolled: 1-line block ×3, first 2 shown]
	s_and_saveexec_b32 s5, s4
	s_cbranch_execz .LBB7_403
; %bb.396:
	v_mov_b32_e32 v8, 0
	v_mov_b32_e32 v12, s10
	;; [unrolled: 1-line block ×3, first 2 shown]
	s_clause 0x1
	global_load_dwordx2 v[14:15], v8, s[6:7] offset:32 glc dlc
	global_load_dwordx2 v[0:1], v8, s[6:7] offset:40
	s_waitcnt vmcnt(0)
	v_readfirstlane_b32 s16, v0
	v_readfirstlane_b32 s17, v1
	s_and_b64 s[16:17], s[16:17], s[10:11]
	s_mul_i32 s17, s17, 24
	s_mul_hi_u32 s18, s16, 24
	s_mul_i32 s16, s16, 24
	s_add_i32 s18, s18, s17
	v_add_co_u32 v4, vcc_lo, v6, s16
	v_add_co_ci_u32_e32 v5, vcc_lo, s18, v7, vcc_lo
	s_mov_b32 s16, exec_lo
	global_store_dwordx2 v[4:5], v[14:15], off
	s_waitcnt_vscnt null, 0x0
	global_atomic_cmpswap_x2 v[2:3], v8, v[12:15], s[6:7] offset:32 glc
	s_waitcnt vmcnt(0)
	v_cmpx_ne_u64_e64 v[2:3], v[14:15]
	s_cbranch_execz .LBB7_399
; %bb.397:
	s_mov_b32 s17, 0
.LBB7_398:                              ; =>This Inner Loop Header: Depth=1
	v_mov_b32_e32 v0, s10
	v_mov_b32_e32 v1, s11
	s_sleep 1
	global_store_dwordx2 v[4:5], v[2:3], off
	s_waitcnt_vscnt null, 0x0
	global_atomic_cmpswap_x2 v[0:1], v8, v[0:3], s[6:7] offset:32 glc
	s_waitcnt vmcnt(0)
	v_cmp_eq_u64_e32 vcc_lo, v[0:1], v[2:3]
	v_mov_b32_e32 v3, v1
	v_mov_b32_e32 v2, v0
	s_or_b32 s17, vcc_lo, s17
	s_andn2_b32 exec_lo, exec_lo, s17
	s_cbranch_execnz .LBB7_398
.LBB7_399:
	s_or_b32 exec_lo, exec_lo, s16
	v_mov_b32_e32 v3, 0
	s_mov_b32 s17, exec_lo
	s_mov_b32 s16, exec_lo
	v_mbcnt_lo_u32_b32 v2, s17, 0
	global_load_dwordx2 v[0:1], v3, s[6:7] offset:16
	v_cmpx_eq_u32_e32 0, v2
	s_cbranch_execz .LBB7_401
; %bb.400:
	s_bcnt1_i32_b32 s17, s17
	v_mov_b32_e32 v2, s17
	s_waitcnt vmcnt(0)
	global_atomic_add_x2 v[0:1], v[2:3], off offset:8
.LBB7_401:
	s_or_b32 exec_lo, exec_lo, s16
	s_waitcnt vmcnt(0)
	global_load_dwordx2 v[2:3], v[0:1], off offset:16
	s_waitcnt vmcnt(0)
	v_cmp_eq_u64_e32 vcc_lo, 0, v[2:3]
	s_cbranch_vccnz .LBB7_403
; %bb.402:
	global_load_dword v0, v[0:1], off offset:24
	v_mov_b32_e32 v1, 0
	s_waitcnt vmcnt(0)
	v_and_b32_e32 v4, 0x7fffff, v0
	s_waitcnt_vscnt null, 0x0
	global_store_dwordx2 v[2:3], v[0:1], off
	v_readfirstlane_b32 m0, v4
	s_sendmsg sendmsg(MSG_INTERRUPT)
.LBB7_403:
	s_or_b32 exec_lo, exec_lo, s5
	s_branch .LBB7_407
	.p2align	6
.LBB7_404:                              ;   in Loop: Header=BB7_407 Depth=1
	s_or_b32 exec_lo, exec_lo, s5
	v_readfirstlane_b32 s5, v0
	s_cmp_eq_u32 s5, 0
	s_cbranch_scc1 .LBB7_406
; %bb.405:                              ;   in Loop: Header=BB7_407 Depth=1
	s_sleep 1
	s_cbranch_execnz .LBB7_407
	s_branch .LBB7_409
	.p2align	6
.LBB7_406:
	s_branch .LBB7_409
.LBB7_407:                              ; =>This Inner Loop Header: Depth=1
	v_mov_b32_e32 v0, 1
	s_and_saveexec_b32 s5, s4
	s_cbranch_execz .LBB7_404
; %bb.408:                              ;   in Loop: Header=BB7_407 Depth=1
	global_load_dword v0, v[10:11], off offset:20 glc dlc
	s_waitcnt vmcnt(0)
	buffer_gl1_inv
	buffer_gl0_inv
	v_and_b32_e32 v0, 1, v0
	s_branch .LBB7_404
.LBB7_409:
	s_and_saveexec_b32 s5, s4
	s_cbranch_execz .LBB7_413
; %bb.410:
	v_mov_b32_e32 v6, 0
	s_clause 0x2
	global_load_dwordx2 v[2:3], v6, s[6:7] offset:40
	global_load_dwordx2 v[7:8], v6, s[6:7] offset:24 glc dlc
	global_load_dwordx2 v[4:5], v6, s[6:7]
	s_waitcnt vmcnt(2)
	v_add_co_u32 v9, vcc_lo, v2, 1
	v_add_co_ci_u32_e32 v10, vcc_lo, 0, v3, vcc_lo
	v_add_co_u32 v0, vcc_lo, v9, s10
	v_add_co_ci_u32_e32 v1, vcc_lo, s11, v10, vcc_lo
	v_cmp_eq_u64_e32 vcc_lo, 0, v[0:1]
	v_cndmask_b32_e32 v1, v1, v10, vcc_lo
	v_cndmask_b32_e32 v0, v0, v9, vcc_lo
	v_and_b32_e32 v3, v1, v3
	v_and_b32_e32 v2, v0, v2
	v_mul_lo_u32 v3, v3, 24
	v_mul_hi_u32 v9, v2, 24
	v_mul_lo_u32 v2, v2, 24
	v_add_nc_u32_e32 v3, v9, v3
	s_waitcnt vmcnt(0)
	v_add_co_u32 v4, vcc_lo, v4, v2
	v_mov_b32_e32 v2, v7
	v_add_co_ci_u32_e32 v5, vcc_lo, v5, v3, vcc_lo
	v_mov_b32_e32 v3, v8
	global_store_dwordx2 v[4:5], v[7:8], off
	s_waitcnt_vscnt null, 0x0
	global_atomic_cmpswap_x2 v[2:3], v6, v[0:3], s[6:7] offset:24 glc
	s_waitcnt vmcnt(0)
	v_cmp_ne_u64_e32 vcc_lo, v[2:3], v[7:8]
	s_and_b32 exec_lo, exec_lo, vcc_lo
	s_cbranch_execz .LBB7_413
; %bb.411:
	s_mov_b32 s4, 0
.LBB7_412:                              ; =>This Inner Loop Header: Depth=1
	s_sleep 1
	global_store_dwordx2 v[4:5], v[2:3], off
	s_waitcnt_vscnt null, 0x0
	global_atomic_cmpswap_x2 v[7:8], v6, v[0:3], s[6:7] offset:24 glc
	s_waitcnt vmcnt(0)
	v_cmp_eq_u64_e32 vcc_lo, v[7:8], v[2:3]
	v_mov_b32_e32 v2, v7
	v_mov_b32_e32 v3, v8
	s_or_b32 s4, vcc_lo, s4
	s_andn2_b32 exec_lo, exec_lo, s4
	s_cbranch_execnz .LBB7_412
.LBB7_413:
	s_or_b32 exec_lo, exec_lo, s5
	v_readfirstlane_b32 s4, v32
	v_mov_b32_e32 v6, 0
	v_mov_b32_e32 v7, 0
	v_cmp_eq_u32_e64 s4, s4, v32
	s_and_saveexec_b32 s5, s4
	s_cbranch_execz .LBB7_419
; %bb.414:
	v_mov_b32_e32 v0, 0
	s_mov_b32 s10, exec_lo
	global_load_dwordx2 v[3:4], v0, s[6:7] offset:24 glc dlc
	s_waitcnt vmcnt(0)
	buffer_gl1_inv
	buffer_gl0_inv
	s_clause 0x1
	global_load_dwordx2 v[1:2], v0, s[6:7] offset:40
	global_load_dwordx2 v[5:6], v0, s[6:7]
	s_waitcnt vmcnt(1)
	v_and_b32_e32 v2, v2, v4
	v_and_b32_e32 v1, v1, v3
	v_mul_lo_u32 v2, v2, 24
	v_mul_hi_u32 v7, v1, 24
	v_mul_lo_u32 v1, v1, 24
	v_add_nc_u32_e32 v2, v7, v2
	s_waitcnt vmcnt(0)
	v_add_co_u32 v1, vcc_lo, v5, v1
	v_add_co_ci_u32_e32 v2, vcc_lo, v6, v2, vcc_lo
	global_load_dwordx2 v[1:2], v[1:2], off glc dlc
	s_waitcnt vmcnt(0)
	global_atomic_cmpswap_x2 v[6:7], v0, v[1:4], s[6:7] offset:24 glc
	s_waitcnt vmcnt(0)
	buffer_gl1_inv
	buffer_gl0_inv
	v_cmpx_ne_u64_e64 v[6:7], v[3:4]
	s_cbranch_execz .LBB7_418
; %bb.415:
	s_mov_b32 s11, 0
	.p2align	6
.LBB7_416:                              ; =>This Inner Loop Header: Depth=1
	s_sleep 1
	s_clause 0x1
	global_load_dwordx2 v[1:2], v0, s[6:7] offset:40
	global_load_dwordx2 v[8:9], v0, s[6:7]
	v_mov_b32_e32 v3, v6
	v_mov_b32_e32 v4, v7
	s_waitcnt vmcnt(1)
	v_and_b32_e32 v1, v1, v3
	v_and_b32_e32 v2, v2, v4
	s_waitcnt vmcnt(0)
	v_mad_u64_u32 v[5:6], null, v1, 24, v[8:9]
	v_mov_b32_e32 v1, v6
	v_mad_u64_u32 v[1:2], null, v2, 24, v[1:2]
	v_mov_b32_e32 v6, v1
	global_load_dwordx2 v[1:2], v[5:6], off glc dlc
	s_waitcnt vmcnt(0)
	global_atomic_cmpswap_x2 v[6:7], v0, v[1:4], s[6:7] offset:24 glc
	s_waitcnt vmcnt(0)
	buffer_gl1_inv
	buffer_gl0_inv
	v_cmp_eq_u64_e32 vcc_lo, v[6:7], v[3:4]
	s_or_b32 s11, vcc_lo, s11
	s_andn2_b32 exec_lo, exec_lo, s11
	s_cbranch_execnz .LBB7_416
; %bb.417:
	s_or_b32 exec_lo, exec_lo, s11
.LBB7_418:
	s_or_b32 exec_lo, exec_lo, s10
.LBB7_419:
	s_or_b32 exec_lo, exec_lo, s5
	v_mov_b32_e32 v5, 0
	v_readfirstlane_b32 s10, v6
	v_readfirstlane_b32 s11, v7
	s_mov_b32 s5, exec_lo
	s_clause 0x1
	global_load_dwordx2 v[8:9], v5, s[6:7] offset:40
	global_load_dwordx4 v[0:3], v5, s[6:7]
	s_waitcnt vmcnt(1)
	v_readfirstlane_b32 s16, v8
	v_readfirstlane_b32 s17, v9
	s_and_b64 s[16:17], s[10:11], s[16:17]
	s_mul_i32 s18, s17, 24
	s_mul_hi_u32 s19, s16, 24
	s_mul_i32 s20, s16, 24
	s_add_i32 s19, s19, s18
	s_waitcnt vmcnt(0)
	v_add_co_u32 v8, vcc_lo, v0, s20
	v_add_co_ci_u32_e32 v9, vcc_lo, s19, v1, vcc_lo
	s_and_saveexec_b32 s18, s4
	s_cbranch_execz .LBB7_421
; %bb.420:
	v_mov_b32_e32 v4, s5
	v_mov_b32_e32 v6, 2
	;; [unrolled: 1-line block ×3, first 2 shown]
	global_store_dwordx4 v[8:9], v[4:7], off offset:8
.LBB7_421:
	s_or_b32 exec_lo, exec_lo, s18
	s_lshl_b64 s[16:17], s[16:17], 12
	v_mov_b32_e32 v4, 33
	v_add_co_u32 v2, vcc_lo, v2, s16
	v_add_co_ci_u32_e32 v3, vcc_lo, s17, v3, vcc_lo
	s_mov_b32 s16, 0
	v_add_co_u32 v10, vcc_lo, v2, v31
	s_mov_b32 s17, s16
	s_mov_b32 s18, s16
	;; [unrolled: 1-line block ×3, first 2 shown]
	v_mov_b32_e32 v6, v5
	v_mov_b32_e32 v7, v5
	v_readfirstlane_b32 s20, v2
	v_readfirstlane_b32 s21, v3
	v_mov_b32_e32 v12, s16
	v_add_co_ci_u32_e32 v11, vcc_lo, 0, v3, vcc_lo
	v_mov_b32_e32 v13, s17
	v_mov_b32_e32 v14, s18
	;; [unrolled: 1-line block ×3, first 2 shown]
	global_store_dwordx4 v31, v[4:7], s[20:21]
	global_store_dwordx4 v31, v[12:15], s[20:21] offset:16
	global_store_dwordx4 v31, v[12:15], s[20:21] offset:32
	;; [unrolled: 1-line block ×3, first 2 shown]
	s_and_saveexec_b32 s5, s4
	s_cbranch_execz .LBB7_429
; %bb.422:
	v_mov_b32_e32 v6, 0
	v_mov_b32_e32 v12, s10
	;; [unrolled: 1-line block ×3, first 2 shown]
	s_clause 0x1
	global_load_dwordx2 v[14:15], v6, s[6:7] offset:32 glc dlc
	global_load_dwordx2 v[2:3], v6, s[6:7] offset:40
	s_waitcnt vmcnt(0)
	v_readfirstlane_b32 s16, v2
	v_readfirstlane_b32 s17, v3
	s_and_b64 s[16:17], s[16:17], s[10:11]
	s_mul_i32 s17, s17, 24
	s_mul_hi_u32 s18, s16, 24
	s_mul_i32 s16, s16, 24
	s_add_i32 s18, s18, s17
	v_add_co_u32 v4, vcc_lo, v0, s16
	v_add_co_ci_u32_e32 v5, vcc_lo, s18, v1, vcc_lo
	s_mov_b32 s16, exec_lo
	global_store_dwordx2 v[4:5], v[14:15], off
	s_waitcnt_vscnt null, 0x0
	global_atomic_cmpswap_x2 v[2:3], v6, v[12:15], s[6:7] offset:32 glc
	s_waitcnt vmcnt(0)
	v_cmpx_ne_u64_e64 v[2:3], v[14:15]
	s_cbranch_execz .LBB7_425
; %bb.423:
	s_mov_b32 s17, 0
.LBB7_424:                              ; =>This Inner Loop Header: Depth=1
	v_mov_b32_e32 v0, s10
	v_mov_b32_e32 v1, s11
	s_sleep 1
	global_store_dwordx2 v[4:5], v[2:3], off
	s_waitcnt_vscnt null, 0x0
	global_atomic_cmpswap_x2 v[0:1], v6, v[0:3], s[6:7] offset:32 glc
	s_waitcnt vmcnt(0)
	v_cmp_eq_u64_e32 vcc_lo, v[0:1], v[2:3]
	v_mov_b32_e32 v3, v1
	v_mov_b32_e32 v2, v0
	s_or_b32 s17, vcc_lo, s17
	s_andn2_b32 exec_lo, exec_lo, s17
	s_cbranch_execnz .LBB7_424
.LBB7_425:
	s_or_b32 exec_lo, exec_lo, s16
	v_mov_b32_e32 v3, 0
	s_mov_b32 s17, exec_lo
	s_mov_b32 s16, exec_lo
	v_mbcnt_lo_u32_b32 v2, s17, 0
	global_load_dwordx2 v[0:1], v3, s[6:7] offset:16
	v_cmpx_eq_u32_e32 0, v2
	s_cbranch_execz .LBB7_427
; %bb.426:
	s_bcnt1_i32_b32 s17, s17
	v_mov_b32_e32 v2, s17
	s_waitcnt vmcnt(0)
	global_atomic_add_x2 v[0:1], v[2:3], off offset:8
.LBB7_427:
	s_or_b32 exec_lo, exec_lo, s16
	s_waitcnt vmcnt(0)
	global_load_dwordx2 v[2:3], v[0:1], off offset:16
	s_waitcnt vmcnt(0)
	v_cmp_eq_u64_e32 vcc_lo, 0, v[2:3]
	s_cbranch_vccnz .LBB7_429
; %bb.428:
	global_load_dword v0, v[0:1], off offset:24
	v_mov_b32_e32 v1, 0
	s_waitcnt vmcnt(0)
	v_and_b32_e32 v4, 0x7fffff, v0
	s_waitcnt_vscnt null, 0x0
	global_store_dwordx2 v[2:3], v[0:1], off
	v_readfirstlane_b32 m0, v4
	s_sendmsg sendmsg(MSG_INTERRUPT)
.LBB7_429:
	s_or_b32 exec_lo, exec_lo, s5
	s_branch .LBB7_433
	.p2align	6
.LBB7_430:                              ;   in Loop: Header=BB7_433 Depth=1
	s_or_b32 exec_lo, exec_lo, s5
	v_readfirstlane_b32 s5, v0
	s_cmp_eq_u32 s5, 0
	s_cbranch_scc1 .LBB7_432
; %bb.431:                              ;   in Loop: Header=BB7_433 Depth=1
	s_sleep 1
	s_cbranch_execnz .LBB7_433
	s_branch .LBB7_435
	.p2align	6
.LBB7_432:
	s_branch .LBB7_435
.LBB7_433:                              ; =>This Inner Loop Header: Depth=1
	v_mov_b32_e32 v0, 1
	s_and_saveexec_b32 s5, s4
	s_cbranch_execz .LBB7_430
; %bb.434:                              ;   in Loop: Header=BB7_433 Depth=1
	global_load_dword v0, v[8:9], off offset:20 glc dlc
	s_waitcnt vmcnt(0)
	buffer_gl1_inv
	buffer_gl0_inv
	v_and_b32_e32 v0, 1, v0
	s_branch .LBB7_430
.LBB7_435:
	global_load_dwordx2 v[4:5], v[10:11], off
	s_and_saveexec_b32 s5, s4
	s_cbranch_execz .LBB7_439
; %bb.436:
	v_mov_b32_e32 v8, 0
	s_clause 0x2
	global_load_dwordx2 v[2:3], v8, s[6:7] offset:40
	global_load_dwordx2 v[9:10], v8, s[6:7] offset:24 glc dlc
	global_load_dwordx2 v[6:7], v8, s[6:7]
	s_waitcnt vmcnt(2)
	v_add_co_u32 v11, vcc_lo, v2, 1
	v_add_co_ci_u32_e32 v12, vcc_lo, 0, v3, vcc_lo
	v_add_co_u32 v0, vcc_lo, v11, s10
	v_add_co_ci_u32_e32 v1, vcc_lo, s11, v12, vcc_lo
	v_cmp_eq_u64_e32 vcc_lo, 0, v[0:1]
	v_cndmask_b32_e32 v1, v1, v12, vcc_lo
	v_cndmask_b32_e32 v0, v0, v11, vcc_lo
	v_and_b32_e32 v3, v1, v3
	v_and_b32_e32 v2, v0, v2
	v_mul_lo_u32 v3, v3, 24
	v_mul_hi_u32 v11, v2, 24
	v_mul_lo_u32 v2, v2, 24
	v_add_nc_u32_e32 v3, v11, v3
	s_waitcnt vmcnt(0)
	v_add_co_u32 v6, vcc_lo, v6, v2
	v_mov_b32_e32 v2, v9
	v_add_co_ci_u32_e32 v7, vcc_lo, v7, v3, vcc_lo
	v_mov_b32_e32 v3, v10
	global_store_dwordx2 v[6:7], v[9:10], off
	s_waitcnt_vscnt null, 0x0
	global_atomic_cmpswap_x2 v[2:3], v8, v[0:3], s[6:7] offset:24 glc
	s_waitcnt vmcnt(0)
	v_cmp_ne_u64_e32 vcc_lo, v[2:3], v[9:10]
	s_and_b32 exec_lo, exec_lo, vcc_lo
	s_cbranch_execz .LBB7_439
; %bb.437:
	s_mov_b32 s4, 0
.LBB7_438:                              ; =>This Inner Loop Header: Depth=1
	s_sleep 1
	global_store_dwordx2 v[6:7], v[2:3], off
	s_waitcnt_vscnt null, 0x0
	global_atomic_cmpswap_x2 v[9:10], v8, v[0:3], s[6:7] offset:24 glc
	s_waitcnt vmcnt(0)
	v_cmp_eq_u64_e32 vcc_lo, v[9:10], v[2:3]
	v_mov_b32_e32 v2, v9
	v_mov_b32_e32 v3, v10
	s_or_b32 s4, vcc_lo, s4
	s_andn2_b32 exec_lo, exec_lo, s4
	s_cbranch_execnz .LBB7_438
.LBB7_439:
	s_or_b32 exec_lo, exec_lo, s5
	s_and_b32 vcc_lo, exec_lo, s15
	s_cbranch_vccz .LBB7_518
; %bb.440:
	s_waitcnt vmcnt(0)
	v_and_b32_e32 v28, 2, v4
	v_mov_b32_e32 v7, 0
	v_and_b32_e32 v0, -3, v4
	v_mov_b32_e32 v1, v5
	v_mov_b32_e32 v8, 2
	v_mov_b32_e32 v9, 1
	s_mov_b64 s[16:17], 3
	s_getpc_b64 s[10:11]
	s_add_u32 s10, s10, .str.5@rel32@lo+4
	s_addc_u32 s11, s11, .str.5@rel32@hi+12
	s_branch .LBB7_442
.LBB7_441:                              ;   in Loop: Header=BB7_442 Depth=1
	s_or_b32 exec_lo, exec_lo, s5
	s_sub_u32 s16, s16, s18
	s_subb_u32 s17, s17, s19
	s_add_u32 s10, s10, s18
	s_addc_u32 s11, s11, s19
	s_cmp_lg_u64 s[16:17], 0
	s_cbranch_scc0 .LBB7_517
.LBB7_442:                              ; =>This Loop Header: Depth=1
                                        ;     Child Loop BB7_451 Depth 2
                                        ;     Child Loop BB7_447 Depth 2
	;; [unrolled: 1-line block ×11, first 2 shown]
	v_cmp_lt_u64_e64 s4, s[16:17], 56
	v_cmp_gt_u64_e64 s5, s[16:17], 7
                                        ; implicit-def: $vgpr2_vgpr3
                                        ; implicit-def: $sgpr25
	s_and_b32 s4, s4, exec_lo
	s_cselect_b32 s19, s17, 0
	s_cselect_b32 s18, s16, 56
	s_and_b32 vcc_lo, exec_lo, s5
	s_mov_b32 s4, -1
	s_cbranch_vccz .LBB7_449
; %bb.443:                              ;   in Loop: Header=BB7_442 Depth=1
	s_andn2_b32 vcc_lo, exec_lo, s4
	s_mov_b64 s[4:5], s[10:11]
	s_cbranch_vccz .LBB7_453
.LBB7_444:                              ;   in Loop: Header=BB7_442 Depth=1
	s_cmp_gt_u32 s25, 7
	s_cbranch_scc1 .LBB7_454
.LBB7_445:                              ;   in Loop: Header=BB7_442 Depth=1
	v_mov_b32_e32 v10, 0
	v_mov_b32_e32 v11, 0
	s_cmp_eq_u32 s25, 0
	s_cbranch_scc1 .LBB7_448
; %bb.446:                              ;   in Loop: Header=BB7_442 Depth=1
	s_mov_b64 s[20:21], 0
	s_mov_b64 s[22:23], 0
.LBB7_447:                              ;   Parent Loop BB7_442 Depth=1
                                        ; =>  This Inner Loop Header: Depth=2
	s_add_u32 s26, s4, s22
	s_addc_u32 s27, s5, s23
	s_add_u32 s22, s22, 1
	global_load_ubyte v6, v7, s[26:27]
	s_addc_u32 s23, s23, 0
	s_waitcnt vmcnt(0)
	v_and_b32_e32 v6, 0xffff, v6
	v_lshlrev_b64 v[12:13], s20, v[6:7]
	s_add_u32 s20, s20, 8
	s_addc_u32 s21, s21, 0
	s_cmp_lg_u32 s25, s22
	v_or_b32_e32 v10, v12, v10
	v_or_b32_e32 v11, v13, v11
	s_cbranch_scc1 .LBB7_447
.LBB7_448:                              ;   in Loop: Header=BB7_442 Depth=1
	s_mov_b32 s26, 0
	s_cbranch_execz .LBB7_455
	s_branch .LBB7_456
.LBB7_449:                              ;   in Loop: Header=BB7_442 Depth=1
	s_waitcnt vmcnt(0)
	v_mov_b32_e32 v2, 0
	v_mov_b32_e32 v3, 0
	s_cmp_eq_u64 s[16:17], 0
	s_mov_b64 s[4:5], 0
	s_cbranch_scc1 .LBB7_452
; %bb.450:                              ;   in Loop: Header=BB7_442 Depth=1
	v_mov_b32_e32 v2, 0
	v_mov_b32_e32 v3, 0
	s_lshl_b64 s[20:21], s[18:19], 3
	s_mov_b64 s[22:23], s[10:11]
.LBB7_451:                              ;   Parent Loop BB7_442 Depth=1
                                        ; =>  This Inner Loop Header: Depth=2
	global_load_ubyte v6, v7, s[22:23]
	s_waitcnt vmcnt(0)
	v_and_b32_e32 v6, 0xffff, v6
	v_lshlrev_b64 v[10:11], s4, v[6:7]
	s_add_u32 s4, s4, 8
	s_addc_u32 s5, s5, 0
	s_add_u32 s22, s22, 1
	s_addc_u32 s23, s23, 0
	s_cmp_lg_u32 s20, s4
	v_or_b32_e32 v2, v10, v2
	v_or_b32_e32 v3, v11, v3
	s_cbranch_scc1 .LBB7_451
.LBB7_452:                              ;   in Loop: Header=BB7_442 Depth=1
	s_mov_b32 s25, 0
	s_mov_b64 s[4:5], s[10:11]
	s_cbranch_execnz .LBB7_444
.LBB7_453:                              ;   in Loop: Header=BB7_442 Depth=1
	global_load_dwordx2 v[2:3], v7, s[10:11]
	s_add_i32 s25, s18, -8
	s_add_u32 s4, s10, 8
	s_addc_u32 s5, s11, 0
	s_cmp_gt_u32 s25, 7
	s_cbranch_scc0 .LBB7_445
.LBB7_454:                              ;   in Loop: Header=BB7_442 Depth=1
                                        ; implicit-def: $vgpr10_vgpr11
                                        ; implicit-def: $sgpr26
.LBB7_455:                              ;   in Loop: Header=BB7_442 Depth=1
	global_load_dwordx2 v[10:11], v7, s[4:5]
	s_add_i32 s26, s25, -8
	s_add_u32 s4, s4, 8
	s_addc_u32 s5, s5, 0
.LBB7_456:                              ;   in Loop: Header=BB7_442 Depth=1
	s_cmp_gt_u32 s26, 7
	s_cbranch_scc1 .LBB7_461
; %bb.457:                              ;   in Loop: Header=BB7_442 Depth=1
	v_mov_b32_e32 v12, 0
	v_mov_b32_e32 v13, 0
	s_cmp_eq_u32 s26, 0
	s_cbranch_scc1 .LBB7_460
; %bb.458:                              ;   in Loop: Header=BB7_442 Depth=1
	s_mov_b64 s[20:21], 0
	s_mov_b64 s[22:23], 0
.LBB7_459:                              ;   Parent Loop BB7_442 Depth=1
                                        ; =>  This Inner Loop Header: Depth=2
	s_add_u32 s28, s4, s22
	s_addc_u32 s29, s5, s23
	s_add_u32 s22, s22, 1
	global_load_ubyte v6, v7, s[28:29]
	s_addc_u32 s23, s23, 0
	s_waitcnt vmcnt(0)
	v_and_b32_e32 v6, 0xffff, v6
	v_lshlrev_b64 v[14:15], s20, v[6:7]
	s_add_u32 s20, s20, 8
	s_addc_u32 s21, s21, 0
	s_cmp_lg_u32 s26, s22
	v_or_b32_e32 v12, v14, v12
	v_or_b32_e32 v13, v15, v13
	s_cbranch_scc1 .LBB7_459
.LBB7_460:                              ;   in Loop: Header=BB7_442 Depth=1
	s_mov_b32 s25, 0
	s_cbranch_execz .LBB7_462
	s_branch .LBB7_463
.LBB7_461:                              ;   in Loop: Header=BB7_442 Depth=1
                                        ; implicit-def: $sgpr25
.LBB7_462:                              ;   in Loop: Header=BB7_442 Depth=1
	global_load_dwordx2 v[12:13], v7, s[4:5]
	s_add_i32 s25, s26, -8
	s_add_u32 s4, s4, 8
	s_addc_u32 s5, s5, 0
.LBB7_463:                              ;   in Loop: Header=BB7_442 Depth=1
	s_cmp_gt_u32 s25, 7
	s_cbranch_scc1 .LBB7_468
; %bb.464:                              ;   in Loop: Header=BB7_442 Depth=1
	v_mov_b32_e32 v14, 0
	v_mov_b32_e32 v15, 0
	s_cmp_eq_u32 s25, 0
	s_cbranch_scc1 .LBB7_467
; %bb.465:                              ;   in Loop: Header=BB7_442 Depth=1
	s_mov_b64 s[20:21], 0
	s_mov_b64 s[22:23], 0
.LBB7_466:                              ;   Parent Loop BB7_442 Depth=1
                                        ; =>  This Inner Loop Header: Depth=2
	s_add_u32 s26, s4, s22
	s_addc_u32 s27, s5, s23
	s_add_u32 s22, s22, 1
	global_load_ubyte v6, v7, s[26:27]
	s_addc_u32 s23, s23, 0
	s_waitcnt vmcnt(0)
	v_and_b32_e32 v6, 0xffff, v6
	v_lshlrev_b64 v[16:17], s20, v[6:7]
	s_add_u32 s20, s20, 8
	s_addc_u32 s21, s21, 0
	s_cmp_lg_u32 s25, s22
	v_or_b32_e32 v14, v16, v14
	v_or_b32_e32 v15, v17, v15
	s_cbranch_scc1 .LBB7_466
.LBB7_467:                              ;   in Loop: Header=BB7_442 Depth=1
	s_mov_b32 s26, 0
	s_cbranch_execz .LBB7_469
	s_branch .LBB7_470
.LBB7_468:                              ;   in Loop: Header=BB7_442 Depth=1
                                        ; implicit-def: $vgpr14_vgpr15
                                        ; implicit-def: $sgpr26
.LBB7_469:                              ;   in Loop: Header=BB7_442 Depth=1
	global_load_dwordx2 v[14:15], v7, s[4:5]
	s_add_i32 s26, s25, -8
	s_add_u32 s4, s4, 8
	s_addc_u32 s5, s5, 0
.LBB7_470:                              ;   in Loop: Header=BB7_442 Depth=1
	s_cmp_gt_u32 s26, 7
	s_cbranch_scc1 .LBB7_475
; %bb.471:                              ;   in Loop: Header=BB7_442 Depth=1
	v_mov_b32_e32 v16, 0
	v_mov_b32_e32 v17, 0
	s_cmp_eq_u32 s26, 0
	s_cbranch_scc1 .LBB7_474
; %bb.472:                              ;   in Loop: Header=BB7_442 Depth=1
	s_mov_b64 s[20:21], 0
	s_mov_b64 s[22:23], 0
.LBB7_473:                              ;   Parent Loop BB7_442 Depth=1
                                        ; =>  This Inner Loop Header: Depth=2
	s_add_u32 s28, s4, s22
	s_addc_u32 s29, s5, s23
	s_add_u32 s22, s22, 1
	global_load_ubyte v6, v7, s[28:29]
	s_addc_u32 s23, s23, 0
	s_waitcnt vmcnt(0)
	v_and_b32_e32 v6, 0xffff, v6
	v_lshlrev_b64 v[18:19], s20, v[6:7]
	s_add_u32 s20, s20, 8
	s_addc_u32 s21, s21, 0
	s_cmp_lg_u32 s26, s22
	v_or_b32_e32 v16, v18, v16
	v_or_b32_e32 v17, v19, v17
	s_cbranch_scc1 .LBB7_473
.LBB7_474:                              ;   in Loop: Header=BB7_442 Depth=1
	s_mov_b32 s25, 0
	s_cbranch_execz .LBB7_476
	s_branch .LBB7_477
.LBB7_475:                              ;   in Loop: Header=BB7_442 Depth=1
                                        ; implicit-def: $sgpr25
.LBB7_476:                              ;   in Loop: Header=BB7_442 Depth=1
	global_load_dwordx2 v[16:17], v7, s[4:5]
	s_add_i32 s25, s26, -8
	s_add_u32 s4, s4, 8
	s_addc_u32 s5, s5, 0
.LBB7_477:                              ;   in Loop: Header=BB7_442 Depth=1
	s_cmp_gt_u32 s25, 7
	s_cbranch_scc1 .LBB7_482
; %bb.478:                              ;   in Loop: Header=BB7_442 Depth=1
	v_mov_b32_e32 v18, 0
	v_mov_b32_e32 v19, 0
	s_cmp_eq_u32 s25, 0
	s_cbranch_scc1 .LBB7_481
; %bb.479:                              ;   in Loop: Header=BB7_442 Depth=1
	s_mov_b64 s[20:21], 0
	s_mov_b64 s[22:23], 0
.LBB7_480:                              ;   Parent Loop BB7_442 Depth=1
                                        ; =>  This Inner Loop Header: Depth=2
	s_add_u32 s26, s4, s22
	s_addc_u32 s27, s5, s23
	s_add_u32 s22, s22, 1
	global_load_ubyte v6, v7, s[26:27]
	s_addc_u32 s23, s23, 0
	s_waitcnt vmcnt(0)
	v_and_b32_e32 v6, 0xffff, v6
	v_lshlrev_b64 v[20:21], s20, v[6:7]
	s_add_u32 s20, s20, 8
	s_addc_u32 s21, s21, 0
	s_cmp_lg_u32 s25, s22
	v_or_b32_e32 v18, v20, v18
	v_or_b32_e32 v19, v21, v19
	s_cbranch_scc1 .LBB7_480
.LBB7_481:                              ;   in Loop: Header=BB7_442 Depth=1
	s_mov_b32 s26, 0
	s_cbranch_execz .LBB7_483
	s_branch .LBB7_484
.LBB7_482:                              ;   in Loop: Header=BB7_442 Depth=1
                                        ; implicit-def: $vgpr18_vgpr19
                                        ; implicit-def: $sgpr26
.LBB7_483:                              ;   in Loop: Header=BB7_442 Depth=1
	global_load_dwordx2 v[18:19], v7, s[4:5]
	s_add_i32 s26, s25, -8
	s_add_u32 s4, s4, 8
	s_addc_u32 s5, s5, 0
.LBB7_484:                              ;   in Loop: Header=BB7_442 Depth=1
	s_cmp_gt_u32 s26, 7
	s_cbranch_scc1 .LBB7_489
; %bb.485:                              ;   in Loop: Header=BB7_442 Depth=1
	v_mov_b32_e32 v20, 0
	v_mov_b32_e32 v21, 0
	s_cmp_eq_u32 s26, 0
	s_cbranch_scc1 .LBB7_488
; %bb.486:                              ;   in Loop: Header=BB7_442 Depth=1
	s_mov_b64 s[20:21], 0
	s_mov_b64 s[22:23], s[4:5]
.LBB7_487:                              ;   Parent Loop BB7_442 Depth=1
                                        ; =>  This Inner Loop Header: Depth=2
	global_load_ubyte v6, v7, s[22:23]
	s_add_i32 s26, s26, -1
	s_waitcnt vmcnt(0)
	v_and_b32_e32 v6, 0xffff, v6
	v_lshlrev_b64 v[22:23], s20, v[6:7]
	s_add_u32 s20, s20, 8
	s_addc_u32 s21, s21, 0
	s_add_u32 s22, s22, 1
	s_addc_u32 s23, s23, 0
	s_cmp_lg_u32 s26, 0
	v_or_b32_e32 v20, v22, v20
	v_or_b32_e32 v21, v23, v21
	s_cbranch_scc1 .LBB7_487
.LBB7_488:                              ;   in Loop: Header=BB7_442 Depth=1
	s_cbranch_execz .LBB7_490
	s_branch .LBB7_491
.LBB7_489:                              ;   in Loop: Header=BB7_442 Depth=1
.LBB7_490:                              ;   in Loop: Header=BB7_442 Depth=1
	global_load_dwordx2 v[20:21], v7, s[4:5]
.LBB7_491:                              ;   in Loop: Header=BB7_442 Depth=1
	v_readfirstlane_b32 s4, v32
	v_mov_b32_e32 v26, 0
	v_mov_b32_e32 v27, 0
	v_cmp_eq_u32_e64 s4, s4, v32
	s_and_saveexec_b32 s5, s4
	s_cbranch_execz .LBB7_497
; %bb.492:                              ;   in Loop: Header=BB7_442 Depth=1
	global_load_dwordx2 v[24:25], v7, s[6:7] offset:24 glc dlc
	s_waitcnt vmcnt(0)
	buffer_gl1_inv
	buffer_gl0_inv
	s_clause 0x1
	global_load_dwordx2 v[22:23], v7, s[6:7] offset:40
	global_load_dwordx2 v[26:27], v7, s[6:7]
	s_mov_b32 s20, exec_lo
	s_waitcnt vmcnt(1)
	v_and_b32_e32 v6, v23, v25
	v_and_b32_e32 v22, v22, v24
	v_mul_lo_u32 v6, v6, 24
	v_mul_hi_u32 v23, v22, 24
	v_mul_lo_u32 v22, v22, 24
	v_add_nc_u32_e32 v6, v23, v6
	s_waitcnt vmcnt(0)
	v_add_co_u32 v22, vcc_lo, v26, v22
	v_add_co_ci_u32_e32 v23, vcc_lo, v27, v6, vcc_lo
	global_load_dwordx2 v[22:23], v[22:23], off glc dlc
	s_waitcnt vmcnt(0)
	global_atomic_cmpswap_x2 v[26:27], v7, v[22:25], s[6:7] offset:24 glc
	s_waitcnt vmcnt(0)
	buffer_gl1_inv
	buffer_gl0_inv
	v_cmpx_ne_u64_e64 v[26:27], v[24:25]
	s_cbranch_execz .LBB7_496
; %bb.493:                              ;   in Loop: Header=BB7_442 Depth=1
	s_mov_b32 s21, 0
	.p2align	6
.LBB7_494:                              ;   Parent Loop BB7_442 Depth=1
                                        ; =>  This Inner Loop Header: Depth=2
	s_sleep 1
	s_clause 0x1
	global_load_dwordx2 v[22:23], v7, s[6:7] offset:40
	global_load_dwordx2 v[29:30], v7, s[6:7]
	v_mov_b32_e32 v24, v26
	v_mov_b32_e32 v25, v27
	s_waitcnt vmcnt(1)
	v_and_b32_e32 v6, v22, v24
	v_and_b32_e32 v22, v23, v25
	s_waitcnt vmcnt(0)
	v_mad_u64_u32 v[26:27], null, v6, 24, v[29:30]
	v_mov_b32_e32 v6, v27
	v_mad_u64_u32 v[22:23], null, v22, 24, v[6:7]
	v_mov_b32_e32 v27, v22
	global_load_dwordx2 v[22:23], v[26:27], off glc dlc
	s_waitcnt vmcnt(0)
	global_atomic_cmpswap_x2 v[26:27], v7, v[22:25], s[6:7] offset:24 glc
	s_waitcnt vmcnt(0)
	buffer_gl1_inv
	buffer_gl0_inv
	v_cmp_eq_u64_e32 vcc_lo, v[26:27], v[24:25]
	s_or_b32 s21, vcc_lo, s21
	s_andn2_b32 exec_lo, exec_lo, s21
	s_cbranch_execnz .LBB7_494
; %bb.495:                              ;   in Loop: Header=BB7_442 Depth=1
	s_or_b32 exec_lo, exec_lo, s21
.LBB7_496:                              ;   in Loop: Header=BB7_442 Depth=1
	s_or_b32 exec_lo, exec_lo, s20
.LBB7_497:                              ;   in Loop: Header=BB7_442 Depth=1
	s_or_b32 exec_lo, exec_lo, s5
	s_clause 0x1
	global_load_dwordx2 v[29:30], v7, s[6:7] offset:40
	global_load_dwordx4 v[22:25], v7, s[6:7]
	v_readfirstlane_b32 s20, v26
	v_readfirstlane_b32 s21, v27
	s_mov_b32 s5, exec_lo
	s_waitcnt vmcnt(1)
	v_readfirstlane_b32 s22, v29
	v_readfirstlane_b32 s23, v30
	s_and_b64 s[22:23], s[20:21], s[22:23]
	s_mul_i32 s25, s23, 24
	s_mul_hi_u32 s26, s22, 24
	s_mul_i32 s27, s22, 24
	s_add_i32 s26, s26, s25
	s_waitcnt vmcnt(0)
	v_add_co_u32 v26, vcc_lo, v22, s27
	v_add_co_ci_u32_e32 v27, vcc_lo, s26, v23, vcc_lo
	s_and_saveexec_b32 s25, s4
	s_cbranch_execz .LBB7_499
; %bb.498:                              ;   in Loop: Header=BB7_442 Depth=1
	v_mov_b32_e32 v6, s5
	global_store_dwordx4 v[26:27], v[6:9], off offset:8
.LBB7_499:                              ;   in Loop: Header=BB7_442 Depth=1
	s_or_b32 exec_lo, exec_lo, s25
	s_lshl_b64 s[22:23], s[22:23], 12
	v_cmp_gt_u64_e64 vcc_lo, s[16:17], 56
	v_or_b32_e32 v29, v0, v28
	v_add_co_u32 v24, s5, v24, s22
	v_add_co_ci_u32_e64 v25, s5, s23, v25, s5
	s_lshl_b32 s5, s18, 2
	v_or_b32_e32 v6, 0, v1
	v_cndmask_b32_e32 v0, v29, v0, vcc_lo
	s_add_i32 s5, s5, 28
	v_readfirstlane_b32 s22, v24
	s_and_b32 s5, s5, 0x1e0
	v_cndmask_b32_e32 v1, v6, v1, vcc_lo
	v_readfirstlane_b32 s23, v25
	v_and_or_b32 v0, 0xffffff1f, v0, s5
	global_store_dwordx4 v31, v[0:3], s[22:23]
	global_store_dwordx4 v31, v[10:13], s[22:23] offset:16
	global_store_dwordx4 v31, v[14:17], s[22:23] offset:32
	;; [unrolled: 1-line block ×3, first 2 shown]
	s_and_saveexec_b32 s5, s4
	s_cbranch_execz .LBB7_507
; %bb.500:                              ;   in Loop: Header=BB7_442 Depth=1
	s_clause 0x1
	global_load_dwordx2 v[14:15], v7, s[6:7] offset:32 glc dlc
	global_load_dwordx2 v[0:1], v7, s[6:7] offset:40
	v_mov_b32_e32 v12, s20
	v_mov_b32_e32 v13, s21
	s_waitcnt vmcnt(0)
	v_readfirstlane_b32 s22, v0
	v_readfirstlane_b32 s23, v1
	s_and_b64 s[22:23], s[22:23], s[20:21]
	s_mul_i32 s23, s23, 24
	s_mul_hi_u32 s25, s22, 24
	s_mul_i32 s22, s22, 24
	s_add_i32 s25, s25, s23
	v_add_co_u32 v10, vcc_lo, v22, s22
	v_add_co_ci_u32_e32 v11, vcc_lo, s25, v23, vcc_lo
	s_mov_b32 s22, exec_lo
	global_store_dwordx2 v[10:11], v[14:15], off
	s_waitcnt_vscnt null, 0x0
	global_atomic_cmpswap_x2 v[2:3], v7, v[12:15], s[6:7] offset:32 glc
	s_waitcnt vmcnt(0)
	v_cmpx_ne_u64_e64 v[2:3], v[14:15]
	s_cbranch_execz .LBB7_503
; %bb.501:                              ;   in Loop: Header=BB7_442 Depth=1
	s_mov_b32 s23, 0
.LBB7_502:                              ;   Parent Loop BB7_442 Depth=1
                                        ; =>  This Inner Loop Header: Depth=2
	v_mov_b32_e32 v0, s20
	v_mov_b32_e32 v1, s21
	s_sleep 1
	global_store_dwordx2 v[10:11], v[2:3], off
	s_waitcnt_vscnt null, 0x0
	global_atomic_cmpswap_x2 v[0:1], v7, v[0:3], s[6:7] offset:32 glc
	s_waitcnt vmcnt(0)
	v_cmp_eq_u64_e32 vcc_lo, v[0:1], v[2:3]
	v_mov_b32_e32 v3, v1
	v_mov_b32_e32 v2, v0
	s_or_b32 s23, vcc_lo, s23
	s_andn2_b32 exec_lo, exec_lo, s23
	s_cbranch_execnz .LBB7_502
.LBB7_503:                              ;   in Loop: Header=BB7_442 Depth=1
	s_or_b32 exec_lo, exec_lo, s22
	global_load_dwordx2 v[0:1], v7, s[6:7] offset:16
	s_mov_b32 s23, exec_lo
	s_mov_b32 s22, exec_lo
	v_mbcnt_lo_u32_b32 v2, s23, 0
	v_cmpx_eq_u32_e32 0, v2
	s_cbranch_execz .LBB7_505
; %bb.504:                              ;   in Loop: Header=BB7_442 Depth=1
	s_bcnt1_i32_b32 s23, s23
	v_mov_b32_e32 v6, s23
	s_waitcnt vmcnt(0)
	global_atomic_add_x2 v[0:1], v[6:7], off offset:8
.LBB7_505:                              ;   in Loop: Header=BB7_442 Depth=1
	s_or_b32 exec_lo, exec_lo, s22
	s_waitcnt vmcnt(0)
	global_load_dwordx2 v[2:3], v[0:1], off offset:16
	s_waitcnt vmcnt(0)
	v_cmp_eq_u64_e32 vcc_lo, 0, v[2:3]
	s_cbranch_vccnz .LBB7_507
; %bb.506:                              ;   in Loop: Header=BB7_442 Depth=1
	global_load_dword v6, v[0:1], off offset:24
	s_waitcnt vmcnt(0)
	v_and_b32_e32 v0, 0x7fffff, v6
	s_waitcnt_vscnt null, 0x0
	global_store_dwordx2 v[2:3], v[6:7], off
	v_readfirstlane_b32 m0, v0
	s_sendmsg sendmsg(MSG_INTERRUPT)
.LBB7_507:                              ;   in Loop: Header=BB7_442 Depth=1
	s_or_b32 exec_lo, exec_lo, s5
	v_add_co_u32 v0, vcc_lo, v24, v31
	v_add_co_ci_u32_e32 v1, vcc_lo, 0, v25, vcc_lo
	s_branch .LBB7_511
	.p2align	6
.LBB7_508:                              ;   in Loop: Header=BB7_511 Depth=2
	s_or_b32 exec_lo, exec_lo, s5
	v_readfirstlane_b32 s5, v2
	s_cmp_eq_u32 s5, 0
	s_cbranch_scc1 .LBB7_510
; %bb.509:                              ;   in Loop: Header=BB7_511 Depth=2
	s_sleep 1
	s_cbranch_execnz .LBB7_511
	s_branch .LBB7_513
	.p2align	6
.LBB7_510:                              ;   in Loop: Header=BB7_442 Depth=1
	s_branch .LBB7_513
.LBB7_511:                              ;   Parent Loop BB7_442 Depth=1
                                        ; =>  This Inner Loop Header: Depth=2
	v_mov_b32_e32 v2, 1
	s_and_saveexec_b32 s5, s4
	s_cbranch_execz .LBB7_508
; %bb.512:                              ;   in Loop: Header=BB7_511 Depth=2
	global_load_dword v2, v[26:27], off offset:20 glc dlc
	s_waitcnt vmcnt(0)
	buffer_gl1_inv
	buffer_gl0_inv
	v_and_b32_e32 v2, 1, v2
	s_branch .LBB7_508
.LBB7_513:                              ;   in Loop: Header=BB7_442 Depth=1
	global_load_dwordx4 v[0:3], v[0:1], off
	s_and_saveexec_b32 s5, s4
	s_cbranch_execz .LBB7_441
; %bb.514:                              ;   in Loop: Header=BB7_442 Depth=1
	s_clause 0x2
	global_load_dwordx2 v[2:3], v7, s[6:7] offset:40
	global_load_dwordx2 v[14:15], v7, s[6:7] offset:24 glc dlc
	global_load_dwordx2 v[12:13], v7, s[6:7]
	s_waitcnt vmcnt(2)
	v_add_co_u32 v6, vcc_lo, v2, 1
	v_add_co_ci_u32_e32 v16, vcc_lo, 0, v3, vcc_lo
	v_add_co_u32 v10, vcc_lo, v6, s20
	v_add_co_ci_u32_e32 v11, vcc_lo, s21, v16, vcc_lo
	v_cmp_eq_u64_e32 vcc_lo, 0, v[10:11]
	v_cndmask_b32_e32 v11, v11, v16, vcc_lo
	v_cndmask_b32_e32 v10, v10, v6, vcc_lo
	v_and_b32_e32 v3, v11, v3
	v_and_b32_e32 v2, v10, v2
	v_mul_lo_u32 v3, v3, 24
	v_mul_hi_u32 v6, v2, 24
	v_mul_lo_u32 v2, v2, 24
	v_add_nc_u32_e32 v3, v6, v3
	s_waitcnt vmcnt(0)
	v_add_co_u32 v2, vcc_lo, v12, v2
	v_mov_b32_e32 v12, v14
	v_add_co_ci_u32_e32 v3, vcc_lo, v13, v3, vcc_lo
	v_mov_b32_e32 v13, v15
	global_store_dwordx2 v[2:3], v[14:15], off
	s_waitcnt_vscnt null, 0x0
	global_atomic_cmpswap_x2 v[12:13], v7, v[10:13], s[6:7] offset:24 glc
	s_waitcnt vmcnt(0)
	v_cmp_ne_u64_e32 vcc_lo, v[12:13], v[14:15]
	s_and_b32 exec_lo, exec_lo, vcc_lo
	s_cbranch_execz .LBB7_441
; %bb.515:                              ;   in Loop: Header=BB7_442 Depth=1
	s_mov_b32 s4, 0
.LBB7_516:                              ;   Parent Loop BB7_442 Depth=1
                                        ; =>  This Inner Loop Header: Depth=2
	s_sleep 1
	global_store_dwordx2 v[2:3], v[12:13], off
	s_waitcnt_vscnt null, 0x0
	global_atomic_cmpswap_x2 v[14:15], v7, v[10:13], s[6:7] offset:24 glc
	s_waitcnt vmcnt(0)
	v_cmp_eq_u64_e32 vcc_lo, v[14:15], v[12:13]
	v_mov_b32_e32 v12, v14
	v_mov_b32_e32 v13, v15
	s_or_b32 s4, vcc_lo, s4
	s_andn2_b32 exec_lo, exec_lo, s4
	s_cbranch_execnz .LBB7_516
	s_branch .LBB7_441
.LBB7_517:
	s_branch .LBB7_546
.LBB7_518:
                                        ; implicit-def: $vgpr0_vgpr1
	s_cbranch_execz .LBB7_546
; %bb.519:
	v_readfirstlane_b32 s4, v32
	v_mov_b32_e32 v7, 0
	v_mov_b32_e32 v8, 0
	v_cmp_eq_u32_e64 s4, s4, v32
	s_and_saveexec_b32 s5, s4
	s_cbranch_execz .LBB7_525
; %bb.520:
	s_waitcnt vmcnt(0)
	v_mov_b32_e32 v0, 0
	s_mov_b32 s10, exec_lo
	global_load_dwordx2 v[9:10], v0, s[6:7] offset:24 glc dlc
	s_waitcnt vmcnt(0)
	buffer_gl1_inv
	buffer_gl0_inv
	s_clause 0x1
	global_load_dwordx2 v[1:2], v0, s[6:7] offset:40
	global_load_dwordx2 v[6:7], v0, s[6:7]
	s_waitcnt vmcnt(1)
	v_and_b32_e32 v2, v2, v10
	v_and_b32_e32 v1, v1, v9
	v_mul_lo_u32 v2, v2, 24
	v_mul_hi_u32 v3, v1, 24
	v_mul_lo_u32 v1, v1, 24
	v_add_nc_u32_e32 v2, v3, v2
	s_waitcnt vmcnt(0)
	v_add_co_u32 v1, vcc_lo, v6, v1
	v_add_co_ci_u32_e32 v2, vcc_lo, v7, v2, vcc_lo
	global_load_dwordx2 v[7:8], v[1:2], off glc dlc
	s_waitcnt vmcnt(0)
	global_atomic_cmpswap_x2 v[7:8], v0, v[7:10], s[6:7] offset:24 glc
	s_waitcnt vmcnt(0)
	buffer_gl1_inv
	buffer_gl0_inv
	v_cmpx_ne_u64_e64 v[7:8], v[9:10]
	s_cbranch_execz .LBB7_524
; %bb.521:
	s_mov_b32 s11, 0
	.p2align	6
.LBB7_522:                              ; =>This Inner Loop Header: Depth=1
	s_sleep 1
	s_clause 0x1
	global_load_dwordx2 v[1:2], v0, s[6:7] offset:40
	global_load_dwordx2 v[11:12], v0, s[6:7]
	v_mov_b32_e32 v10, v8
	v_mov_b32_e32 v9, v7
	s_waitcnt vmcnt(1)
	v_and_b32_e32 v1, v1, v9
	v_and_b32_e32 v2, v2, v10
	s_waitcnt vmcnt(0)
	v_mad_u64_u32 v[6:7], null, v1, 24, v[11:12]
	v_mov_b32_e32 v1, v7
	v_mad_u64_u32 v[1:2], null, v2, 24, v[1:2]
	v_mov_b32_e32 v7, v1
	global_load_dwordx2 v[7:8], v[6:7], off glc dlc
	s_waitcnt vmcnt(0)
	global_atomic_cmpswap_x2 v[7:8], v0, v[7:10], s[6:7] offset:24 glc
	s_waitcnt vmcnt(0)
	buffer_gl1_inv
	buffer_gl0_inv
	v_cmp_eq_u64_e32 vcc_lo, v[7:8], v[9:10]
	s_or_b32 s11, vcc_lo, s11
	s_andn2_b32 exec_lo, exec_lo, s11
	s_cbranch_execnz .LBB7_522
; %bb.523:
	s_or_b32 exec_lo, exec_lo, s11
.LBB7_524:
	s_or_b32 exec_lo, exec_lo, s10
.LBB7_525:
	s_or_b32 exec_lo, exec_lo, s5
	v_mov_b32_e32 v6, 0
	v_readfirstlane_b32 s10, v7
	v_readfirstlane_b32 s11, v8
	s_mov_b32 s5, exec_lo
	s_clause 0x1
	global_load_dwordx2 v[9:10], v6, s[6:7] offset:40
	global_load_dwordx4 v[0:3], v6, s[6:7]
	s_waitcnt vmcnt(1)
	v_readfirstlane_b32 s16, v9
	v_readfirstlane_b32 s17, v10
	s_and_b64 s[16:17], s[10:11], s[16:17]
	s_mul_i32 s18, s17, 24
	s_mul_hi_u32 s19, s16, 24
	s_mul_i32 s20, s16, 24
	s_add_i32 s19, s19, s18
	s_waitcnt vmcnt(0)
	v_add_co_u32 v8, vcc_lo, v0, s20
	v_add_co_ci_u32_e32 v9, vcc_lo, s19, v1, vcc_lo
	s_and_saveexec_b32 s18, s4
	s_cbranch_execz .LBB7_527
; %bb.526:
	v_mov_b32_e32 v10, s5
	v_mov_b32_e32 v11, v6
	;; [unrolled: 1-line block ×4, first 2 shown]
	global_store_dwordx4 v[8:9], v[10:13], off offset:8
.LBB7_527:
	s_or_b32 exec_lo, exec_lo, s18
	s_lshl_b64 s[16:17], s[16:17], 12
	v_and_or_b32 v4, 0xffffff1f, v4, 32
	v_add_co_u32 v2, vcc_lo, v2, s16
	v_add_co_ci_u32_e32 v3, vcc_lo, s17, v3, vcc_lo
	s_mov_b32 s16, 0
	v_add_co_u32 v10, vcc_lo, v2, v31
	s_mov_b32 s17, s16
	s_mov_b32 s18, s16
	;; [unrolled: 1-line block ×3, first 2 shown]
	v_mov_b32_e32 v7, v6
	v_readfirstlane_b32 s20, v2
	v_readfirstlane_b32 s21, v3
	v_mov_b32_e32 v12, s16
	v_add_co_ci_u32_e32 v11, vcc_lo, 0, v3, vcc_lo
	v_mov_b32_e32 v13, s17
	v_mov_b32_e32 v14, s18
	;; [unrolled: 1-line block ×3, first 2 shown]
	global_store_dwordx4 v31, v[4:7], s[20:21]
	global_store_dwordx4 v31, v[12:15], s[20:21] offset:16
	global_store_dwordx4 v31, v[12:15], s[20:21] offset:32
	global_store_dwordx4 v31, v[12:15], s[20:21] offset:48
	s_and_saveexec_b32 s5, s4
	s_cbranch_execz .LBB7_535
; %bb.528:
	v_mov_b32_e32 v6, 0
	v_mov_b32_e32 v12, s10
	;; [unrolled: 1-line block ×3, first 2 shown]
	s_clause 0x1
	global_load_dwordx2 v[14:15], v6, s[6:7] offset:32 glc dlc
	global_load_dwordx2 v[2:3], v6, s[6:7] offset:40
	s_waitcnt vmcnt(0)
	v_readfirstlane_b32 s16, v2
	v_readfirstlane_b32 s17, v3
	s_and_b64 s[16:17], s[16:17], s[10:11]
	s_mul_i32 s17, s17, 24
	s_mul_hi_u32 s18, s16, 24
	s_mul_i32 s16, s16, 24
	s_add_i32 s18, s18, s17
	v_add_co_u32 v4, vcc_lo, v0, s16
	v_add_co_ci_u32_e32 v5, vcc_lo, s18, v1, vcc_lo
	s_mov_b32 s16, exec_lo
	global_store_dwordx2 v[4:5], v[14:15], off
	s_waitcnt_vscnt null, 0x0
	global_atomic_cmpswap_x2 v[2:3], v6, v[12:15], s[6:7] offset:32 glc
	s_waitcnt vmcnt(0)
	v_cmpx_ne_u64_e64 v[2:3], v[14:15]
	s_cbranch_execz .LBB7_531
; %bb.529:
	s_mov_b32 s17, 0
.LBB7_530:                              ; =>This Inner Loop Header: Depth=1
	v_mov_b32_e32 v0, s10
	v_mov_b32_e32 v1, s11
	s_sleep 1
	global_store_dwordx2 v[4:5], v[2:3], off
	s_waitcnt_vscnt null, 0x0
	global_atomic_cmpswap_x2 v[0:1], v6, v[0:3], s[6:7] offset:32 glc
	s_waitcnt vmcnt(0)
	v_cmp_eq_u64_e32 vcc_lo, v[0:1], v[2:3]
	v_mov_b32_e32 v3, v1
	v_mov_b32_e32 v2, v0
	s_or_b32 s17, vcc_lo, s17
	s_andn2_b32 exec_lo, exec_lo, s17
	s_cbranch_execnz .LBB7_530
.LBB7_531:
	s_or_b32 exec_lo, exec_lo, s16
	v_mov_b32_e32 v3, 0
	s_mov_b32 s17, exec_lo
	s_mov_b32 s16, exec_lo
	v_mbcnt_lo_u32_b32 v2, s17, 0
	global_load_dwordx2 v[0:1], v3, s[6:7] offset:16
	v_cmpx_eq_u32_e32 0, v2
	s_cbranch_execz .LBB7_533
; %bb.532:
	s_bcnt1_i32_b32 s17, s17
	v_mov_b32_e32 v2, s17
	s_waitcnt vmcnt(0)
	global_atomic_add_x2 v[0:1], v[2:3], off offset:8
.LBB7_533:
	s_or_b32 exec_lo, exec_lo, s16
	s_waitcnt vmcnt(0)
	global_load_dwordx2 v[2:3], v[0:1], off offset:16
	s_waitcnt vmcnt(0)
	v_cmp_eq_u64_e32 vcc_lo, 0, v[2:3]
	s_cbranch_vccnz .LBB7_535
; %bb.534:
	global_load_dword v0, v[0:1], off offset:24
	v_mov_b32_e32 v1, 0
	s_waitcnt vmcnt(0)
	v_and_b32_e32 v4, 0x7fffff, v0
	s_waitcnt_vscnt null, 0x0
	global_store_dwordx2 v[2:3], v[0:1], off
	v_readfirstlane_b32 m0, v4
	s_sendmsg sendmsg(MSG_INTERRUPT)
.LBB7_535:
	s_or_b32 exec_lo, exec_lo, s5
	s_branch .LBB7_539
	.p2align	6
.LBB7_536:                              ;   in Loop: Header=BB7_539 Depth=1
	s_or_b32 exec_lo, exec_lo, s5
	v_readfirstlane_b32 s5, v0
	s_cmp_eq_u32 s5, 0
	s_cbranch_scc1 .LBB7_538
; %bb.537:                              ;   in Loop: Header=BB7_539 Depth=1
	s_sleep 1
	s_cbranch_execnz .LBB7_539
	s_branch .LBB7_541
	.p2align	6
.LBB7_538:
	s_branch .LBB7_541
.LBB7_539:                              ; =>This Inner Loop Header: Depth=1
	v_mov_b32_e32 v0, 1
	s_and_saveexec_b32 s5, s4
	s_cbranch_execz .LBB7_536
; %bb.540:                              ;   in Loop: Header=BB7_539 Depth=1
	global_load_dword v0, v[8:9], off offset:20 glc dlc
	s_waitcnt vmcnt(0)
	buffer_gl1_inv
	buffer_gl0_inv
	v_and_b32_e32 v0, 1, v0
	s_branch .LBB7_536
.LBB7_541:
	global_load_dwordx2 v[0:1], v[10:11], off
	s_and_saveexec_b32 s5, s4
	s_cbranch_execz .LBB7_545
; %bb.542:
	v_mov_b32_e32 v8, 0
	s_clause 0x2
	global_load_dwordx2 v[4:5], v8, s[6:7] offset:40
	global_load_dwordx2 v[9:10], v8, s[6:7] offset:24 glc dlc
	global_load_dwordx2 v[6:7], v8, s[6:7]
	s_waitcnt vmcnt(2)
	v_add_co_u32 v11, vcc_lo, v4, 1
	v_add_co_ci_u32_e32 v12, vcc_lo, 0, v5, vcc_lo
	v_add_co_u32 v2, vcc_lo, v11, s10
	v_add_co_ci_u32_e32 v3, vcc_lo, s11, v12, vcc_lo
	v_cmp_eq_u64_e32 vcc_lo, 0, v[2:3]
	v_cndmask_b32_e32 v3, v3, v12, vcc_lo
	v_cndmask_b32_e32 v2, v2, v11, vcc_lo
	v_and_b32_e32 v5, v3, v5
	v_and_b32_e32 v4, v2, v4
	v_mul_lo_u32 v5, v5, 24
	v_mul_hi_u32 v11, v4, 24
	v_mul_lo_u32 v4, v4, 24
	v_add_nc_u32_e32 v5, v11, v5
	s_waitcnt vmcnt(0)
	v_add_co_u32 v6, vcc_lo, v6, v4
	v_mov_b32_e32 v4, v9
	v_add_co_ci_u32_e32 v7, vcc_lo, v7, v5, vcc_lo
	v_mov_b32_e32 v5, v10
	global_store_dwordx2 v[6:7], v[9:10], off
	s_waitcnt_vscnt null, 0x0
	global_atomic_cmpswap_x2 v[4:5], v8, v[2:5], s[6:7] offset:24 glc
	s_waitcnt vmcnt(0)
	v_cmp_ne_u64_e32 vcc_lo, v[4:5], v[9:10]
	s_and_b32 exec_lo, exec_lo, vcc_lo
	s_cbranch_execz .LBB7_545
; %bb.543:
	s_mov_b32 s4, 0
.LBB7_544:                              ; =>This Inner Loop Header: Depth=1
	s_sleep 1
	global_store_dwordx2 v[6:7], v[4:5], off
	s_waitcnt_vscnt null, 0x0
	global_atomic_cmpswap_x2 v[9:10], v8, v[2:5], s[6:7] offset:24 glc
	s_waitcnt vmcnt(0)
	v_cmp_eq_u64_e32 vcc_lo, v[9:10], v[4:5]
	v_mov_b32_e32 v4, v9
	v_mov_b32_e32 v5, v10
	s_or_b32 s4, vcc_lo, s4
	s_andn2_b32 exec_lo, exec_lo, s4
	s_cbranch_execnz .LBB7_544
.LBB7_545:
	s_or_b32 exec_lo, exec_lo, s5
.LBB7_546:
	s_getpc_b64 s[10:11]
	s_add_u32 s10, s10, .str.1@rel32@lo+4
	s_addc_u32 s11, s11, .str.1@rel32@hi+12
	s_cmp_lg_u64 s[10:11], 0
	s_cbranch_scc0 .LBB7_625
; %bb.547:
	s_waitcnt vmcnt(0)
	v_and_b32_e32 v6, -3, v0
	v_mov_b32_e32 v7, v1
	v_mov_b32_e32 v3, 0
	;; [unrolled: 1-line block ×4, first 2 shown]
	s_mov_b64 s[16:17], 0x53
	s_branch .LBB7_549
.LBB7_548:                              ;   in Loop: Header=BB7_549 Depth=1
	s_or_b32 exec_lo, exec_lo, s5
	s_sub_u32 s16, s16, s18
	s_subb_u32 s17, s17, s19
	s_add_u32 s10, s10, s18
	s_addc_u32 s11, s11, s19
	s_cmp_lg_u64 s[16:17], 0
	s_cbranch_scc0 .LBB7_624
.LBB7_549:                              ; =>This Loop Header: Depth=1
                                        ;     Child Loop BB7_558 Depth 2
                                        ;     Child Loop BB7_554 Depth 2
	;; [unrolled: 1-line block ×11, first 2 shown]
	v_cmp_lt_u64_e64 s4, s[16:17], 56
	v_cmp_gt_u64_e64 s5, s[16:17], 7
                                        ; implicit-def: $sgpr25
	s_and_b32 s4, s4, exec_lo
	s_cselect_b32 s19, s17, 0
	s_cselect_b32 s18, s16, 56
	s_and_b32 vcc_lo, exec_lo, s5
	s_mov_b32 s4, -1
	s_cbranch_vccz .LBB7_556
; %bb.550:                              ;   in Loop: Header=BB7_549 Depth=1
	s_andn2_b32 vcc_lo, exec_lo, s4
	s_mov_b64 s[4:5], s[10:11]
	s_cbranch_vccz .LBB7_560
.LBB7_551:                              ;   in Loop: Header=BB7_549 Depth=1
	s_cmp_gt_u32 s25, 7
	s_cbranch_scc1 .LBB7_561
.LBB7_552:                              ;   in Loop: Header=BB7_549 Depth=1
	v_mov_b32_e32 v10, 0
	v_mov_b32_e32 v11, 0
	s_cmp_eq_u32 s25, 0
	s_cbranch_scc1 .LBB7_555
; %bb.553:                              ;   in Loop: Header=BB7_549 Depth=1
	s_mov_b64 s[20:21], 0
	s_mov_b64 s[22:23], 0
.LBB7_554:                              ;   Parent Loop BB7_549 Depth=1
                                        ; =>  This Inner Loop Header: Depth=2
	s_add_u32 s26, s4, s22
	s_addc_u32 s27, s5, s23
	s_add_u32 s22, s22, 1
	global_load_ubyte v2, v3, s[26:27]
	s_addc_u32 s23, s23, 0
	s_waitcnt vmcnt(0)
	v_and_b32_e32 v2, 0xffff, v2
	v_lshlrev_b64 v[12:13], s20, v[2:3]
	s_add_u32 s20, s20, 8
	s_addc_u32 s21, s21, 0
	s_cmp_lg_u32 s25, s22
	v_or_b32_e32 v10, v12, v10
	v_or_b32_e32 v11, v13, v11
	s_cbranch_scc1 .LBB7_554
.LBB7_555:                              ;   in Loop: Header=BB7_549 Depth=1
	s_mov_b32 s26, 0
	s_cbranch_execz .LBB7_562
	s_branch .LBB7_563
.LBB7_556:                              ;   in Loop: Header=BB7_549 Depth=1
	s_waitcnt vmcnt(0)
	v_mov_b32_e32 v8, 0
	v_mov_b32_e32 v9, 0
	s_cmp_eq_u64 s[16:17], 0
	s_mov_b64 s[4:5], 0
	s_cbranch_scc1 .LBB7_559
; %bb.557:                              ;   in Loop: Header=BB7_549 Depth=1
	v_mov_b32_e32 v8, 0
	v_mov_b32_e32 v9, 0
	s_lshl_b64 s[20:21], s[18:19], 3
	s_mov_b64 s[22:23], s[10:11]
.LBB7_558:                              ;   Parent Loop BB7_549 Depth=1
                                        ; =>  This Inner Loop Header: Depth=2
	global_load_ubyte v2, v3, s[22:23]
	s_waitcnt vmcnt(0)
	v_and_b32_e32 v2, 0xffff, v2
	v_lshlrev_b64 v[10:11], s4, v[2:3]
	s_add_u32 s4, s4, 8
	s_addc_u32 s5, s5, 0
	s_add_u32 s22, s22, 1
	s_addc_u32 s23, s23, 0
	s_cmp_lg_u32 s20, s4
	v_or_b32_e32 v8, v10, v8
	v_or_b32_e32 v9, v11, v9
	s_cbranch_scc1 .LBB7_558
.LBB7_559:                              ;   in Loop: Header=BB7_549 Depth=1
	s_mov_b32 s25, 0
	s_mov_b64 s[4:5], s[10:11]
	s_cbranch_execnz .LBB7_551
.LBB7_560:                              ;   in Loop: Header=BB7_549 Depth=1
	global_load_dwordx2 v[8:9], v3, s[10:11]
	s_add_i32 s25, s18, -8
	s_add_u32 s4, s10, 8
	s_addc_u32 s5, s11, 0
	s_cmp_gt_u32 s25, 7
	s_cbranch_scc0 .LBB7_552
.LBB7_561:                              ;   in Loop: Header=BB7_549 Depth=1
                                        ; implicit-def: $vgpr10_vgpr11
                                        ; implicit-def: $sgpr26
.LBB7_562:                              ;   in Loop: Header=BB7_549 Depth=1
	global_load_dwordx2 v[10:11], v3, s[4:5]
	s_add_i32 s26, s25, -8
	s_add_u32 s4, s4, 8
	s_addc_u32 s5, s5, 0
.LBB7_563:                              ;   in Loop: Header=BB7_549 Depth=1
	s_cmp_gt_u32 s26, 7
	s_cbranch_scc1 .LBB7_568
; %bb.564:                              ;   in Loop: Header=BB7_549 Depth=1
	v_mov_b32_e32 v12, 0
	v_mov_b32_e32 v13, 0
	s_cmp_eq_u32 s26, 0
	s_cbranch_scc1 .LBB7_567
; %bb.565:                              ;   in Loop: Header=BB7_549 Depth=1
	s_mov_b64 s[20:21], 0
	s_mov_b64 s[22:23], 0
.LBB7_566:                              ;   Parent Loop BB7_549 Depth=1
                                        ; =>  This Inner Loop Header: Depth=2
	s_add_u32 s28, s4, s22
	s_addc_u32 s29, s5, s23
	s_add_u32 s22, s22, 1
	global_load_ubyte v2, v3, s[28:29]
	s_addc_u32 s23, s23, 0
	s_waitcnt vmcnt(0)
	v_and_b32_e32 v2, 0xffff, v2
	v_lshlrev_b64 v[14:15], s20, v[2:3]
	s_add_u32 s20, s20, 8
	s_addc_u32 s21, s21, 0
	s_cmp_lg_u32 s26, s22
	v_or_b32_e32 v12, v14, v12
	v_or_b32_e32 v13, v15, v13
	s_cbranch_scc1 .LBB7_566
.LBB7_567:                              ;   in Loop: Header=BB7_549 Depth=1
	s_mov_b32 s25, 0
	s_cbranch_execz .LBB7_569
	s_branch .LBB7_570
.LBB7_568:                              ;   in Loop: Header=BB7_549 Depth=1
                                        ; implicit-def: $sgpr25
.LBB7_569:                              ;   in Loop: Header=BB7_549 Depth=1
	global_load_dwordx2 v[12:13], v3, s[4:5]
	s_add_i32 s25, s26, -8
	s_add_u32 s4, s4, 8
	s_addc_u32 s5, s5, 0
.LBB7_570:                              ;   in Loop: Header=BB7_549 Depth=1
	s_cmp_gt_u32 s25, 7
	s_cbranch_scc1 .LBB7_575
; %bb.571:                              ;   in Loop: Header=BB7_549 Depth=1
	v_mov_b32_e32 v14, 0
	v_mov_b32_e32 v15, 0
	s_cmp_eq_u32 s25, 0
	s_cbranch_scc1 .LBB7_574
; %bb.572:                              ;   in Loop: Header=BB7_549 Depth=1
	s_mov_b64 s[20:21], 0
	s_mov_b64 s[22:23], 0
.LBB7_573:                              ;   Parent Loop BB7_549 Depth=1
                                        ; =>  This Inner Loop Header: Depth=2
	s_add_u32 s26, s4, s22
	s_addc_u32 s27, s5, s23
	s_add_u32 s22, s22, 1
	global_load_ubyte v2, v3, s[26:27]
	s_addc_u32 s23, s23, 0
	s_waitcnt vmcnt(0)
	v_and_b32_e32 v2, 0xffff, v2
	v_lshlrev_b64 v[16:17], s20, v[2:3]
	s_add_u32 s20, s20, 8
	s_addc_u32 s21, s21, 0
	s_cmp_lg_u32 s25, s22
	v_or_b32_e32 v14, v16, v14
	v_or_b32_e32 v15, v17, v15
	s_cbranch_scc1 .LBB7_573
.LBB7_574:                              ;   in Loop: Header=BB7_549 Depth=1
	s_mov_b32 s26, 0
	s_cbranch_execz .LBB7_576
	s_branch .LBB7_577
.LBB7_575:                              ;   in Loop: Header=BB7_549 Depth=1
                                        ; implicit-def: $vgpr14_vgpr15
                                        ; implicit-def: $sgpr26
.LBB7_576:                              ;   in Loop: Header=BB7_549 Depth=1
	global_load_dwordx2 v[14:15], v3, s[4:5]
	s_add_i32 s26, s25, -8
	s_add_u32 s4, s4, 8
	s_addc_u32 s5, s5, 0
.LBB7_577:                              ;   in Loop: Header=BB7_549 Depth=1
	s_cmp_gt_u32 s26, 7
	s_cbranch_scc1 .LBB7_582
; %bb.578:                              ;   in Loop: Header=BB7_549 Depth=1
	v_mov_b32_e32 v16, 0
	v_mov_b32_e32 v17, 0
	s_cmp_eq_u32 s26, 0
	s_cbranch_scc1 .LBB7_581
; %bb.579:                              ;   in Loop: Header=BB7_549 Depth=1
	s_mov_b64 s[20:21], 0
	s_mov_b64 s[22:23], 0
.LBB7_580:                              ;   Parent Loop BB7_549 Depth=1
                                        ; =>  This Inner Loop Header: Depth=2
	s_add_u32 s28, s4, s22
	s_addc_u32 s29, s5, s23
	s_add_u32 s22, s22, 1
	global_load_ubyte v2, v3, s[28:29]
	s_addc_u32 s23, s23, 0
	s_waitcnt vmcnt(0)
	v_and_b32_e32 v2, 0xffff, v2
	v_lshlrev_b64 v[18:19], s20, v[2:3]
	s_add_u32 s20, s20, 8
	s_addc_u32 s21, s21, 0
	s_cmp_lg_u32 s26, s22
	v_or_b32_e32 v16, v18, v16
	v_or_b32_e32 v17, v19, v17
	s_cbranch_scc1 .LBB7_580
.LBB7_581:                              ;   in Loop: Header=BB7_549 Depth=1
	s_mov_b32 s25, 0
	s_cbranch_execz .LBB7_583
	s_branch .LBB7_584
.LBB7_582:                              ;   in Loop: Header=BB7_549 Depth=1
                                        ; implicit-def: $sgpr25
.LBB7_583:                              ;   in Loop: Header=BB7_549 Depth=1
	global_load_dwordx2 v[16:17], v3, s[4:5]
	s_add_i32 s25, s26, -8
	s_add_u32 s4, s4, 8
	s_addc_u32 s5, s5, 0
.LBB7_584:                              ;   in Loop: Header=BB7_549 Depth=1
	s_cmp_gt_u32 s25, 7
	s_cbranch_scc1 .LBB7_589
; %bb.585:                              ;   in Loop: Header=BB7_549 Depth=1
	v_mov_b32_e32 v18, 0
	v_mov_b32_e32 v19, 0
	s_cmp_eq_u32 s25, 0
	s_cbranch_scc1 .LBB7_588
; %bb.586:                              ;   in Loop: Header=BB7_549 Depth=1
	s_mov_b64 s[20:21], 0
	s_mov_b64 s[22:23], 0
.LBB7_587:                              ;   Parent Loop BB7_549 Depth=1
                                        ; =>  This Inner Loop Header: Depth=2
	s_add_u32 s26, s4, s22
	s_addc_u32 s27, s5, s23
	s_add_u32 s22, s22, 1
	global_load_ubyte v2, v3, s[26:27]
	s_addc_u32 s23, s23, 0
	s_waitcnt vmcnt(0)
	v_and_b32_e32 v2, 0xffff, v2
	v_lshlrev_b64 v[20:21], s20, v[2:3]
	s_add_u32 s20, s20, 8
	s_addc_u32 s21, s21, 0
	s_cmp_lg_u32 s25, s22
	v_or_b32_e32 v18, v20, v18
	v_or_b32_e32 v19, v21, v19
	s_cbranch_scc1 .LBB7_587
.LBB7_588:                              ;   in Loop: Header=BB7_549 Depth=1
	s_mov_b32 s26, 0
	s_cbranch_execz .LBB7_590
	s_branch .LBB7_591
.LBB7_589:                              ;   in Loop: Header=BB7_549 Depth=1
                                        ; implicit-def: $vgpr18_vgpr19
                                        ; implicit-def: $sgpr26
.LBB7_590:                              ;   in Loop: Header=BB7_549 Depth=1
	global_load_dwordx2 v[18:19], v3, s[4:5]
	s_add_i32 s26, s25, -8
	s_add_u32 s4, s4, 8
	s_addc_u32 s5, s5, 0
.LBB7_591:                              ;   in Loop: Header=BB7_549 Depth=1
	s_cmp_gt_u32 s26, 7
	s_cbranch_scc1 .LBB7_596
; %bb.592:                              ;   in Loop: Header=BB7_549 Depth=1
	v_mov_b32_e32 v20, 0
	v_mov_b32_e32 v21, 0
	s_cmp_eq_u32 s26, 0
	s_cbranch_scc1 .LBB7_595
; %bb.593:                              ;   in Loop: Header=BB7_549 Depth=1
	s_mov_b64 s[20:21], 0
	s_mov_b64 s[22:23], s[4:5]
.LBB7_594:                              ;   Parent Loop BB7_549 Depth=1
                                        ; =>  This Inner Loop Header: Depth=2
	global_load_ubyte v2, v3, s[22:23]
	s_add_i32 s26, s26, -1
	s_waitcnt vmcnt(0)
	v_and_b32_e32 v2, 0xffff, v2
	v_lshlrev_b64 v[22:23], s20, v[2:3]
	s_add_u32 s20, s20, 8
	s_addc_u32 s21, s21, 0
	s_add_u32 s22, s22, 1
	s_addc_u32 s23, s23, 0
	s_cmp_lg_u32 s26, 0
	v_or_b32_e32 v20, v22, v20
	v_or_b32_e32 v21, v23, v21
	s_cbranch_scc1 .LBB7_594
.LBB7_595:                              ;   in Loop: Header=BB7_549 Depth=1
	s_cbranch_execz .LBB7_597
	s_branch .LBB7_598
.LBB7_596:                              ;   in Loop: Header=BB7_549 Depth=1
.LBB7_597:                              ;   in Loop: Header=BB7_549 Depth=1
	global_load_dwordx2 v[20:21], v3, s[4:5]
.LBB7_598:                              ;   in Loop: Header=BB7_549 Depth=1
	v_readfirstlane_b32 s4, v32
	v_mov_b32_e32 v26, 0
	v_mov_b32_e32 v27, 0
	v_cmp_eq_u32_e64 s4, s4, v32
	s_and_saveexec_b32 s5, s4
	s_cbranch_execz .LBB7_604
; %bb.599:                              ;   in Loop: Header=BB7_549 Depth=1
	global_load_dwordx2 v[24:25], v3, s[6:7] offset:24 glc dlc
	s_waitcnt vmcnt(0)
	buffer_gl1_inv
	buffer_gl0_inv
	s_clause 0x1
	global_load_dwordx2 v[22:23], v3, s[6:7] offset:40
	global_load_dwordx2 v[26:27], v3, s[6:7]
	s_mov_b32 s20, exec_lo
	s_waitcnt vmcnt(1)
	v_and_b32_e32 v2, v23, v25
	v_and_b32_e32 v22, v22, v24
	v_mul_lo_u32 v2, v2, 24
	v_mul_hi_u32 v23, v22, 24
	v_mul_lo_u32 v22, v22, 24
	v_add_nc_u32_e32 v2, v23, v2
	s_waitcnt vmcnt(0)
	v_add_co_u32 v22, vcc_lo, v26, v22
	v_add_co_ci_u32_e32 v23, vcc_lo, v27, v2, vcc_lo
	global_load_dwordx2 v[22:23], v[22:23], off glc dlc
	s_waitcnt vmcnt(0)
	global_atomic_cmpswap_x2 v[26:27], v3, v[22:25], s[6:7] offset:24 glc
	s_waitcnt vmcnt(0)
	buffer_gl1_inv
	buffer_gl0_inv
	v_cmpx_ne_u64_e64 v[26:27], v[24:25]
	s_cbranch_execz .LBB7_603
; %bb.600:                              ;   in Loop: Header=BB7_549 Depth=1
	s_mov_b32 s21, 0
	.p2align	6
.LBB7_601:                              ;   Parent Loop BB7_549 Depth=1
                                        ; =>  This Inner Loop Header: Depth=2
	s_sleep 1
	s_clause 0x1
	global_load_dwordx2 v[22:23], v3, s[6:7] offset:40
	global_load_dwordx2 v[28:29], v3, s[6:7]
	v_mov_b32_e32 v24, v26
	v_mov_b32_e32 v25, v27
	s_waitcnt vmcnt(1)
	v_and_b32_e32 v2, v22, v24
	v_and_b32_e32 v22, v23, v25
	s_waitcnt vmcnt(0)
	v_mad_u64_u32 v[26:27], null, v2, 24, v[28:29]
	v_mov_b32_e32 v2, v27
	v_mad_u64_u32 v[22:23], null, v22, 24, v[2:3]
	v_mov_b32_e32 v27, v22
	global_load_dwordx2 v[22:23], v[26:27], off glc dlc
	s_waitcnt vmcnt(0)
	global_atomic_cmpswap_x2 v[26:27], v3, v[22:25], s[6:7] offset:24 glc
	s_waitcnt vmcnt(0)
	buffer_gl1_inv
	buffer_gl0_inv
	v_cmp_eq_u64_e32 vcc_lo, v[26:27], v[24:25]
	s_or_b32 s21, vcc_lo, s21
	s_andn2_b32 exec_lo, exec_lo, s21
	s_cbranch_execnz .LBB7_601
; %bb.602:                              ;   in Loop: Header=BB7_549 Depth=1
	s_or_b32 exec_lo, exec_lo, s21
.LBB7_603:                              ;   in Loop: Header=BB7_549 Depth=1
	s_or_b32 exec_lo, exec_lo, s20
.LBB7_604:                              ;   in Loop: Header=BB7_549 Depth=1
	s_or_b32 exec_lo, exec_lo, s5
	s_clause 0x1
	global_load_dwordx2 v[28:29], v3, s[6:7] offset:40
	global_load_dwordx4 v[22:25], v3, s[6:7]
	v_readfirstlane_b32 s20, v26
	v_readfirstlane_b32 s21, v27
	s_mov_b32 s5, exec_lo
	s_waitcnt vmcnt(1)
	v_readfirstlane_b32 s22, v28
	v_readfirstlane_b32 s23, v29
	s_and_b64 s[22:23], s[20:21], s[22:23]
	s_mul_i32 s25, s23, 24
	s_mul_hi_u32 s26, s22, 24
	s_mul_i32 s27, s22, 24
	s_add_i32 s26, s26, s25
	s_waitcnt vmcnt(0)
	v_add_co_u32 v26, vcc_lo, v22, s27
	v_add_co_ci_u32_e32 v27, vcc_lo, s26, v23, vcc_lo
	s_and_saveexec_b32 s25, s4
	s_cbranch_execz .LBB7_606
; %bb.605:                              ;   in Loop: Header=BB7_549 Depth=1
	v_mov_b32_e32 v2, s5
	global_store_dwordx4 v[26:27], v[2:5], off offset:8
.LBB7_606:                              ;   in Loop: Header=BB7_549 Depth=1
	s_or_b32 exec_lo, exec_lo, s25
	s_lshl_b64 s[22:23], s[22:23], 12
	v_or_b32_e32 v2, 2, v6
	v_add_co_u32 v24, vcc_lo, v24, s22
	v_add_co_ci_u32_e32 v25, vcc_lo, s23, v25, vcc_lo
	v_cmp_gt_u64_e64 vcc_lo, s[16:17], 56
	s_lshl_b32 s5, s18, 2
	v_readfirstlane_b32 s22, v24
	s_add_i32 s5, s5, 28
	v_readfirstlane_b32 s23, v25
	s_and_b32 s5, s5, 0x1e0
	v_cndmask_b32_e32 v2, v2, v6, vcc_lo
	v_and_or_b32 v6, 0xffffff1f, v2, s5
	global_store_dwordx4 v31, v[10:13], s[22:23] offset:16
	global_store_dwordx4 v31, v[6:9], s[22:23]
	global_store_dwordx4 v31, v[14:17], s[22:23] offset:32
	global_store_dwordx4 v31, v[18:21], s[22:23] offset:48
	s_and_saveexec_b32 s5, s4
	s_cbranch_execz .LBB7_614
; %bb.607:                              ;   in Loop: Header=BB7_549 Depth=1
	s_clause 0x1
	global_load_dwordx2 v[14:15], v3, s[6:7] offset:32 glc dlc
	global_load_dwordx2 v[6:7], v3, s[6:7] offset:40
	v_mov_b32_e32 v12, s20
	v_mov_b32_e32 v13, s21
	s_waitcnt vmcnt(0)
	v_readfirstlane_b32 s22, v6
	v_readfirstlane_b32 s23, v7
	s_and_b64 s[22:23], s[22:23], s[20:21]
	s_mul_i32 s23, s23, 24
	s_mul_hi_u32 s25, s22, 24
	s_mul_i32 s22, s22, 24
	s_add_i32 s25, s25, s23
	v_add_co_u32 v10, vcc_lo, v22, s22
	v_add_co_ci_u32_e32 v11, vcc_lo, s25, v23, vcc_lo
	s_mov_b32 s22, exec_lo
	global_store_dwordx2 v[10:11], v[14:15], off
	s_waitcnt_vscnt null, 0x0
	global_atomic_cmpswap_x2 v[8:9], v3, v[12:15], s[6:7] offset:32 glc
	s_waitcnt vmcnt(0)
	v_cmpx_ne_u64_e64 v[8:9], v[14:15]
	s_cbranch_execz .LBB7_610
; %bb.608:                              ;   in Loop: Header=BB7_549 Depth=1
	s_mov_b32 s23, 0
.LBB7_609:                              ;   Parent Loop BB7_549 Depth=1
                                        ; =>  This Inner Loop Header: Depth=2
	v_mov_b32_e32 v6, s20
	v_mov_b32_e32 v7, s21
	s_sleep 1
	global_store_dwordx2 v[10:11], v[8:9], off
	s_waitcnt_vscnt null, 0x0
	global_atomic_cmpswap_x2 v[6:7], v3, v[6:9], s[6:7] offset:32 glc
	s_waitcnt vmcnt(0)
	v_cmp_eq_u64_e32 vcc_lo, v[6:7], v[8:9]
	v_mov_b32_e32 v9, v7
	v_mov_b32_e32 v8, v6
	s_or_b32 s23, vcc_lo, s23
	s_andn2_b32 exec_lo, exec_lo, s23
	s_cbranch_execnz .LBB7_609
.LBB7_610:                              ;   in Loop: Header=BB7_549 Depth=1
	s_or_b32 exec_lo, exec_lo, s22
	global_load_dwordx2 v[6:7], v3, s[6:7] offset:16
	s_mov_b32 s23, exec_lo
	s_mov_b32 s22, exec_lo
	v_mbcnt_lo_u32_b32 v2, s23, 0
	v_cmpx_eq_u32_e32 0, v2
	s_cbranch_execz .LBB7_612
; %bb.611:                              ;   in Loop: Header=BB7_549 Depth=1
	s_bcnt1_i32_b32 s23, s23
	v_mov_b32_e32 v2, s23
	s_waitcnt vmcnt(0)
	global_atomic_add_x2 v[6:7], v[2:3], off offset:8
.LBB7_612:                              ;   in Loop: Header=BB7_549 Depth=1
	s_or_b32 exec_lo, exec_lo, s22
	s_waitcnt vmcnt(0)
	global_load_dwordx2 v[8:9], v[6:7], off offset:16
	s_waitcnt vmcnt(0)
	v_cmp_eq_u64_e32 vcc_lo, 0, v[8:9]
	s_cbranch_vccnz .LBB7_614
; %bb.613:                              ;   in Loop: Header=BB7_549 Depth=1
	global_load_dword v2, v[6:7], off offset:24
	s_waitcnt vmcnt(0)
	v_and_b32_e32 v6, 0x7fffff, v2
	s_waitcnt_vscnt null, 0x0
	global_store_dwordx2 v[8:9], v[2:3], off
	v_readfirstlane_b32 m0, v6
	s_sendmsg sendmsg(MSG_INTERRUPT)
.LBB7_614:                              ;   in Loop: Header=BB7_549 Depth=1
	s_or_b32 exec_lo, exec_lo, s5
	v_add_co_u32 v6, vcc_lo, v24, v31
	v_add_co_ci_u32_e32 v7, vcc_lo, 0, v25, vcc_lo
	s_branch .LBB7_618
	.p2align	6
.LBB7_615:                              ;   in Loop: Header=BB7_618 Depth=2
	s_or_b32 exec_lo, exec_lo, s5
	v_readfirstlane_b32 s5, v2
	s_cmp_eq_u32 s5, 0
	s_cbranch_scc1 .LBB7_617
; %bb.616:                              ;   in Loop: Header=BB7_618 Depth=2
	s_sleep 1
	s_cbranch_execnz .LBB7_618
	s_branch .LBB7_620
	.p2align	6
.LBB7_617:                              ;   in Loop: Header=BB7_549 Depth=1
	s_branch .LBB7_620
.LBB7_618:                              ;   Parent Loop BB7_549 Depth=1
                                        ; =>  This Inner Loop Header: Depth=2
	v_mov_b32_e32 v2, 1
	s_and_saveexec_b32 s5, s4
	s_cbranch_execz .LBB7_615
; %bb.619:                              ;   in Loop: Header=BB7_618 Depth=2
	global_load_dword v2, v[26:27], off offset:20 glc dlc
	s_waitcnt vmcnt(0)
	buffer_gl1_inv
	buffer_gl0_inv
	v_and_b32_e32 v2, 1, v2
	s_branch .LBB7_615
.LBB7_620:                              ;   in Loop: Header=BB7_549 Depth=1
	global_load_dwordx4 v[6:9], v[6:7], off
	s_and_saveexec_b32 s5, s4
	s_cbranch_execz .LBB7_548
; %bb.621:                              ;   in Loop: Header=BB7_549 Depth=1
	s_clause 0x2
	global_load_dwordx2 v[10:11], v3, s[6:7] offset:40
	global_load_dwordx2 v[14:15], v3, s[6:7] offset:24 glc dlc
	global_load_dwordx2 v[12:13], v3, s[6:7]
	s_waitcnt vmcnt(2)
	v_add_co_u32 v2, vcc_lo, v10, 1
	v_add_co_ci_u32_e32 v16, vcc_lo, 0, v11, vcc_lo
	v_add_co_u32 v8, vcc_lo, v2, s20
	v_add_co_ci_u32_e32 v9, vcc_lo, s21, v16, vcc_lo
	v_cmp_eq_u64_e32 vcc_lo, 0, v[8:9]
	v_cndmask_b32_e32 v9, v9, v16, vcc_lo
	v_cndmask_b32_e32 v8, v8, v2, vcc_lo
	v_and_b32_e32 v2, v9, v11
	v_and_b32_e32 v10, v8, v10
	v_mul_lo_u32 v2, v2, 24
	v_mul_hi_u32 v11, v10, 24
	v_mul_lo_u32 v10, v10, 24
	v_add_nc_u32_e32 v2, v11, v2
	s_waitcnt vmcnt(0)
	v_add_co_u32 v12, vcc_lo, v12, v10
	v_mov_b32_e32 v10, v14
	v_mov_b32_e32 v11, v15
	v_add_co_ci_u32_e32 v13, vcc_lo, v13, v2, vcc_lo
	global_store_dwordx2 v[12:13], v[14:15], off
	s_waitcnt_vscnt null, 0x0
	global_atomic_cmpswap_x2 v[10:11], v3, v[8:11], s[6:7] offset:24 glc
	s_waitcnt vmcnt(0)
	v_cmp_ne_u64_e32 vcc_lo, v[10:11], v[14:15]
	s_and_b32 exec_lo, exec_lo, vcc_lo
	s_cbranch_execz .LBB7_548
; %bb.622:                              ;   in Loop: Header=BB7_549 Depth=1
	s_mov_b32 s4, 0
.LBB7_623:                              ;   Parent Loop BB7_549 Depth=1
                                        ; =>  This Inner Loop Header: Depth=2
	s_sleep 1
	global_store_dwordx2 v[12:13], v[10:11], off
	s_waitcnt_vscnt null, 0x0
	global_atomic_cmpswap_x2 v[14:15], v3, v[8:11], s[6:7] offset:24 glc
	s_waitcnt vmcnt(0)
	v_cmp_eq_u64_e32 vcc_lo, v[14:15], v[10:11]
	v_mov_b32_e32 v10, v14
	v_mov_b32_e32 v11, v15
	s_or_b32 s4, vcc_lo, s4
	s_andn2_b32 exec_lo, exec_lo, s4
	s_cbranch_execnz .LBB7_623
	s_branch .LBB7_548
.LBB7_624:
	s_branch .LBB7_653
.LBB7_625:
	s_cbranch_execz .LBB7_653
; %bb.626:
	v_readfirstlane_b32 s4, v32
	s_waitcnt vmcnt(0)
	v_mov_b32_e32 v8, 0
	v_mov_b32_e32 v9, 0
	v_cmp_eq_u32_e64 s4, s4, v32
	s_and_saveexec_b32 s5, s4
	s_cbranch_execz .LBB7_632
; %bb.627:
	v_mov_b32_e32 v2, 0
	s_mov_b32 s10, exec_lo
	global_load_dwordx2 v[5:6], v2, s[6:7] offset:24 glc dlc
	s_waitcnt vmcnt(0)
	buffer_gl1_inv
	buffer_gl0_inv
	s_clause 0x1
	global_load_dwordx2 v[3:4], v2, s[6:7] offset:40
	global_load_dwordx2 v[7:8], v2, s[6:7]
	s_waitcnt vmcnt(1)
	v_and_b32_e32 v4, v4, v6
	v_and_b32_e32 v3, v3, v5
	v_mul_lo_u32 v4, v4, 24
	v_mul_hi_u32 v9, v3, 24
	v_mul_lo_u32 v3, v3, 24
	v_add_nc_u32_e32 v4, v9, v4
	s_waitcnt vmcnt(0)
	v_add_co_u32 v3, vcc_lo, v7, v3
	v_add_co_ci_u32_e32 v4, vcc_lo, v8, v4, vcc_lo
	global_load_dwordx2 v[3:4], v[3:4], off glc dlc
	s_waitcnt vmcnt(0)
	global_atomic_cmpswap_x2 v[8:9], v2, v[3:6], s[6:7] offset:24 glc
	s_waitcnt vmcnt(0)
	buffer_gl1_inv
	buffer_gl0_inv
	v_cmpx_ne_u64_e64 v[8:9], v[5:6]
	s_cbranch_execz .LBB7_631
; %bb.628:
	s_mov_b32 s11, 0
	.p2align	6
.LBB7_629:                              ; =>This Inner Loop Header: Depth=1
	s_sleep 1
	s_clause 0x1
	global_load_dwordx2 v[3:4], v2, s[6:7] offset:40
	global_load_dwordx2 v[10:11], v2, s[6:7]
	v_mov_b32_e32 v5, v8
	v_mov_b32_e32 v6, v9
	s_waitcnt vmcnt(1)
	v_and_b32_e32 v3, v3, v5
	v_and_b32_e32 v4, v4, v6
	s_waitcnt vmcnt(0)
	v_mad_u64_u32 v[7:8], null, v3, 24, v[10:11]
	v_mov_b32_e32 v3, v8
	v_mad_u64_u32 v[3:4], null, v4, 24, v[3:4]
	v_mov_b32_e32 v8, v3
	global_load_dwordx2 v[3:4], v[7:8], off glc dlc
	s_waitcnt vmcnt(0)
	global_atomic_cmpswap_x2 v[8:9], v2, v[3:6], s[6:7] offset:24 glc
	s_waitcnt vmcnt(0)
	buffer_gl1_inv
	buffer_gl0_inv
	v_cmp_eq_u64_e32 vcc_lo, v[8:9], v[5:6]
	s_or_b32 s11, vcc_lo, s11
	s_andn2_b32 exec_lo, exec_lo, s11
	s_cbranch_execnz .LBB7_629
; %bb.630:
	s_or_b32 exec_lo, exec_lo, s11
.LBB7_631:
	s_or_b32 exec_lo, exec_lo, s10
.LBB7_632:
	s_or_b32 exec_lo, exec_lo, s5
	v_mov_b32_e32 v2, 0
	v_readfirstlane_b32 s10, v8
	v_readfirstlane_b32 s11, v9
	s_mov_b32 s5, exec_lo
	s_clause 0x1
	global_load_dwordx2 v[10:11], v2, s[6:7] offset:40
	global_load_dwordx4 v[4:7], v2, s[6:7]
	s_waitcnt vmcnt(1)
	v_readfirstlane_b32 s16, v10
	v_readfirstlane_b32 s17, v11
	s_and_b64 s[16:17], s[10:11], s[16:17]
	s_mul_i32 s18, s17, 24
	s_mul_hi_u32 s19, s16, 24
	s_mul_i32 s20, s16, 24
	s_add_i32 s19, s19, s18
	s_waitcnt vmcnt(0)
	v_add_co_u32 v8, vcc_lo, v4, s20
	v_add_co_ci_u32_e32 v9, vcc_lo, s19, v5, vcc_lo
	s_and_saveexec_b32 s18, s4
	s_cbranch_execz .LBB7_634
; %bb.633:
	v_mov_b32_e32 v10, s5
	v_mov_b32_e32 v11, v2
	;; [unrolled: 1-line block ×4, first 2 shown]
	global_store_dwordx4 v[8:9], v[10:13], off offset:8
.LBB7_634:
	s_or_b32 exec_lo, exec_lo, s18
	s_lshl_b64 s[16:17], s[16:17], 12
	v_and_or_b32 v0, 0xffffff1d, v0, 34
	v_add_co_u32 v6, vcc_lo, v6, s16
	v_add_co_ci_u32_e32 v7, vcc_lo, s17, v7, vcc_lo
	s_mov_b32 s16, 0
	v_mov_b32_e32 v3, v2
	s_mov_b32 s17, s16
	s_mov_b32 s18, s16
	;; [unrolled: 1-line block ×3, first 2 shown]
	v_readfirstlane_b32 s20, v6
	v_readfirstlane_b32 s21, v7
	v_mov_b32_e32 v10, s16
	v_mov_b32_e32 v11, s17
	;; [unrolled: 1-line block ×4, first 2 shown]
	global_store_dwordx4 v31, v[0:3], s[20:21]
	global_store_dwordx4 v31, v[10:13], s[20:21] offset:16
	global_store_dwordx4 v31, v[10:13], s[20:21] offset:32
	;; [unrolled: 1-line block ×3, first 2 shown]
	s_and_saveexec_b32 s5, s4
	s_cbranch_execz .LBB7_642
; %bb.635:
	v_mov_b32_e32 v6, 0
	v_mov_b32_e32 v10, s10
	;; [unrolled: 1-line block ×3, first 2 shown]
	s_clause 0x1
	global_load_dwordx2 v[12:13], v6, s[6:7] offset:32 glc dlc
	global_load_dwordx2 v[0:1], v6, s[6:7] offset:40
	s_waitcnt vmcnt(0)
	v_readfirstlane_b32 s16, v0
	v_readfirstlane_b32 s17, v1
	s_and_b64 s[16:17], s[16:17], s[10:11]
	s_mul_i32 s17, s17, 24
	s_mul_hi_u32 s18, s16, 24
	s_mul_i32 s16, s16, 24
	s_add_i32 s18, s18, s17
	v_add_co_u32 v4, vcc_lo, v4, s16
	v_add_co_ci_u32_e32 v5, vcc_lo, s18, v5, vcc_lo
	s_mov_b32 s16, exec_lo
	global_store_dwordx2 v[4:5], v[12:13], off
	s_waitcnt_vscnt null, 0x0
	global_atomic_cmpswap_x2 v[2:3], v6, v[10:13], s[6:7] offset:32 glc
	s_waitcnt vmcnt(0)
	v_cmpx_ne_u64_e64 v[2:3], v[12:13]
	s_cbranch_execz .LBB7_638
; %bb.636:
	s_mov_b32 s17, 0
.LBB7_637:                              ; =>This Inner Loop Header: Depth=1
	v_mov_b32_e32 v0, s10
	v_mov_b32_e32 v1, s11
	s_sleep 1
	global_store_dwordx2 v[4:5], v[2:3], off
	s_waitcnt_vscnt null, 0x0
	global_atomic_cmpswap_x2 v[0:1], v6, v[0:3], s[6:7] offset:32 glc
	s_waitcnt vmcnt(0)
	v_cmp_eq_u64_e32 vcc_lo, v[0:1], v[2:3]
	v_mov_b32_e32 v3, v1
	v_mov_b32_e32 v2, v0
	s_or_b32 s17, vcc_lo, s17
	s_andn2_b32 exec_lo, exec_lo, s17
	s_cbranch_execnz .LBB7_637
.LBB7_638:
	s_or_b32 exec_lo, exec_lo, s16
	v_mov_b32_e32 v3, 0
	s_mov_b32 s17, exec_lo
	s_mov_b32 s16, exec_lo
	v_mbcnt_lo_u32_b32 v2, s17, 0
	global_load_dwordx2 v[0:1], v3, s[6:7] offset:16
	v_cmpx_eq_u32_e32 0, v2
	s_cbranch_execz .LBB7_640
; %bb.639:
	s_bcnt1_i32_b32 s17, s17
	v_mov_b32_e32 v2, s17
	s_waitcnt vmcnt(0)
	global_atomic_add_x2 v[0:1], v[2:3], off offset:8
.LBB7_640:
	s_or_b32 exec_lo, exec_lo, s16
	s_waitcnt vmcnt(0)
	global_load_dwordx2 v[2:3], v[0:1], off offset:16
	s_waitcnt vmcnt(0)
	v_cmp_eq_u64_e32 vcc_lo, 0, v[2:3]
	s_cbranch_vccnz .LBB7_642
; %bb.641:
	global_load_dword v0, v[0:1], off offset:24
	v_mov_b32_e32 v1, 0
	s_waitcnt vmcnt(0)
	v_and_b32_e32 v4, 0x7fffff, v0
	s_waitcnt_vscnt null, 0x0
	global_store_dwordx2 v[2:3], v[0:1], off
	v_readfirstlane_b32 m0, v4
	s_sendmsg sendmsg(MSG_INTERRUPT)
.LBB7_642:
	s_or_b32 exec_lo, exec_lo, s5
	s_branch .LBB7_646
	.p2align	6
.LBB7_643:                              ;   in Loop: Header=BB7_646 Depth=1
	s_or_b32 exec_lo, exec_lo, s5
	v_readfirstlane_b32 s5, v0
	s_cmp_eq_u32 s5, 0
	s_cbranch_scc1 .LBB7_645
; %bb.644:                              ;   in Loop: Header=BB7_646 Depth=1
	s_sleep 1
	s_cbranch_execnz .LBB7_646
	s_branch .LBB7_648
	.p2align	6
.LBB7_645:
	s_branch .LBB7_648
.LBB7_646:                              ; =>This Inner Loop Header: Depth=1
	v_mov_b32_e32 v0, 1
	s_and_saveexec_b32 s5, s4
	s_cbranch_execz .LBB7_643
; %bb.647:                              ;   in Loop: Header=BB7_646 Depth=1
	global_load_dword v0, v[8:9], off offset:20 glc dlc
	s_waitcnt vmcnt(0)
	buffer_gl1_inv
	buffer_gl0_inv
	v_and_b32_e32 v0, 1, v0
	s_branch .LBB7_643
.LBB7_648:
	s_and_saveexec_b32 s5, s4
	s_cbranch_execz .LBB7_652
; %bb.649:
	v_mov_b32_e32 v6, 0
	s_clause 0x2
	global_load_dwordx2 v[2:3], v6, s[6:7] offset:40
	global_load_dwordx2 v[7:8], v6, s[6:7] offset:24 glc dlc
	global_load_dwordx2 v[4:5], v6, s[6:7]
	s_waitcnt vmcnt(2)
	v_add_co_u32 v9, vcc_lo, v2, 1
	v_add_co_ci_u32_e32 v10, vcc_lo, 0, v3, vcc_lo
	v_add_co_u32 v0, vcc_lo, v9, s10
	v_add_co_ci_u32_e32 v1, vcc_lo, s11, v10, vcc_lo
	v_cmp_eq_u64_e32 vcc_lo, 0, v[0:1]
	v_cndmask_b32_e32 v1, v1, v10, vcc_lo
	v_cndmask_b32_e32 v0, v0, v9, vcc_lo
	v_and_b32_e32 v3, v1, v3
	v_and_b32_e32 v2, v0, v2
	v_mul_lo_u32 v3, v3, 24
	v_mul_hi_u32 v9, v2, 24
	v_mul_lo_u32 v2, v2, 24
	v_add_nc_u32_e32 v3, v9, v3
	s_waitcnt vmcnt(0)
	v_add_co_u32 v4, vcc_lo, v4, v2
	v_mov_b32_e32 v2, v7
	v_add_co_ci_u32_e32 v5, vcc_lo, v5, v3, vcc_lo
	v_mov_b32_e32 v3, v8
	global_store_dwordx2 v[4:5], v[7:8], off
	s_waitcnt_vscnt null, 0x0
	global_atomic_cmpswap_x2 v[2:3], v6, v[0:3], s[6:7] offset:24 glc
	s_waitcnt vmcnt(0)
	v_cmp_ne_u64_e32 vcc_lo, v[2:3], v[7:8]
	s_and_b32 exec_lo, exec_lo, vcc_lo
	s_cbranch_execz .LBB7_652
; %bb.650:
	s_mov_b32 s4, 0
.LBB7_651:                              ; =>This Inner Loop Header: Depth=1
	s_sleep 1
	global_store_dwordx2 v[4:5], v[2:3], off
	s_waitcnt_vscnt null, 0x0
	global_atomic_cmpswap_x2 v[7:8], v6, v[0:3], s[6:7] offset:24 glc
	s_waitcnt vmcnt(0)
	v_cmp_eq_u64_e32 vcc_lo, v[7:8], v[2:3]
	v_mov_b32_e32 v2, v7
	v_mov_b32_e32 v3, v8
	s_or_b32 s4, vcc_lo, s4
	s_andn2_b32 exec_lo, exec_lo, s4
	s_cbranch_execnz .LBB7_651
.LBB7_652:
	s_or_b32 exec_lo, exec_lo, s5
.LBB7_653:
	v_readfirstlane_b32 s4, v32
	s_waitcnt vmcnt(0)
	v_mov_b32_e32 v6, 0
	v_mov_b32_e32 v7, 0
	v_cmp_eq_u32_e64 s4, s4, v32
	s_and_saveexec_b32 s5, s4
	s_cbranch_execz .LBB7_659
; %bb.654:
	v_mov_b32_e32 v0, 0
	s_mov_b32 s10, exec_lo
	global_load_dwordx2 v[3:4], v0, s[6:7] offset:24 glc dlc
	s_waitcnt vmcnt(0)
	buffer_gl1_inv
	buffer_gl0_inv
	s_clause 0x1
	global_load_dwordx2 v[1:2], v0, s[6:7] offset:40
	global_load_dwordx2 v[5:6], v0, s[6:7]
	s_waitcnt vmcnt(1)
	v_and_b32_e32 v2, v2, v4
	v_and_b32_e32 v1, v1, v3
	v_mul_lo_u32 v2, v2, 24
	v_mul_hi_u32 v7, v1, 24
	v_mul_lo_u32 v1, v1, 24
	v_add_nc_u32_e32 v2, v7, v2
	s_waitcnt vmcnt(0)
	v_add_co_u32 v1, vcc_lo, v5, v1
	v_add_co_ci_u32_e32 v2, vcc_lo, v6, v2, vcc_lo
	global_load_dwordx2 v[1:2], v[1:2], off glc dlc
	s_waitcnt vmcnt(0)
	global_atomic_cmpswap_x2 v[6:7], v0, v[1:4], s[6:7] offset:24 glc
	s_waitcnt vmcnt(0)
	buffer_gl1_inv
	buffer_gl0_inv
	v_cmpx_ne_u64_e64 v[6:7], v[3:4]
	s_cbranch_execz .LBB7_658
; %bb.655:
	s_mov_b32 s11, 0
	.p2align	6
.LBB7_656:                              ; =>This Inner Loop Header: Depth=1
	s_sleep 1
	s_clause 0x1
	global_load_dwordx2 v[1:2], v0, s[6:7] offset:40
	global_load_dwordx2 v[8:9], v0, s[6:7]
	v_mov_b32_e32 v3, v6
	v_mov_b32_e32 v4, v7
	s_waitcnt vmcnt(1)
	v_and_b32_e32 v1, v1, v3
	v_and_b32_e32 v2, v2, v4
	s_waitcnt vmcnt(0)
	v_mad_u64_u32 v[5:6], null, v1, 24, v[8:9]
	v_mov_b32_e32 v1, v6
	v_mad_u64_u32 v[1:2], null, v2, 24, v[1:2]
	v_mov_b32_e32 v6, v1
	global_load_dwordx2 v[1:2], v[5:6], off glc dlc
	s_waitcnt vmcnt(0)
	global_atomic_cmpswap_x2 v[6:7], v0, v[1:4], s[6:7] offset:24 glc
	s_waitcnt vmcnt(0)
	buffer_gl1_inv
	buffer_gl0_inv
	v_cmp_eq_u64_e32 vcc_lo, v[6:7], v[3:4]
	s_or_b32 s11, vcc_lo, s11
	s_andn2_b32 exec_lo, exec_lo, s11
	s_cbranch_execnz .LBB7_656
; %bb.657:
	s_or_b32 exec_lo, exec_lo, s11
.LBB7_658:
	s_or_b32 exec_lo, exec_lo, s10
.LBB7_659:
	s_or_b32 exec_lo, exec_lo, s5
	v_mov_b32_e32 v5, 0
	v_readfirstlane_b32 s10, v6
	v_readfirstlane_b32 s11, v7
	s_mov_b32 s5, exec_lo
	s_clause 0x1
	global_load_dwordx2 v[8:9], v5, s[6:7] offset:40
	global_load_dwordx4 v[0:3], v5, s[6:7]
	s_waitcnt vmcnt(1)
	v_readfirstlane_b32 s16, v8
	v_readfirstlane_b32 s17, v9
	s_and_b64 s[16:17], s[10:11], s[16:17]
	s_mul_i32 s18, s17, 24
	s_mul_hi_u32 s19, s16, 24
	s_mul_i32 s20, s16, 24
	s_add_i32 s19, s19, s18
	s_waitcnt vmcnt(0)
	v_add_co_u32 v8, vcc_lo, v0, s20
	v_add_co_ci_u32_e32 v9, vcc_lo, s19, v1, vcc_lo
	s_and_saveexec_b32 s18, s4
	s_cbranch_execz .LBB7_661
; %bb.660:
	v_mov_b32_e32 v4, s5
	v_mov_b32_e32 v6, 2
	;; [unrolled: 1-line block ×3, first 2 shown]
	global_store_dwordx4 v[8:9], v[4:7], off offset:8
.LBB7_661:
	s_or_b32 exec_lo, exec_lo, s18
	s_lshl_b64 s[16:17], s[16:17], 12
	v_mov_b32_e32 v4, 33
	v_add_co_u32 v2, vcc_lo, v2, s16
	v_add_co_ci_u32_e32 v3, vcc_lo, s17, v3, vcc_lo
	s_mov_b32 s16, 0
	v_add_co_u32 v10, vcc_lo, v2, v31
	s_mov_b32 s17, s16
	s_mov_b32 s18, s16
	;; [unrolled: 1-line block ×3, first 2 shown]
	v_mov_b32_e32 v6, v5
	v_mov_b32_e32 v7, v5
	v_readfirstlane_b32 s20, v2
	v_readfirstlane_b32 s21, v3
	v_mov_b32_e32 v12, s16
	v_add_co_ci_u32_e32 v11, vcc_lo, 0, v3, vcc_lo
	v_mov_b32_e32 v13, s17
	v_mov_b32_e32 v14, s18
	;; [unrolled: 1-line block ×3, first 2 shown]
	global_store_dwordx4 v31, v[4:7], s[20:21]
	global_store_dwordx4 v31, v[12:15], s[20:21] offset:16
	global_store_dwordx4 v31, v[12:15], s[20:21] offset:32
	;; [unrolled: 1-line block ×3, first 2 shown]
	s_and_saveexec_b32 s5, s4
	s_cbranch_execz .LBB7_669
; %bb.662:
	v_mov_b32_e32 v6, 0
	v_mov_b32_e32 v12, s10
	;; [unrolled: 1-line block ×3, first 2 shown]
	s_clause 0x1
	global_load_dwordx2 v[14:15], v6, s[6:7] offset:32 glc dlc
	global_load_dwordx2 v[2:3], v6, s[6:7] offset:40
	s_waitcnt vmcnt(0)
	v_readfirstlane_b32 s16, v2
	v_readfirstlane_b32 s17, v3
	s_and_b64 s[16:17], s[16:17], s[10:11]
	s_mul_i32 s17, s17, 24
	s_mul_hi_u32 s18, s16, 24
	s_mul_i32 s16, s16, 24
	s_add_i32 s18, s18, s17
	v_add_co_u32 v4, vcc_lo, v0, s16
	v_add_co_ci_u32_e32 v5, vcc_lo, s18, v1, vcc_lo
	s_mov_b32 s16, exec_lo
	global_store_dwordx2 v[4:5], v[14:15], off
	s_waitcnt_vscnt null, 0x0
	global_atomic_cmpswap_x2 v[2:3], v6, v[12:15], s[6:7] offset:32 glc
	s_waitcnt vmcnt(0)
	v_cmpx_ne_u64_e64 v[2:3], v[14:15]
	s_cbranch_execz .LBB7_665
; %bb.663:
	s_mov_b32 s17, 0
.LBB7_664:                              ; =>This Inner Loop Header: Depth=1
	v_mov_b32_e32 v0, s10
	v_mov_b32_e32 v1, s11
	s_sleep 1
	global_store_dwordx2 v[4:5], v[2:3], off
	s_waitcnt_vscnt null, 0x0
	global_atomic_cmpswap_x2 v[0:1], v6, v[0:3], s[6:7] offset:32 glc
	s_waitcnt vmcnt(0)
	v_cmp_eq_u64_e32 vcc_lo, v[0:1], v[2:3]
	v_mov_b32_e32 v3, v1
	v_mov_b32_e32 v2, v0
	s_or_b32 s17, vcc_lo, s17
	s_andn2_b32 exec_lo, exec_lo, s17
	s_cbranch_execnz .LBB7_664
.LBB7_665:
	s_or_b32 exec_lo, exec_lo, s16
	v_mov_b32_e32 v3, 0
	s_mov_b32 s17, exec_lo
	s_mov_b32 s16, exec_lo
	v_mbcnt_lo_u32_b32 v2, s17, 0
	global_load_dwordx2 v[0:1], v3, s[6:7] offset:16
	v_cmpx_eq_u32_e32 0, v2
	s_cbranch_execz .LBB7_667
; %bb.666:
	s_bcnt1_i32_b32 s17, s17
	v_mov_b32_e32 v2, s17
	s_waitcnt vmcnt(0)
	global_atomic_add_x2 v[0:1], v[2:3], off offset:8
.LBB7_667:
	s_or_b32 exec_lo, exec_lo, s16
	s_waitcnt vmcnt(0)
	global_load_dwordx2 v[2:3], v[0:1], off offset:16
	s_waitcnt vmcnt(0)
	v_cmp_eq_u64_e32 vcc_lo, 0, v[2:3]
	s_cbranch_vccnz .LBB7_669
; %bb.668:
	global_load_dword v0, v[0:1], off offset:24
	v_mov_b32_e32 v1, 0
	s_waitcnt vmcnt(0)
	v_and_b32_e32 v4, 0x7fffff, v0
	s_waitcnt_vscnt null, 0x0
	global_store_dwordx2 v[2:3], v[0:1], off
	v_readfirstlane_b32 m0, v4
	s_sendmsg sendmsg(MSG_INTERRUPT)
.LBB7_669:
	s_or_b32 exec_lo, exec_lo, s5
	s_branch .LBB7_673
	.p2align	6
.LBB7_670:                              ;   in Loop: Header=BB7_673 Depth=1
	s_or_b32 exec_lo, exec_lo, s5
	v_readfirstlane_b32 s5, v0
	s_cmp_eq_u32 s5, 0
	s_cbranch_scc1 .LBB7_672
; %bb.671:                              ;   in Loop: Header=BB7_673 Depth=1
	s_sleep 1
	s_cbranch_execnz .LBB7_673
	s_branch .LBB7_675
	.p2align	6
.LBB7_672:
	s_branch .LBB7_675
.LBB7_673:                              ; =>This Inner Loop Header: Depth=1
	v_mov_b32_e32 v0, 1
	s_and_saveexec_b32 s5, s4
	s_cbranch_execz .LBB7_670
; %bb.674:                              ;   in Loop: Header=BB7_673 Depth=1
	global_load_dword v0, v[8:9], off offset:20 glc dlc
	s_waitcnt vmcnt(0)
	buffer_gl1_inv
	buffer_gl0_inv
	v_and_b32_e32 v0, 1, v0
	s_branch .LBB7_670
.LBB7_675:
	global_load_dwordx2 v[0:1], v[10:11], off
	s_and_saveexec_b32 s5, s4
	s_cbranch_execz .LBB7_679
; %bb.676:
	v_mov_b32_e32 v8, 0
	s_clause 0x2
	global_load_dwordx2 v[4:5], v8, s[6:7] offset:40
	global_load_dwordx2 v[9:10], v8, s[6:7] offset:24 glc dlc
	global_load_dwordx2 v[6:7], v8, s[6:7]
	s_waitcnt vmcnt(2)
	v_add_co_u32 v11, vcc_lo, v4, 1
	v_add_co_ci_u32_e32 v12, vcc_lo, 0, v5, vcc_lo
	v_add_co_u32 v2, vcc_lo, v11, s10
	v_add_co_ci_u32_e32 v3, vcc_lo, s11, v12, vcc_lo
	v_cmp_eq_u64_e32 vcc_lo, 0, v[2:3]
	v_cndmask_b32_e32 v3, v3, v12, vcc_lo
	v_cndmask_b32_e32 v2, v2, v11, vcc_lo
	v_and_b32_e32 v5, v3, v5
	v_and_b32_e32 v4, v2, v4
	v_mul_lo_u32 v5, v5, 24
	v_mul_hi_u32 v11, v4, 24
	v_mul_lo_u32 v4, v4, 24
	v_add_nc_u32_e32 v5, v11, v5
	s_waitcnt vmcnt(0)
	v_add_co_u32 v6, vcc_lo, v6, v4
	v_mov_b32_e32 v4, v9
	v_add_co_ci_u32_e32 v7, vcc_lo, v7, v5, vcc_lo
	v_mov_b32_e32 v5, v10
	global_store_dwordx2 v[6:7], v[9:10], off
	s_waitcnt_vscnt null, 0x0
	global_atomic_cmpswap_x2 v[4:5], v8, v[2:5], s[6:7] offset:24 glc
	s_waitcnt vmcnt(0)
	v_cmp_ne_u64_e32 vcc_lo, v[4:5], v[9:10]
	s_and_b32 exec_lo, exec_lo, vcc_lo
	s_cbranch_execz .LBB7_679
; %bb.677:
	s_mov_b32 s4, 0
.LBB7_678:                              ; =>This Inner Loop Header: Depth=1
	s_sleep 1
	global_store_dwordx2 v[6:7], v[4:5], off
	s_waitcnt_vscnt null, 0x0
	global_atomic_cmpswap_x2 v[9:10], v8, v[2:5], s[6:7] offset:24 glc
	s_waitcnt vmcnt(0)
	v_cmp_eq_u64_e32 vcc_lo, v[9:10], v[4:5]
	v_mov_b32_e32 v4, v9
	v_mov_b32_e32 v5, v10
	s_or_b32 s4, vcc_lo, s4
	s_andn2_b32 exec_lo, exec_lo, s4
	s_cbranch_execnz .LBB7_678
.LBB7_679:
	s_or_b32 exec_lo, exec_lo, s5
	s_and_b32 vcc_lo, exec_lo, s24
	s_cbranch_vccz .LBB7_758
; %bb.680:
	s_waitcnt vmcnt(0)
	v_and_b32_e32 v33, 2, v0
	v_mov_b32_e32 v6, 0
	v_and_b32_e32 v2, -3, v0
	v_mov_b32_e32 v3, v1
	v_mov_b32_e32 v7, 2
	;; [unrolled: 1-line block ×3, first 2 shown]
	s_mov_b64 s[16:17], 3
	s_getpc_b64 s[10:11]
	s_add_u32 s10, s10, .str.6@rel32@lo+4
	s_addc_u32 s11, s11, .str.6@rel32@hi+12
	s_branch .LBB7_682
.LBB7_681:                              ;   in Loop: Header=BB7_682 Depth=1
	s_or_b32 exec_lo, exec_lo, s5
	s_sub_u32 s16, s16, s18
	s_subb_u32 s17, s17, s19
	s_add_u32 s10, s10, s18
	s_addc_u32 s11, s11, s19
	s_cmp_lg_u64 s[16:17], 0
	s_cbranch_scc0 .LBB7_757
.LBB7_682:                              ; =>This Loop Header: Depth=1
                                        ;     Child Loop BB7_691 Depth 2
                                        ;     Child Loop BB7_687 Depth 2
	;; [unrolled: 1-line block ×11, first 2 shown]
	v_cmp_lt_u64_e64 s4, s[16:17], 56
	v_cmp_gt_u64_e64 s5, s[16:17], 7
                                        ; implicit-def: $vgpr11_vgpr12
                                        ; implicit-def: $sgpr25
	s_and_b32 s4, s4, exec_lo
	s_cselect_b32 s19, s17, 0
	s_cselect_b32 s18, s16, 56
	s_and_b32 vcc_lo, exec_lo, s5
	s_mov_b32 s4, -1
	s_cbranch_vccz .LBB7_689
; %bb.683:                              ;   in Loop: Header=BB7_682 Depth=1
	s_andn2_b32 vcc_lo, exec_lo, s4
	s_mov_b64 s[4:5], s[10:11]
	s_cbranch_vccz .LBB7_693
.LBB7_684:                              ;   in Loop: Header=BB7_682 Depth=1
	s_cmp_gt_u32 s25, 7
	s_cbranch_scc1 .LBB7_694
.LBB7_685:                              ;   in Loop: Header=BB7_682 Depth=1
	v_mov_b32_e32 v13, 0
	v_mov_b32_e32 v14, 0
	s_cmp_eq_u32 s25, 0
	s_cbranch_scc1 .LBB7_688
; %bb.686:                              ;   in Loop: Header=BB7_682 Depth=1
	s_mov_b64 s[20:21], 0
	s_mov_b64 s[22:23], 0
.LBB7_687:                              ;   Parent Loop BB7_682 Depth=1
                                        ; =>  This Inner Loop Header: Depth=2
	s_add_u32 s26, s4, s22
	s_addc_u32 s27, s5, s23
	s_add_u32 s22, s22, 1
	global_load_ubyte v4, v6, s[26:27]
	s_addc_u32 s23, s23, 0
	s_waitcnt vmcnt(0)
	v_and_b32_e32 v5, 0xffff, v4
	v_lshlrev_b64 v[4:5], s20, v[5:6]
	s_add_u32 s20, s20, 8
	s_addc_u32 s21, s21, 0
	s_cmp_lg_u32 s25, s22
	v_or_b32_e32 v13, v4, v13
	v_or_b32_e32 v14, v5, v14
	s_cbranch_scc1 .LBB7_687
.LBB7_688:                              ;   in Loop: Header=BB7_682 Depth=1
	s_mov_b32 s26, 0
	s_cbranch_execz .LBB7_695
	s_branch .LBB7_696
.LBB7_689:                              ;   in Loop: Header=BB7_682 Depth=1
	v_mov_b32_e32 v11, 0
	v_mov_b32_e32 v12, 0
	s_cmp_eq_u64 s[16:17], 0
	s_mov_b64 s[4:5], 0
	s_cbranch_scc1 .LBB7_692
; %bb.690:                              ;   in Loop: Header=BB7_682 Depth=1
	v_mov_b32_e32 v11, 0
	v_mov_b32_e32 v12, 0
	s_lshl_b64 s[20:21], s[18:19], 3
	s_mov_b64 s[22:23], s[10:11]
.LBB7_691:                              ;   Parent Loop BB7_682 Depth=1
                                        ; =>  This Inner Loop Header: Depth=2
	global_load_ubyte v4, v6, s[22:23]
	s_waitcnt vmcnt(0)
	v_and_b32_e32 v5, 0xffff, v4
	v_lshlrev_b64 v[4:5], s4, v[5:6]
	s_add_u32 s4, s4, 8
	s_addc_u32 s5, s5, 0
	s_add_u32 s22, s22, 1
	s_addc_u32 s23, s23, 0
	s_cmp_lg_u32 s20, s4
	v_or_b32_e32 v11, v4, v11
	v_or_b32_e32 v12, v5, v12
	s_cbranch_scc1 .LBB7_691
.LBB7_692:                              ;   in Loop: Header=BB7_682 Depth=1
	s_mov_b32 s25, 0
	s_mov_b64 s[4:5], s[10:11]
	s_cbranch_execnz .LBB7_684
.LBB7_693:                              ;   in Loop: Header=BB7_682 Depth=1
	global_load_dwordx2 v[11:12], v6, s[10:11]
	s_add_i32 s25, s18, -8
	s_add_u32 s4, s10, 8
	s_addc_u32 s5, s11, 0
	s_cmp_gt_u32 s25, 7
	s_cbranch_scc0 .LBB7_685
.LBB7_694:                              ;   in Loop: Header=BB7_682 Depth=1
                                        ; implicit-def: $vgpr13_vgpr14
                                        ; implicit-def: $sgpr26
.LBB7_695:                              ;   in Loop: Header=BB7_682 Depth=1
	global_load_dwordx2 v[13:14], v6, s[4:5]
	s_add_i32 s26, s25, -8
	s_add_u32 s4, s4, 8
	s_addc_u32 s5, s5, 0
.LBB7_696:                              ;   in Loop: Header=BB7_682 Depth=1
	s_cmp_gt_u32 s26, 7
	s_cbranch_scc1 .LBB7_701
; %bb.697:                              ;   in Loop: Header=BB7_682 Depth=1
	v_mov_b32_e32 v15, 0
	v_mov_b32_e32 v16, 0
	s_cmp_eq_u32 s26, 0
	s_cbranch_scc1 .LBB7_700
; %bb.698:                              ;   in Loop: Header=BB7_682 Depth=1
	s_mov_b64 s[20:21], 0
	s_mov_b64 s[22:23], 0
.LBB7_699:                              ;   Parent Loop BB7_682 Depth=1
                                        ; =>  This Inner Loop Header: Depth=2
	s_add_u32 s28, s4, s22
	s_addc_u32 s29, s5, s23
	s_add_u32 s22, s22, 1
	global_load_ubyte v4, v6, s[28:29]
	s_addc_u32 s23, s23, 0
	s_waitcnt vmcnt(0)
	v_and_b32_e32 v5, 0xffff, v4
	v_lshlrev_b64 v[4:5], s20, v[5:6]
	s_add_u32 s20, s20, 8
	s_addc_u32 s21, s21, 0
	s_cmp_lg_u32 s26, s22
	v_or_b32_e32 v15, v4, v15
	v_or_b32_e32 v16, v5, v16
	s_cbranch_scc1 .LBB7_699
.LBB7_700:                              ;   in Loop: Header=BB7_682 Depth=1
	s_mov_b32 s25, 0
	s_cbranch_execz .LBB7_702
	s_branch .LBB7_703
.LBB7_701:                              ;   in Loop: Header=BB7_682 Depth=1
                                        ; implicit-def: $sgpr25
.LBB7_702:                              ;   in Loop: Header=BB7_682 Depth=1
	global_load_dwordx2 v[15:16], v6, s[4:5]
	s_add_i32 s25, s26, -8
	s_add_u32 s4, s4, 8
	s_addc_u32 s5, s5, 0
.LBB7_703:                              ;   in Loop: Header=BB7_682 Depth=1
	s_cmp_gt_u32 s25, 7
	s_cbranch_scc1 .LBB7_708
; %bb.704:                              ;   in Loop: Header=BB7_682 Depth=1
	v_mov_b32_e32 v17, 0
	v_mov_b32_e32 v18, 0
	s_cmp_eq_u32 s25, 0
	s_cbranch_scc1 .LBB7_707
; %bb.705:                              ;   in Loop: Header=BB7_682 Depth=1
	s_mov_b64 s[20:21], 0
	s_mov_b64 s[22:23], 0
.LBB7_706:                              ;   Parent Loop BB7_682 Depth=1
                                        ; =>  This Inner Loop Header: Depth=2
	s_add_u32 s26, s4, s22
	s_addc_u32 s27, s5, s23
	s_add_u32 s22, s22, 1
	global_load_ubyte v4, v6, s[26:27]
	s_addc_u32 s23, s23, 0
	s_waitcnt vmcnt(0)
	v_and_b32_e32 v5, 0xffff, v4
	v_lshlrev_b64 v[4:5], s20, v[5:6]
	s_add_u32 s20, s20, 8
	s_addc_u32 s21, s21, 0
	s_cmp_lg_u32 s25, s22
	v_or_b32_e32 v17, v4, v17
	v_or_b32_e32 v18, v5, v18
	s_cbranch_scc1 .LBB7_706
.LBB7_707:                              ;   in Loop: Header=BB7_682 Depth=1
	s_mov_b32 s26, 0
	s_cbranch_execz .LBB7_709
	s_branch .LBB7_710
.LBB7_708:                              ;   in Loop: Header=BB7_682 Depth=1
                                        ; implicit-def: $vgpr17_vgpr18
                                        ; implicit-def: $sgpr26
.LBB7_709:                              ;   in Loop: Header=BB7_682 Depth=1
	global_load_dwordx2 v[17:18], v6, s[4:5]
	s_add_i32 s26, s25, -8
	s_add_u32 s4, s4, 8
	s_addc_u32 s5, s5, 0
.LBB7_710:                              ;   in Loop: Header=BB7_682 Depth=1
	s_cmp_gt_u32 s26, 7
	s_cbranch_scc1 .LBB7_715
; %bb.711:                              ;   in Loop: Header=BB7_682 Depth=1
	v_mov_b32_e32 v19, 0
	v_mov_b32_e32 v20, 0
	s_cmp_eq_u32 s26, 0
	s_cbranch_scc1 .LBB7_714
; %bb.712:                              ;   in Loop: Header=BB7_682 Depth=1
	s_mov_b64 s[20:21], 0
	s_mov_b64 s[22:23], 0
.LBB7_713:                              ;   Parent Loop BB7_682 Depth=1
                                        ; =>  This Inner Loop Header: Depth=2
	s_add_u32 s28, s4, s22
	s_addc_u32 s29, s5, s23
	s_add_u32 s22, s22, 1
	global_load_ubyte v4, v6, s[28:29]
	s_addc_u32 s23, s23, 0
	s_waitcnt vmcnt(0)
	v_and_b32_e32 v5, 0xffff, v4
	v_lshlrev_b64 v[4:5], s20, v[5:6]
	s_add_u32 s20, s20, 8
	s_addc_u32 s21, s21, 0
	s_cmp_lg_u32 s26, s22
	v_or_b32_e32 v19, v4, v19
	v_or_b32_e32 v20, v5, v20
	s_cbranch_scc1 .LBB7_713
.LBB7_714:                              ;   in Loop: Header=BB7_682 Depth=1
	s_mov_b32 s25, 0
	s_cbranch_execz .LBB7_716
	s_branch .LBB7_717
.LBB7_715:                              ;   in Loop: Header=BB7_682 Depth=1
                                        ; implicit-def: $sgpr25
.LBB7_716:                              ;   in Loop: Header=BB7_682 Depth=1
	global_load_dwordx2 v[19:20], v6, s[4:5]
	s_add_i32 s25, s26, -8
	s_add_u32 s4, s4, 8
	s_addc_u32 s5, s5, 0
.LBB7_717:                              ;   in Loop: Header=BB7_682 Depth=1
	s_cmp_gt_u32 s25, 7
	s_cbranch_scc1 .LBB7_722
; %bb.718:                              ;   in Loop: Header=BB7_682 Depth=1
	v_mov_b32_e32 v21, 0
	v_mov_b32_e32 v22, 0
	s_cmp_eq_u32 s25, 0
	s_cbranch_scc1 .LBB7_721
; %bb.719:                              ;   in Loop: Header=BB7_682 Depth=1
	s_mov_b64 s[20:21], 0
	s_mov_b64 s[22:23], 0
.LBB7_720:                              ;   Parent Loop BB7_682 Depth=1
                                        ; =>  This Inner Loop Header: Depth=2
	s_add_u32 s26, s4, s22
	s_addc_u32 s27, s5, s23
	s_add_u32 s22, s22, 1
	global_load_ubyte v4, v6, s[26:27]
	s_addc_u32 s23, s23, 0
	s_waitcnt vmcnt(0)
	v_and_b32_e32 v5, 0xffff, v4
	v_lshlrev_b64 v[4:5], s20, v[5:6]
	s_add_u32 s20, s20, 8
	s_addc_u32 s21, s21, 0
	s_cmp_lg_u32 s25, s22
	v_or_b32_e32 v21, v4, v21
	v_or_b32_e32 v22, v5, v22
	s_cbranch_scc1 .LBB7_720
.LBB7_721:                              ;   in Loop: Header=BB7_682 Depth=1
	s_mov_b32 s26, 0
	s_cbranch_execz .LBB7_723
	s_branch .LBB7_724
.LBB7_722:                              ;   in Loop: Header=BB7_682 Depth=1
                                        ; implicit-def: $vgpr21_vgpr22
                                        ; implicit-def: $sgpr26
.LBB7_723:                              ;   in Loop: Header=BB7_682 Depth=1
	global_load_dwordx2 v[21:22], v6, s[4:5]
	s_add_i32 s26, s25, -8
	s_add_u32 s4, s4, 8
	s_addc_u32 s5, s5, 0
.LBB7_724:                              ;   in Loop: Header=BB7_682 Depth=1
	s_cmp_gt_u32 s26, 7
	s_cbranch_scc1 .LBB7_729
; %bb.725:                              ;   in Loop: Header=BB7_682 Depth=1
	v_mov_b32_e32 v23, 0
	v_mov_b32_e32 v24, 0
	s_cmp_eq_u32 s26, 0
	s_cbranch_scc1 .LBB7_728
; %bb.726:                              ;   in Loop: Header=BB7_682 Depth=1
	s_mov_b64 s[20:21], 0
	s_mov_b64 s[22:23], s[4:5]
.LBB7_727:                              ;   Parent Loop BB7_682 Depth=1
                                        ; =>  This Inner Loop Header: Depth=2
	global_load_ubyte v4, v6, s[22:23]
	s_add_i32 s26, s26, -1
	s_waitcnt vmcnt(0)
	v_and_b32_e32 v5, 0xffff, v4
	v_lshlrev_b64 v[4:5], s20, v[5:6]
	s_add_u32 s20, s20, 8
	s_addc_u32 s21, s21, 0
	s_add_u32 s22, s22, 1
	s_addc_u32 s23, s23, 0
	s_cmp_lg_u32 s26, 0
	v_or_b32_e32 v23, v4, v23
	v_or_b32_e32 v24, v5, v24
	s_cbranch_scc1 .LBB7_727
.LBB7_728:                              ;   in Loop: Header=BB7_682 Depth=1
	s_cbranch_execz .LBB7_730
	s_branch .LBB7_731
.LBB7_729:                              ;   in Loop: Header=BB7_682 Depth=1
.LBB7_730:                              ;   in Loop: Header=BB7_682 Depth=1
	global_load_dwordx2 v[23:24], v6, s[4:5]
.LBB7_731:                              ;   in Loop: Header=BB7_682 Depth=1
	v_readfirstlane_b32 s4, v32
	s_waitcnt vmcnt(0)
	v_mov_b32_e32 v4, 0
	v_mov_b32_e32 v5, 0
	v_cmp_eq_u32_e64 s4, s4, v32
	s_and_saveexec_b32 s5, s4
	s_cbranch_execz .LBB7_737
; %bb.732:                              ;   in Loop: Header=BB7_682 Depth=1
	global_load_dwordx2 v[27:28], v6, s[6:7] offset:24 glc dlc
	s_waitcnt vmcnt(0)
	buffer_gl1_inv
	buffer_gl0_inv
	s_clause 0x1
	global_load_dwordx2 v[4:5], v6, s[6:7] offset:40
	global_load_dwordx2 v[9:10], v6, s[6:7]
	s_mov_b32 s20, exec_lo
	s_waitcnt vmcnt(1)
	v_and_b32_e32 v5, v5, v28
	v_and_b32_e32 v4, v4, v27
	v_mul_lo_u32 v5, v5, 24
	v_mul_hi_u32 v25, v4, 24
	v_mul_lo_u32 v4, v4, 24
	v_add_nc_u32_e32 v5, v25, v5
	s_waitcnt vmcnt(0)
	v_add_co_u32 v4, vcc_lo, v9, v4
	v_add_co_ci_u32_e32 v5, vcc_lo, v10, v5, vcc_lo
	global_load_dwordx2 v[25:26], v[4:5], off glc dlc
	s_waitcnt vmcnt(0)
	global_atomic_cmpswap_x2 v[4:5], v6, v[25:28], s[6:7] offset:24 glc
	s_waitcnt vmcnt(0)
	buffer_gl1_inv
	buffer_gl0_inv
	v_cmpx_ne_u64_e64 v[4:5], v[27:28]
	s_cbranch_execz .LBB7_736
; %bb.733:                              ;   in Loop: Header=BB7_682 Depth=1
	s_mov_b32 s21, 0
	.p2align	6
.LBB7_734:                              ;   Parent Loop BB7_682 Depth=1
                                        ; =>  This Inner Loop Header: Depth=2
	s_sleep 1
	s_clause 0x1
	global_load_dwordx2 v[9:10], v6, s[6:7] offset:40
	global_load_dwordx2 v[25:26], v6, s[6:7]
	v_mov_b32_e32 v28, v5
	v_mov_b32_e32 v27, v4
	s_waitcnt vmcnt(1)
	v_and_b32_e32 v4, v9, v27
	v_and_b32_e32 v9, v10, v28
	s_waitcnt vmcnt(0)
	v_mad_u64_u32 v[4:5], null, v4, 24, v[25:26]
	v_mad_u64_u32 v[9:10], null, v9, 24, v[5:6]
	v_mov_b32_e32 v5, v9
	global_load_dwordx2 v[25:26], v[4:5], off glc dlc
	s_waitcnt vmcnt(0)
	global_atomic_cmpswap_x2 v[4:5], v6, v[25:28], s[6:7] offset:24 glc
	s_waitcnt vmcnt(0)
	buffer_gl1_inv
	buffer_gl0_inv
	v_cmp_eq_u64_e32 vcc_lo, v[4:5], v[27:28]
	s_or_b32 s21, vcc_lo, s21
	s_andn2_b32 exec_lo, exec_lo, s21
	s_cbranch_execnz .LBB7_734
; %bb.735:                              ;   in Loop: Header=BB7_682 Depth=1
	s_or_b32 exec_lo, exec_lo, s21
.LBB7_736:                              ;   in Loop: Header=BB7_682 Depth=1
	s_or_b32 exec_lo, exec_lo, s20
.LBB7_737:                              ;   in Loop: Header=BB7_682 Depth=1
	s_or_b32 exec_lo, exec_lo, s5
	s_clause 0x1
	global_load_dwordx2 v[9:10], v6, s[6:7] offset:40
	global_load_dwordx4 v[25:28], v6, s[6:7]
	v_readfirstlane_b32 s20, v4
	v_readfirstlane_b32 s21, v5
	s_mov_b32 s5, exec_lo
	s_waitcnt vmcnt(1)
	v_readfirstlane_b32 s22, v9
	v_readfirstlane_b32 s23, v10
	s_and_b64 s[22:23], s[20:21], s[22:23]
	s_mul_i32 s25, s23, 24
	s_mul_hi_u32 s26, s22, 24
	s_mul_i32 s27, s22, 24
	s_add_i32 s26, s26, s25
	s_waitcnt vmcnt(0)
	v_add_co_u32 v29, vcc_lo, v25, s27
	v_add_co_ci_u32_e32 v30, vcc_lo, s26, v26, vcc_lo
	s_and_saveexec_b32 s25, s4
	s_cbranch_execz .LBB7_739
; %bb.738:                              ;   in Loop: Header=BB7_682 Depth=1
	v_mov_b32_e32 v5, s5
	global_store_dwordx4 v[29:30], v[5:8], off offset:8
.LBB7_739:                              ;   in Loop: Header=BB7_682 Depth=1
	s_or_b32 exec_lo, exec_lo, s25
	s_lshl_b64 s[22:23], s[22:23], 12
	v_cmp_gt_u64_e64 vcc_lo, s[16:17], 56
	v_or_b32_e32 v5, v2, v33
	v_add_co_u32 v27, s5, v27, s22
	v_add_co_ci_u32_e64 v28, s5, s23, v28, s5
	s_lshl_b32 s5, s18, 2
	v_or_b32_e32 v4, 0, v3
	v_cndmask_b32_e32 v2, v5, v2, vcc_lo
	s_add_i32 s5, s5, 28
	v_readfirstlane_b32 s22, v27
	s_and_b32 s5, s5, 0x1e0
	v_cndmask_b32_e32 v10, v4, v3, vcc_lo
	v_readfirstlane_b32 s23, v28
	v_and_or_b32 v9, 0xffffff1f, v2, s5
	global_store_dwordx4 v31, v[9:12], s[22:23]
	global_store_dwordx4 v31, v[13:16], s[22:23] offset:16
	global_store_dwordx4 v31, v[17:20], s[22:23] offset:32
	;; [unrolled: 1-line block ×3, first 2 shown]
	s_and_saveexec_b32 s5, s4
	s_cbranch_execz .LBB7_747
; %bb.740:                              ;   in Loop: Header=BB7_682 Depth=1
	s_clause 0x1
	global_load_dwordx2 v[13:14], v6, s[6:7] offset:32 glc dlc
	global_load_dwordx2 v[2:3], v6, s[6:7] offset:40
	v_mov_b32_e32 v11, s20
	v_mov_b32_e32 v12, s21
	s_waitcnt vmcnt(0)
	v_readfirstlane_b32 s22, v2
	v_readfirstlane_b32 s23, v3
	s_and_b64 s[22:23], s[22:23], s[20:21]
	s_mul_i32 s23, s23, 24
	s_mul_hi_u32 s25, s22, 24
	s_mul_i32 s22, s22, 24
	s_add_i32 s25, s25, s23
	v_add_co_u32 v9, vcc_lo, v25, s22
	v_add_co_ci_u32_e32 v10, vcc_lo, s25, v26, vcc_lo
	s_mov_b32 s22, exec_lo
	global_store_dwordx2 v[9:10], v[13:14], off
	s_waitcnt_vscnt null, 0x0
	global_atomic_cmpswap_x2 v[4:5], v6, v[11:14], s[6:7] offset:32 glc
	s_waitcnt vmcnt(0)
	v_cmpx_ne_u64_e64 v[4:5], v[13:14]
	s_cbranch_execz .LBB7_743
; %bb.741:                              ;   in Loop: Header=BB7_682 Depth=1
	s_mov_b32 s23, 0
.LBB7_742:                              ;   Parent Loop BB7_682 Depth=1
                                        ; =>  This Inner Loop Header: Depth=2
	v_mov_b32_e32 v2, s20
	v_mov_b32_e32 v3, s21
	s_sleep 1
	global_store_dwordx2 v[9:10], v[4:5], off
	s_waitcnt_vscnt null, 0x0
	global_atomic_cmpswap_x2 v[2:3], v6, v[2:5], s[6:7] offset:32 glc
	s_waitcnt vmcnt(0)
	v_cmp_eq_u64_e32 vcc_lo, v[2:3], v[4:5]
	v_mov_b32_e32 v5, v3
	v_mov_b32_e32 v4, v2
	s_or_b32 s23, vcc_lo, s23
	s_andn2_b32 exec_lo, exec_lo, s23
	s_cbranch_execnz .LBB7_742
.LBB7_743:                              ;   in Loop: Header=BB7_682 Depth=1
	s_or_b32 exec_lo, exec_lo, s22
	global_load_dwordx2 v[2:3], v6, s[6:7] offset:16
	s_mov_b32 s23, exec_lo
	s_mov_b32 s22, exec_lo
	v_mbcnt_lo_u32_b32 v4, s23, 0
	v_cmpx_eq_u32_e32 0, v4
	s_cbranch_execz .LBB7_745
; %bb.744:                              ;   in Loop: Header=BB7_682 Depth=1
	s_bcnt1_i32_b32 s23, s23
	v_mov_b32_e32 v5, s23
	s_waitcnt vmcnt(0)
	global_atomic_add_x2 v[2:3], v[5:6], off offset:8
.LBB7_745:                              ;   in Loop: Header=BB7_682 Depth=1
	s_or_b32 exec_lo, exec_lo, s22
	s_waitcnt vmcnt(0)
	global_load_dwordx2 v[9:10], v[2:3], off offset:16
	s_waitcnt vmcnt(0)
	v_cmp_eq_u64_e32 vcc_lo, 0, v[9:10]
	s_cbranch_vccnz .LBB7_747
; %bb.746:                              ;   in Loop: Header=BB7_682 Depth=1
	global_load_dword v5, v[2:3], off offset:24
	s_waitcnt vmcnt(0)
	v_and_b32_e32 v2, 0x7fffff, v5
	s_waitcnt_vscnt null, 0x0
	global_store_dwordx2 v[9:10], v[5:6], off
	v_readfirstlane_b32 m0, v2
	s_sendmsg sendmsg(MSG_INTERRUPT)
.LBB7_747:                              ;   in Loop: Header=BB7_682 Depth=1
	s_or_b32 exec_lo, exec_lo, s5
	v_add_co_u32 v2, vcc_lo, v27, v31
	v_add_co_ci_u32_e32 v3, vcc_lo, 0, v28, vcc_lo
	s_branch .LBB7_751
	.p2align	6
.LBB7_748:                              ;   in Loop: Header=BB7_751 Depth=2
	s_or_b32 exec_lo, exec_lo, s5
	v_readfirstlane_b32 s5, v4
	s_cmp_eq_u32 s5, 0
	s_cbranch_scc1 .LBB7_750
; %bb.749:                              ;   in Loop: Header=BB7_751 Depth=2
	s_sleep 1
	s_cbranch_execnz .LBB7_751
	s_branch .LBB7_753
	.p2align	6
.LBB7_750:                              ;   in Loop: Header=BB7_682 Depth=1
	s_branch .LBB7_753
.LBB7_751:                              ;   Parent Loop BB7_682 Depth=1
                                        ; =>  This Inner Loop Header: Depth=2
	v_mov_b32_e32 v4, 1
	s_and_saveexec_b32 s5, s4
	s_cbranch_execz .LBB7_748
; %bb.752:                              ;   in Loop: Header=BB7_751 Depth=2
	global_load_dword v4, v[29:30], off offset:20 glc dlc
	s_waitcnt vmcnt(0)
	buffer_gl1_inv
	buffer_gl0_inv
	v_and_b32_e32 v4, 1, v4
	s_branch .LBB7_748
.LBB7_753:                              ;   in Loop: Header=BB7_682 Depth=1
	global_load_dwordx4 v[2:5], v[2:3], off
	s_and_saveexec_b32 s5, s4
	s_cbranch_execz .LBB7_681
; %bb.754:                              ;   in Loop: Header=BB7_682 Depth=1
	s_clause 0x2
	global_load_dwordx2 v[4:5], v6, s[6:7] offset:40
	global_load_dwordx2 v[13:14], v6, s[6:7] offset:24 glc dlc
	global_load_dwordx2 v[11:12], v6, s[6:7]
	s_waitcnt vmcnt(2)
	v_add_co_u32 v15, vcc_lo, v4, 1
	v_add_co_ci_u32_e32 v16, vcc_lo, 0, v5, vcc_lo
	v_add_co_u32 v9, vcc_lo, v15, s20
	v_add_co_ci_u32_e32 v10, vcc_lo, s21, v16, vcc_lo
	v_cmp_eq_u64_e32 vcc_lo, 0, v[9:10]
	v_cndmask_b32_e32 v10, v10, v16, vcc_lo
	v_cndmask_b32_e32 v9, v9, v15, vcc_lo
	v_and_b32_e32 v5, v10, v5
	v_and_b32_e32 v4, v9, v4
	v_mul_lo_u32 v5, v5, 24
	v_mul_hi_u32 v15, v4, 24
	v_mul_lo_u32 v4, v4, 24
	v_add_nc_u32_e32 v5, v15, v5
	s_waitcnt vmcnt(0)
	v_add_co_u32 v4, vcc_lo, v11, v4
	v_mov_b32_e32 v11, v13
	v_add_co_ci_u32_e32 v5, vcc_lo, v12, v5, vcc_lo
	v_mov_b32_e32 v12, v14
	global_store_dwordx2 v[4:5], v[13:14], off
	s_waitcnt_vscnt null, 0x0
	global_atomic_cmpswap_x2 v[11:12], v6, v[9:12], s[6:7] offset:24 glc
	s_waitcnt vmcnt(0)
	v_cmp_ne_u64_e32 vcc_lo, v[11:12], v[13:14]
	s_and_b32 exec_lo, exec_lo, vcc_lo
	s_cbranch_execz .LBB7_681
; %bb.755:                              ;   in Loop: Header=BB7_682 Depth=1
	s_mov_b32 s4, 0
.LBB7_756:                              ;   Parent Loop BB7_682 Depth=1
                                        ; =>  This Inner Loop Header: Depth=2
	s_sleep 1
	global_store_dwordx2 v[4:5], v[11:12], off
	s_waitcnt_vscnt null, 0x0
	global_atomic_cmpswap_x2 v[13:14], v6, v[9:12], s[6:7] offset:24 glc
	s_waitcnt vmcnt(0)
	v_cmp_eq_u64_e32 vcc_lo, v[13:14], v[11:12]
	v_mov_b32_e32 v11, v13
	v_mov_b32_e32 v12, v14
	s_or_b32 s4, vcc_lo, s4
	s_andn2_b32 exec_lo, exec_lo, s4
	s_cbranch_execnz .LBB7_756
	s_branch .LBB7_681
.LBB7_757:
	s_branch .LBB7_786
.LBB7_758:
                                        ; implicit-def: $vgpr2_vgpr3
	s_cbranch_execz .LBB7_786
; %bb.759:
	v_readfirstlane_b32 s4, v32
	v_mov_b32_e32 v8, 0
	v_mov_b32_e32 v9, 0
	v_cmp_eq_u32_e64 s4, s4, v32
	s_and_saveexec_b32 s5, s4
	s_cbranch_execz .LBB7_765
; %bb.760:
	s_waitcnt vmcnt(0)
	v_mov_b32_e32 v2, 0
	s_mov_b32 s10, exec_lo
	global_load_dwordx2 v[5:6], v2, s[6:7] offset:24 glc dlc
	s_waitcnt vmcnt(0)
	buffer_gl1_inv
	buffer_gl0_inv
	s_clause 0x1
	global_load_dwordx2 v[3:4], v2, s[6:7] offset:40
	global_load_dwordx2 v[7:8], v2, s[6:7]
	s_waitcnt vmcnt(1)
	v_and_b32_e32 v4, v4, v6
	v_and_b32_e32 v3, v3, v5
	v_mul_lo_u32 v4, v4, 24
	v_mul_hi_u32 v9, v3, 24
	v_mul_lo_u32 v3, v3, 24
	v_add_nc_u32_e32 v4, v9, v4
	s_waitcnt vmcnt(0)
	v_add_co_u32 v3, vcc_lo, v7, v3
	v_add_co_ci_u32_e32 v4, vcc_lo, v8, v4, vcc_lo
	global_load_dwordx2 v[3:4], v[3:4], off glc dlc
	s_waitcnt vmcnt(0)
	global_atomic_cmpswap_x2 v[8:9], v2, v[3:6], s[6:7] offset:24 glc
	s_waitcnt vmcnt(0)
	buffer_gl1_inv
	buffer_gl0_inv
	v_cmpx_ne_u64_e64 v[8:9], v[5:6]
	s_cbranch_execz .LBB7_764
; %bb.761:
	s_mov_b32 s11, 0
	.p2align	6
.LBB7_762:                              ; =>This Inner Loop Header: Depth=1
	s_sleep 1
	s_clause 0x1
	global_load_dwordx2 v[3:4], v2, s[6:7] offset:40
	global_load_dwordx2 v[10:11], v2, s[6:7]
	v_mov_b32_e32 v5, v8
	v_mov_b32_e32 v6, v9
	s_waitcnt vmcnt(1)
	v_and_b32_e32 v3, v3, v5
	v_and_b32_e32 v4, v4, v6
	s_waitcnt vmcnt(0)
	v_mad_u64_u32 v[7:8], null, v3, 24, v[10:11]
	v_mov_b32_e32 v3, v8
	v_mad_u64_u32 v[3:4], null, v4, 24, v[3:4]
	v_mov_b32_e32 v8, v3
	global_load_dwordx2 v[3:4], v[7:8], off glc dlc
	s_waitcnt vmcnt(0)
	global_atomic_cmpswap_x2 v[8:9], v2, v[3:6], s[6:7] offset:24 glc
	s_waitcnt vmcnt(0)
	buffer_gl1_inv
	buffer_gl0_inv
	v_cmp_eq_u64_e32 vcc_lo, v[8:9], v[5:6]
	s_or_b32 s11, vcc_lo, s11
	s_andn2_b32 exec_lo, exec_lo, s11
	s_cbranch_execnz .LBB7_762
; %bb.763:
	s_or_b32 exec_lo, exec_lo, s11
.LBB7_764:
	s_or_b32 exec_lo, exec_lo, s10
.LBB7_765:
	s_or_b32 exec_lo, exec_lo, s5
	s_waitcnt vmcnt(0)
	v_mov_b32_e32 v2, 0
	v_readfirstlane_b32 s10, v8
	v_readfirstlane_b32 s11, v9
	s_mov_b32 s5, exec_lo
	s_clause 0x1
	global_load_dwordx2 v[10:11], v2, s[6:7] offset:40
	global_load_dwordx4 v[4:7], v2, s[6:7]
	s_waitcnt vmcnt(1)
	v_readfirstlane_b32 s16, v10
	v_readfirstlane_b32 s17, v11
	s_and_b64 s[16:17], s[10:11], s[16:17]
	s_mul_i32 s18, s17, 24
	s_mul_hi_u32 s19, s16, 24
	s_mul_i32 s20, s16, 24
	s_add_i32 s19, s19, s18
	s_waitcnt vmcnt(0)
	v_add_co_u32 v8, vcc_lo, v4, s20
	v_add_co_ci_u32_e32 v9, vcc_lo, s19, v5, vcc_lo
	s_and_saveexec_b32 s18, s4
	s_cbranch_execz .LBB7_767
; %bb.766:
	v_mov_b32_e32 v10, s5
	v_mov_b32_e32 v11, v2
	;; [unrolled: 1-line block ×4, first 2 shown]
	global_store_dwordx4 v[8:9], v[10:13], off offset:8
.LBB7_767:
	s_or_b32 exec_lo, exec_lo, s18
	s_lshl_b64 s[16:17], s[16:17], 12
	v_and_or_b32 v0, 0xffffff1f, v0, 32
	v_add_co_u32 v6, vcc_lo, v6, s16
	v_add_co_ci_u32_e32 v7, vcc_lo, s17, v7, vcc_lo
	s_mov_b32 s16, 0
	v_readfirstlane_b32 s20, v6
	v_add_co_u32 v6, vcc_lo, v6, v31
	s_mov_b32 s17, s16
	s_mov_b32 s18, s16
	;; [unrolled: 1-line block ×3, first 2 shown]
	v_mov_b32_e32 v3, v2
	v_readfirstlane_b32 s21, v7
	v_mov_b32_e32 v10, s16
	v_add_co_ci_u32_e32 v7, vcc_lo, 0, v7, vcc_lo
	v_mov_b32_e32 v11, s17
	v_mov_b32_e32 v12, s18
	;; [unrolled: 1-line block ×3, first 2 shown]
	global_store_dwordx4 v31, v[0:3], s[20:21]
	global_store_dwordx4 v31, v[10:13], s[20:21] offset:16
	global_store_dwordx4 v31, v[10:13], s[20:21] offset:32
	;; [unrolled: 1-line block ×3, first 2 shown]
	s_and_saveexec_b32 s5, s4
	s_cbranch_execz .LBB7_775
; %bb.768:
	v_mov_b32_e32 v10, 0
	v_mov_b32_e32 v11, s10
	;; [unrolled: 1-line block ×3, first 2 shown]
	s_clause 0x1
	global_load_dwordx2 v[13:14], v10, s[6:7] offset:32 glc dlc
	global_load_dwordx2 v[0:1], v10, s[6:7] offset:40
	s_waitcnt vmcnt(0)
	v_readfirstlane_b32 s16, v0
	v_readfirstlane_b32 s17, v1
	s_and_b64 s[16:17], s[16:17], s[10:11]
	s_mul_i32 s17, s17, 24
	s_mul_hi_u32 s18, s16, 24
	s_mul_i32 s16, s16, 24
	s_add_i32 s18, s18, s17
	v_add_co_u32 v4, vcc_lo, v4, s16
	v_add_co_ci_u32_e32 v5, vcc_lo, s18, v5, vcc_lo
	s_mov_b32 s16, exec_lo
	global_store_dwordx2 v[4:5], v[13:14], off
	s_waitcnt_vscnt null, 0x0
	global_atomic_cmpswap_x2 v[2:3], v10, v[11:14], s[6:7] offset:32 glc
	s_waitcnt vmcnt(0)
	v_cmpx_ne_u64_e64 v[2:3], v[13:14]
	s_cbranch_execz .LBB7_771
; %bb.769:
	s_mov_b32 s17, 0
.LBB7_770:                              ; =>This Inner Loop Header: Depth=1
	v_mov_b32_e32 v0, s10
	v_mov_b32_e32 v1, s11
	s_sleep 1
	global_store_dwordx2 v[4:5], v[2:3], off
	s_waitcnt_vscnt null, 0x0
	global_atomic_cmpswap_x2 v[0:1], v10, v[0:3], s[6:7] offset:32 glc
	s_waitcnt vmcnt(0)
	v_cmp_eq_u64_e32 vcc_lo, v[0:1], v[2:3]
	v_mov_b32_e32 v3, v1
	v_mov_b32_e32 v2, v0
	s_or_b32 s17, vcc_lo, s17
	s_andn2_b32 exec_lo, exec_lo, s17
	s_cbranch_execnz .LBB7_770
.LBB7_771:
	s_or_b32 exec_lo, exec_lo, s16
	v_mov_b32_e32 v3, 0
	s_mov_b32 s17, exec_lo
	s_mov_b32 s16, exec_lo
	v_mbcnt_lo_u32_b32 v2, s17, 0
	global_load_dwordx2 v[0:1], v3, s[6:7] offset:16
	v_cmpx_eq_u32_e32 0, v2
	s_cbranch_execz .LBB7_773
; %bb.772:
	s_bcnt1_i32_b32 s17, s17
	v_mov_b32_e32 v2, s17
	s_waitcnt vmcnt(0)
	global_atomic_add_x2 v[0:1], v[2:3], off offset:8
.LBB7_773:
	s_or_b32 exec_lo, exec_lo, s16
	s_waitcnt vmcnt(0)
	global_load_dwordx2 v[2:3], v[0:1], off offset:16
	s_waitcnt vmcnt(0)
	v_cmp_eq_u64_e32 vcc_lo, 0, v[2:3]
	s_cbranch_vccnz .LBB7_775
; %bb.774:
	global_load_dword v0, v[0:1], off offset:24
	v_mov_b32_e32 v1, 0
	s_waitcnt vmcnt(0)
	v_and_b32_e32 v4, 0x7fffff, v0
	s_waitcnt_vscnt null, 0x0
	global_store_dwordx2 v[2:3], v[0:1], off
	v_readfirstlane_b32 m0, v4
	s_sendmsg sendmsg(MSG_INTERRUPT)
.LBB7_775:
	s_or_b32 exec_lo, exec_lo, s5
	s_branch .LBB7_779
	.p2align	6
.LBB7_776:                              ;   in Loop: Header=BB7_779 Depth=1
	s_or_b32 exec_lo, exec_lo, s5
	v_readfirstlane_b32 s5, v0
	s_cmp_eq_u32 s5, 0
	s_cbranch_scc1 .LBB7_778
; %bb.777:                              ;   in Loop: Header=BB7_779 Depth=1
	s_sleep 1
	s_cbranch_execnz .LBB7_779
	s_branch .LBB7_781
	.p2align	6
.LBB7_778:
	s_branch .LBB7_781
.LBB7_779:                              ; =>This Inner Loop Header: Depth=1
	v_mov_b32_e32 v0, 1
	s_and_saveexec_b32 s5, s4
	s_cbranch_execz .LBB7_776
; %bb.780:                              ;   in Loop: Header=BB7_779 Depth=1
	global_load_dword v0, v[8:9], off offset:20 glc dlc
	s_waitcnt vmcnt(0)
	buffer_gl1_inv
	buffer_gl0_inv
	v_and_b32_e32 v0, 1, v0
	s_branch .LBB7_776
.LBB7_781:
	global_load_dwordx2 v[2:3], v[6:7], off
	s_and_saveexec_b32 s5, s4
	s_cbranch_execz .LBB7_785
; %bb.782:
	v_mov_b32_e32 v8, 0
	s_clause 0x2
	global_load_dwordx2 v[0:1], v8, s[6:7] offset:40
	global_load_dwordx2 v[9:10], v8, s[6:7] offset:24 glc dlc
	global_load_dwordx2 v[6:7], v8, s[6:7]
	s_waitcnt vmcnt(2)
	v_add_co_u32 v11, vcc_lo, v0, 1
	v_add_co_ci_u32_e32 v12, vcc_lo, 0, v1, vcc_lo
	v_add_co_u32 v4, vcc_lo, v11, s10
	v_add_co_ci_u32_e32 v5, vcc_lo, s11, v12, vcc_lo
	v_cmp_eq_u64_e32 vcc_lo, 0, v[4:5]
	v_cndmask_b32_e32 v5, v5, v12, vcc_lo
	v_cndmask_b32_e32 v4, v4, v11, vcc_lo
	v_and_b32_e32 v1, v5, v1
	v_and_b32_e32 v0, v4, v0
	v_mul_lo_u32 v1, v1, 24
	v_mul_hi_u32 v11, v0, 24
	v_mul_lo_u32 v0, v0, 24
	v_add_nc_u32_e32 v1, v11, v1
	s_waitcnt vmcnt(0)
	v_add_co_u32 v0, vcc_lo, v6, v0
	v_mov_b32_e32 v6, v9
	v_add_co_ci_u32_e32 v1, vcc_lo, v7, v1, vcc_lo
	v_mov_b32_e32 v7, v10
	global_store_dwordx2 v[0:1], v[9:10], off
	s_waitcnt_vscnt null, 0x0
	global_atomic_cmpswap_x2 v[6:7], v8, v[4:7], s[6:7] offset:24 glc
	s_waitcnt vmcnt(0)
	v_cmp_ne_u64_e32 vcc_lo, v[6:7], v[9:10]
	s_and_b32 exec_lo, exec_lo, vcc_lo
	s_cbranch_execz .LBB7_785
; %bb.783:
	s_mov_b32 s4, 0
.LBB7_784:                              ; =>This Inner Loop Header: Depth=1
	s_sleep 1
	global_store_dwordx2 v[0:1], v[6:7], off
	s_waitcnt_vscnt null, 0x0
	global_atomic_cmpswap_x2 v[9:10], v8, v[4:7], s[6:7] offset:24 glc
	s_waitcnt vmcnt(0)
	v_cmp_eq_u64_e32 vcc_lo, v[9:10], v[6:7]
	v_mov_b32_e32 v6, v9
	v_mov_b32_e32 v7, v10
	s_or_b32 s4, vcc_lo, s4
	s_andn2_b32 exec_lo, exec_lo, s4
	s_cbranch_execnz .LBB7_784
.LBB7_785:
	s_or_b32 exec_lo, exec_lo, s5
.LBB7_786:
	v_readfirstlane_b32 s4, v32
	s_waitcnt vmcnt(0)
	v_mov_b32_e32 v0, 0
	v_mov_b32_e32 v1, 0
	v_cmp_eq_u32_e64 s4, s4, v32
	s_and_saveexec_b32 s5, s4
	s_cbranch_execz .LBB7_792
; %bb.787:
	v_mov_b32_e32 v4, 0
	s_mov_b32 s10, exec_lo
	global_load_dwordx2 v[7:8], v4, s[6:7] offset:24 glc dlc
	s_waitcnt vmcnt(0)
	buffer_gl1_inv
	buffer_gl0_inv
	s_clause 0x1
	global_load_dwordx2 v[0:1], v4, s[6:7] offset:40
	global_load_dwordx2 v[5:6], v4, s[6:7]
	s_waitcnt vmcnt(1)
	v_and_b32_e32 v1, v1, v8
	v_and_b32_e32 v0, v0, v7
	v_mul_lo_u32 v1, v1, 24
	v_mul_hi_u32 v9, v0, 24
	v_mul_lo_u32 v0, v0, 24
	v_add_nc_u32_e32 v1, v9, v1
	s_waitcnt vmcnt(0)
	v_add_co_u32 v0, vcc_lo, v5, v0
	v_add_co_ci_u32_e32 v1, vcc_lo, v6, v1, vcc_lo
	global_load_dwordx2 v[5:6], v[0:1], off glc dlc
	s_waitcnt vmcnt(0)
	global_atomic_cmpswap_x2 v[0:1], v4, v[5:8], s[6:7] offset:24 glc
	s_waitcnt vmcnt(0)
	buffer_gl1_inv
	buffer_gl0_inv
	v_cmpx_ne_u64_e64 v[0:1], v[7:8]
	s_cbranch_execz .LBB7_791
; %bb.788:
	s_mov_b32 s11, 0
	.p2align	6
.LBB7_789:                              ; =>This Inner Loop Header: Depth=1
	s_sleep 1
	s_clause 0x1
	global_load_dwordx2 v[5:6], v4, s[6:7] offset:40
	global_load_dwordx2 v[9:10], v4, s[6:7]
	v_mov_b32_e32 v8, v1
	v_mov_b32_e32 v7, v0
	s_waitcnt vmcnt(1)
	v_and_b32_e32 v0, v5, v7
	v_and_b32_e32 v5, v6, v8
	s_waitcnt vmcnt(0)
	v_mad_u64_u32 v[0:1], null, v0, 24, v[9:10]
	v_mad_u64_u32 v[5:6], null, v5, 24, v[1:2]
	v_mov_b32_e32 v1, v5
	global_load_dwordx2 v[5:6], v[0:1], off glc dlc
	s_waitcnt vmcnt(0)
	global_atomic_cmpswap_x2 v[0:1], v4, v[5:8], s[6:7] offset:24 glc
	s_waitcnt vmcnt(0)
	buffer_gl1_inv
	buffer_gl0_inv
	v_cmp_eq_u64_e32 vcc_lo, v[0:1], v[7:8]
	s_or_b32 s11, vcc_lo, s11
	s_andn2_b32 exec_lo, exec_lo, s11
	s_cbranch_execnz .LBB7_789
; %bb.790:
	s_or_b32 exec_lo, exec_lo, s11
.LBB7_791:
	s_or_b32 exec_lo, exec_lo, s10
.LBB7_792:
	s_or_b32 exec_lo, exec_lo, s5
	v_mov_b32_e32 v5, 0
	v_readfirstlane_b32 s10, v0
	v_readfirstlane_b32 s11, v1
	s_mov_b32 s5, exec_lo
	s_clause 0x1
	global_load_dwordx2 v[10:11], v5, s[6:7] offset:40
	global_load_dwordx4 v[6:9], v5, s[6:7]
	s_waitcnt vmcnt(1)
	v_readfirstlane_b32 s16, v10
	v_readfirstlane_b32 s17, v11
	s_and_b64 s[16:17], s[10:11], s[16:17]
	s_mul_i32 s18, s17, 24
	s_mul_hi_u32 s19, s16, 24
	s_mul_i32 s20, s16, 24
	s_add_i32 s19, s19, s18
	s_waitcnt vmcnt(0)
	v_add_co_u32 v10, vcc_lo, v6, s20
	v_add_co_ci_u32_e32 v11, vcc_lo, s19, v7, vcc_lo
	s_and_saveexec_b32 s18, s4
	s_cbranch_execz .LBB7_794
; %bb.793:
	v_mov_b32_e32 v4, s5
	v_mov_b32_e32 v13, v5
	;; [unrolled: 1-line block ×5, first 2 shown]
	global_store_dwordx4 v[10:11], v[12:15], off offset:8
.LBB7_794:
	s_or_b32 exec_lo, exec_lo, s18
	s_lshl_b64 s[16:17], s[16:17], 12
	v_and_or_b32 v2, 0xffffff1d, v2, 34
	v_add_co_u32 v0, vcc_lo, v8, s16
	v_add_co_ci_u32_e32 v1, vcc_lo, s17, v9, vcc_lo
	s_mov_b32 s16, 0
	v_mov_b32_e32 v4, 58
	s_mov_b32 s17, s16
	s_mov_b32 s18, s16
	;; [unrolled: 1-line block ×3, first 2 shown]
	v_readfirstlane_b32 s20, v0
	v_readfirstlane_b32 s21, v1
	v_mov_b32_e32 v12, s16
	v_mov_b32_e32 v13, s17
	;; [unrolled: 1-line block ×4, first 2 shown]
	global_store_dwordx4 v31, v[2:5], s[20:21]
	global_store_dwordx4 v31, v[12:15], s[20:21] offset:16
	global_store_dwordx4 v31, v[12:15], s[20:21] offset:32
	;; [unrolled: 1-line block ×3, first 2 shown]
	s_and_saveexec_b32 s5, s4
	s_cbranch_execz .LBB7_802
; %bb.795:
	v_mov_b32_e32 v8, 0
	v_mov_b32_e32 v12, s10
	;; [unrolled: 1-line block ×3, first 2 shown]
	s_clause 0x1
	global_load_dwordx2 v[14:15], v8, s[6:7] offset:32 glc dlc
	global_load_dwordx2 v[0:1], v8, s[6:7] offset:40
	s_waitcnt vmcnt(0)
	v_readfirstlane_b32 s16, v0
	v_readfirstlane_b32 s17, v1
	s_and_b64 s[16:17], s[16:17], s[10:11]
	s_mul_i32 s17, s17, 24
	s_mul_hi_u32 s18, s16, 24
	s_mul_i32 s16, s16, 24
	s_add_i32 s18, s18, s17
	v_add_co_u32 v4, vcc_lo, v6, s16
	v_add_co_ci_u32_e32 v5, vcc_lo, s18, v7, vcc_lo
	s_mov_b32 s16, exec_lo
	global_store_dwordx2 v[4:5], v[14:15], off
	s_waitcnt_vscnt null, 0x0
	global_atomic_cmpswap_x2 v[2:3], v8, v[12:15], s[6:7] offset:32 glc
	s_waitcnt vmcnt(0)
	v_cmpx_ne_u64_e64 v[2:3], v[14:15]
	s_cbranch_execz .LBB7_798
; %bb.796:
	s_mov_b32 s17, 0
.LBB7_797:                              ; =>This Inner Loop Header: Depth=1
	v_mov_b32_e32 v0, s10
	v_mov_b32_e32 v1, s11
	s_sleep 1
	global_store_dwordx2 v[4:5], v[2:3], off
	s_waitcnt_vscnt null, 0x0
	global_atomic_cmpswap_x2 v[0:1], v8, v[0:3], s[6:7] offset:32 glc
	s_waitcnt vmcnt(0)
	v_cmp_eq_u64_e32 vcc_lo, v[0:1], v[2:3]
	v_mov_b32_e32 v3, v1
	v_mov_b32_e32 v2, v0
	s_or_b32 s17, vcc_lo, s17
	s_andn2_b32 exec_lo, exec_lo, s17
	s_cbranch_execnz .LBB7_797
.LBB7_798:
	s_or_b32 exec_lo, exec_lo, s16
	v_mov_b32_e32 v3, 0
	s_mov_b32 s17, exec_lo
	s_mov_b32 s16, exec_lo
	v_mbcnt_lo_u32_b32 v2, s17, 0
	global_load_dwordx2 v[0:1], v3, s[6:7] offset:16
	v_cmpx_eq_u32_e32 0, v2
	s_cbranch_execz .LBB7_800
; %bb.799:
	s_bcnt1_i32_b32 s17, s17
	v_mov_b32_e32 v2, s17
	s_waitcnt vmcnt(0)
	global_atomic_add_x2 v[0:1], v[2:3], off offset:8
.LBB7_800:
	s_or_b32 exec_lo, exec_lo, s16
	s_waitcnt vmcnt(0)
	global_load_dwordx2 v[2:3], v[0:1], off offset:16
	s_waitcnt vmcnt(0)
	v_cmp_eq_u64_e32 vcc_lo, 0, v[2:3]
	s_cbranch_vccnz .LBB7_802
; %bb.801:
	global_load_dword v0, v[0:1], off offset:24
	v_mov_b32_e32 v1, 0
	s_waitcnt vmcnt(0)
	v_and_b32_e32 v4, 0x7fffff, v0
	s_waitcnt_vscnt null, 0x0
	global_store_dwordx2 v[2:3], v[0:1], off
	v_readfirstlane_b32 m0, v4
	s_sendmsg sendmsg(MSG_INTERRUPT)
.LBB7_802:
	s_or_b32 exec_lo, exec_lo, s5
	s_branch .LBB7_806
	.p2align	6
.LBB7_803:                              ;   in Loop: Header=BB7_806 Depth=1
	s_or_b32 exec_lo, exec_lo, s5
	v_readfirstlane_b32 s5, v0
	s_cmp_eq_u32 s5, 0
	s_cbranch_scc1 .LBB7_805
; %bb.804:                              ;   in Loop: Header=BB7_806 Depth=1
	s_sleep 1
	s_cbranch_execnz .LBB7_806
	s_branch .LBB7_808
	.p2align	6
.LBB7_805:
	s_branch .LBB7_808
.LBB7_806:                              ; =>This Inner Loop Header: Depth=1
	v_mov_b32_e32 v0, 1
	s_and_saveexec_b32 s5, s4
	s_cbranch_execz .LBB7_803
; %bb.807:                              ;   in Loop: Header=BB7_806 Depth=1
	global_load_dword v0, v[10:11], off offset:20 glc dlc
	s_waitcnt vmcnt(0)
	buffer_gl1_inv
	buffer_gl0_inv
	v_and_b32_e32 v0, 1, v0
	s_branch .LBB7_803
.LBB7_808:
	s_and_saveexec_b32 s5, s4
	s_cbranch_execz .LBB7_812
; %bb.809:
	v_mov_b32_e32 v6, 0
	s_clause 0x2
	global_load_dwordx2 v[2:3], v6, s[6:7] offset:40
	global_load_dwordx2 v[7:8], v6, s[6:7] offset:24 glc dlc
	global_load_dwordx2 v[4:5], v6, s[6:7]
	s_waitcnt vmcnt(2)
	v_add_co_u32 v9, vcc_lo, v2, 1
	v_add_co_ci_u32_e32 v10, vcc_lo, 0, v3, vcc_lo
	v_add_co_u32 v0, vcc_lo, v9, s10
	v_add_co_ci_u32_e32 v1, vcc_lo, s11, v10, vcc_lo
	v_cmp_eq_u64_e32 vcc_lo, 0, v[0:1]
	v_cndmask_b32_e32 v1, v1, v10, vcc_lo
	v_cndmask_b32_e32 v0, v0, v9, vcc_lo
	v_and_b32_e32 v3, v1, v3
	v_and_b32_e32 v2, v0, v2
	v_mul_lo_u32 v3, v3, 24
	v_mul_hi_u32 v9, v2, 24
	v_mul_lo_u32 v2, v2, 24
	v_add_nc_u32_e32 v3, v9, v3
	s_waitcnt vmcnt(0)
	v_add_co_u32 v4, vcc_lo, v4, v2
	v_mov_b32_e32 v2, v7
	v_add_co_ci_u32_e32 v5, vcc_lo, v5, v3, vcc_lo
	v_mov_b32_e32 v3, v8
	global_store_dwordx2 v[4:5], v[7:8], off
	s_waitcnt_vscnt null, 0x0
	global_atomic_cmpswap_x2 v[2:3], v6, v[0:3], s[6:7] offset:24 glc
	s_waitcnt vmcnt(0)
	v_cmp_ne_u64_e32 vcc_lo, v[2:3], v[7:8]
	s_and_b32 exec_lo, exec_lo, vcc_lo
	s_cbranch_execz .LBB7_812
; %bb.810:
	s_mov_b32 s4, 0
.LBB7_811:                              ; =>This Inner Loop Header: Depth=1
	s_sleep 1
	global_store_dwordx2 v[4:5], v[2:3], off
	s_waitcnt_vscnt null, 0x0
	global_atomic_cmpswap_x2 v[7:8], v6, v[0:3], s[6:7] offset:24 glc
	s_waitcnt vmcnt(0)
	v_cmp_eq_u64_e32 vcc_lo, v[7:8], v[2:3]
	v_mov_b32_e32 v2, v7
	v_mov_b32_e32 v3, v8
	s_or_b32 s4, vcc_lo, s4
	s_andn2_b32 exec_lo, exec_lo, s4
	s_cbranch_execnz .LBB7_811
.LBB7_812:
	s_or_b32 exec_lo, exec_lo, s5
	v_readfirstlane_b32 s4, v32
	v_mov_b32_e32 v6, 0
	v_mov_b32_e32 v7, 0
	v_cmp_eq_u32_e64 s4, s4, v32
	s_and_saveexec_b32 s5, s4
	s_cbranch_execz .LBB7_818
; %bb.813:
	v_mov_b32_e32 v0, 0
	s_mov_b32 s10, exec_lo
	global_load_dwordx2 v[3:4], v0, s[6:7] offset:24 glc dlc
	s_waitcnt vmcnt(0)
	buffer_gl1_inv
	buffer_gl0_inv
	s_clause 0x1
	global_load_dwordx2 v[1:2], v0, s[6:7] offset:40
	global_load_dwordx2 v[5:6], v0, s[6:7]
	s_waitcnt vmcnt(1)
	v_and_b32_e32 v2, v2, v4
	v_and_b32_e32 v1, v1, v3
	v_mul_lo_u32 v2, v2, 24
	v_mul_hi_u32 v7, v1, 24
	v_mul_lo_u32 v1, v1, 24
	v_add_nc_u32_e32 v2, v7, v2
	s_waitcnt vmcnt(0)
	v_add_co_u32 v1, vcc_lo, v5, v1
	v_add_co_ci_u32_e32 v2, vcc_lo, v6, v2, vcc_lo
	global_load_dwordx2 v[1:2], v[1:2], off glc dlc
	s_waitcnt vmcnt(0)
	global_atomic_cmpswap_x2 v[6:7], v0, v[1:4], s[6:7] offset:24 glc
	s_waitcnt vmcnt(0)
	buffer_gl1_inv
	buffer_gl0_inv
	v_cmpx_ne_u64_e64 v[6:7], v[3:4]
	s_cbranch_execz .LBB7_817
; %bb.814:
	s_mov_b32 s11, 0
	.p2align	6
.LBB7_815:                              ; =>This Inner Loop Header: Depth=1
	s_sleep 1
	s_clause 0x1
	global_load_dwordx2 v[1:2], v0, s[6:7] offset:40
	global_load_dwordx2 v[8:9], v0, s[6:7]
	v_mov_b32_e32 v3, v6
	v_mov_b32_e32 v4, v7
	s_waitcnt vmcnt(1)
	v_and_b32_e32 v1, v1, v3
	v_and_b32_e32 v2, v2, v4
	s_waitcnt vmcnt(0)
	v_mad_u64_u32 v[5:6], null, v1, 24, v[8:9]
	v_mov_b32_e32 v1, v6
	v_mad_u64_u32 v[1:2], null, v2, 24, v[1:2]
	v_mov_b32_e32 v6, v1
	global_load_dwordx2 v[1:2], v[5:6], off glc dlc
	s_waitcnt vmcnt(0)
	global_atomic_cmpswap_x2 v[6:7], v0, v[1:4], s[6:7] offset:24 glc
	s_waitcnt vmcnt(0)
	buffer_gl1_inv
	buffer_gl0_inv
	v_cmp_eq_u64_e32 vcc_lo, v[6:7], v[3:4]
	s_or_b32 s11, vcc_lo, s11
	s_andn2_b32 exec_lo, exec_lo, s11
	s_cbranch_execnz .LBB7_815
; %bb.816:
	s_or_b32 exec_lo, exec_lo, s11
.LBB7_817:
	s_or_b32 exec_lo, exec_lo, s10
.LBB7_818:
	s_or_b32 exec_lo, exec_lo, s5
	v_mov_b32_e32 v5, 0
	v_readfirstlane_b32 s10, v6
	v_readfirstlane_b32 s11, v7
	s_mov_b32 s5, exec_lo
	s_clause 0x1
	global_load_dwordx2 v[8:9], v5, s[6:7] offset:40
	global_load_dwordx4 v[0:3], v5, s[6:7]
	s_waitcnt vmcnt(1)
	v_readfirstlane_b32 s16, v8
	v_readfirstlane_b32 s17, v9
	s_and_b64 s[16:17], s[10:11], s[16:17]
	s_mul_i32 s18, s17, 24
	s_mul_hi_u32 s19, s16, 24
	s_mul_i32 s20, s16, 24
	s_add_i32 s19, s19, s18
	s_waitcnt vmcnt(0)
	v_add_co_u32 v8, vcc_lo, v0, s20
	v_add_co_ci_u32_e32 v9, vcc_lo, s19, v1, vcc_lo
	s_and_saveexec_b32 s18, s4
	s_cbranch_execz .LBB7_820
; %bb.819:
	v_mov_b32_e32 v4, s5
	v_mov_b32_e32 v6, 2
	;; [unrolled: 1-line block ×3, first 2 shown]
	global_store_dwordx4 v[8:9], v[4:7], off offset:8
.LBB7_820:
	s_or_b32 exec_lo, exec_lo, s18
	s_lshl_b64 s[16:17], s[16:17], 12
	v_mov_b32_e32 v4, 33
	v_add_co_u32 v2, vcc_lo, v2, s16
	v_add_co_ci_u32_e32 v3, vcc_lo, s17, v3, vcc_lo
	s_mov_b32 s16, 0
	v_add_co_u32 v10, vcc_lo, v2, v31
	s_mov_b32 s17, s16
	s_mov_b32 s18, s16
	;; [unrolled: 1-line block ×3, first 2 shown]
	v_mov_b32_e32 v6, v5
	v_mov_b32_e32 v7, v5
	v_readfirstlane_b32 s20, v2
	v_readfirstlane_b32 s21, v3
	v_mov_b32_e32 v12, s16
	v_add_co_ci_u32_e32 v11, vcc_lo, 0, v3, vcc_lo
	v_mov_b32_e32 v13, s17
	v_mov_b32_e32 v14, s18
	;; [unrolled: 1-line block ×3, first 2 shown]
	global_store_dwordx4 v31, v[4:7], s[20:21]
	global_store_dwordx4 v31, v[12:15], s[20:21] offset:16
	global_store_dwordx4 v31, v[12:15], s[20:21] offset:32
	;; [unrolled: 1-line block ×3, first 2 shown]
	s_and_saveexec_b32 s5, s4
	s_cbranch_execz .LBB7_828
; %bb.821:
	v_mov_b32_e32 v6, 0
	v_mov_b32_e32 v12, s10
	;; [unrolled: 1-line block ×3, first 2 shown]
	s_clause 0x1
	global_load_dwordx2 v[14:15], v6, s[6:7] offset:32 glc dlc
	global_load_dwordx2 v[2:3], v6, s[6:7] offset:40
	s_waitcnt vmcnt(0)
	v_readfirstlane_b32 s16, v2
	v_readfirstlane_b32 s17, v3
	s_and_b64 s[16:17], s[16:17], s[10:11]
	s_mul_i32 s17, s17, 24
	s_mul_hi_u32 s18, s16, 24
	s_mul_i32 s16, s16, 24
	s_add_i32 s18, s18, s17
	v_add_co_u32 v4, vcc_lo, v0, s16
	v_add_co_ci_u32_e32 v5, vcc_lo, s18, v1, vcc_lo
	s_mov_b32 s16, exec_lo
	global_store_dwordx2 v[4:5], v[14:15], off
	s_waitcnt_vscnt null, 0x0
	global_atomic_cmpswap_x2 v[2:3], v6, v[12:15], s[6:7] offset:32 glc
	s_waitcnt vmcnt(0)
	v_cmpx_ne_u64_e64 v[2:3], v[14:15]
	s_cbranch_execz .LBB7_824
; %bb.822:
	s_mov_b32 s17, 0
.LBB7_823:                              ; =>This Inner Loop Header: Depth=1
	v_mov_b32_e32 v0, s10
	v_mov_b32_e32 v1, s11
	s_sleep 1
	global_store_dwordx2 v[4:5], v[2:3], off
	s_waitcnt_vscnt null, 0x0
	global_atomic_cmpswap_x2 v[0:1], v6, v[0:3], s[6:7] offset:32 glc
	s_waitcnt vmcnt(0)
	v_cmp_eq_u64_e32 vcc_lo, v[0:1], v[2:3]
	v_mov_b32_e32 v3, v1
	v_mov_b32_e32 v2, v0
	s_or_b32 s17, vcc_lo, s17
	s_andn2_b32 exec_lo, exec_lo, s17
	s_cbranch_execnz .LBB7_823
.LBB7_824:
	s_or_b32 exec_lo, exec_lo, s16
	v_mov_b32_e32 v3, 0
	s_mov_b32 s17, exec_lo
	s_mov_b32 s16, exec_lo
	v_mbcnt_lo_u32_b32 v2, s17, 0
	global_load_dwordx2 v[0:1], v3, s[6:7] offset:16
	v_cmpx_eq_u32_e32 0, v2
	s_cbranch_execz .LBB7_826
; %bb.825:
	s_bcnt1_i32_b32 s17, s17
	v_mov_b32_e32 v2, s17
	s_waitcnt vmcnt(0)
	global_atomic_add_x2 v[0:1], v[2:3], off offset:8
.LBB7_826:
	s_or_b32 exec_lo, exec_lo, s16
	s_waitcnt vmcnt(0)
	global_load_dwordx2 v[2:3], v[0:1], off offset:16
	s_waitcnt vmcnt(0)
	v_cmp_eq_u64_e32 vcc_lo, 0, v[2:3]
	s_cbranch_vccnz .LBB7_828
; %bb.827:
	global_load_dword v0, v[0:1], off offset:24
	v_mov_b32_e32 v1, 0
	s_waitcnt vmcnt(0)
	v_and_b32_e32 v4, 0x7fffff, v0
	s_waitcnt_vscnt null, 0x0
	global_store_dwordx2 v[2:3], v[0:1], off
	v_readfirstlane_b32 m0, v4
	s_sendmsg sendmsg(MSG_INTERRUPT)
.LBB7_828:
	s_or_b32 exec_lo, exec_lo, s5
	s_branch .LBB7_832
	.p2align	6
.LBB7_829:                              ;   in Loop: Header=BB7_832 Depth=1
	s_or_b32 exec_lo, exec_lo, s5
	v_readfirstlane_b32 s5, v0
	s_cmp_eq_u32 s5, 0
	s_cbranch_scc1 .LBB7_831
; %bb.830:                              ;   in Loop: Header=BB7_832 Depth=1
	s_sleep 1
	s_cbranch_execnz .LBB7_832
	s_branch .LBB7_834
	.p2align	6
.LBB7_831:
	s_branch .LBB7_834
.LBB7_832:                              ; =>This Inner Loop Header: Depth=1
	v_mov_b32_e32 v0, 1
	s_and_saveexec_b32 s5, s4
	s_cbranch_execz .LBB7_829
; %bb.833:                              ;   in Loop: Header=BB7_832 Depth=1
	global_load_dword v0, v[8:9], off offset:20 glc dlc
	s_waitcnt vmcnt(0)
	buffer_gl1_inv
	buffer_gl0_inv
	v_and_b32_e32 v0, 1, v0
	s_branch .LBB7_829
.LBB7_834:
	global_load_dwordx2 v[0:1], v[10:11], off
	s_and_saveexec_b32 s5, s4
	s_cbranch_execz .LBB7_838
; %bb.835:
	v_mov_b32_e32 v8, 0
	s_clause 0x2
	global_load_dwordx2 v[4:5], v8, s[6:7] offset:40
	global_load_dwordx2 v[9:10], v8, s[6:7] offset:24 glc dlc
	global_load_dwordx2 v[6:7], v8, s[6:7]
	s_waitcnt vmcnt(2)
	v_add_co_u32 v11, vcc_lo, v4, 1
	v_add_co_ci_u32_e32 v12, vcc_lo, 0, v5, vcc_lo
	v_add_co_u32 v2, vcc_lo, v11, s10
	v_add_co_ci_u32_e32 v3, vcc_lo, s11, v12, vcc_lo
	v_cmp_eq_u64_e32 vcc_lo, 0, v[2:3]
	v_cndmask_b32_e32 v3, v3, v12, vcc_lo
	v_cndmask_b32_e32 v2, v2, v11, vcc_lo
	v_and_b32_e32 v5, v3, v5
	v_and_b32_e32 v4, v2, v4
	v_mul_lo_u32 v5, v5, 24
	v_mul_hi_u32 v11, v4, 24
	v_mul_lo_u32 v4, v4, 24
	v_add_nc_u32_e32 v5, v11, v5
	s_waitcnt vmcnt(0)
	v_add_co_u32 v6, vcc_lo, v6, v4
	v_mov_b32_e32 v4, v9
	v_add_co_ci_u32_e32 v7, vcc_lo, v7, v5, vcc_lo
	v_mov_b32_e32 v5, v10
	global_store_dwordx2 v[6:7], v[9:10], off
	s_waitcnt_vscnt null, 0x0
	global_atomic_cmpswap_x2 v[4:5], v8, v[2:5], s[6:7] offset:24 glc
	s_waitcnt vmcnt(0)
	v_cmp_ne_u64_e32 vcc_lo, v[4:5], v[9:10]
	s_and_b32 exec_lo, exec_lo, vcc_lo
	s_cbranch_execz .LBB7_838
; %bb.836:
	s_mov_b32 s4, 0
.LBB7_837:                              ; =>This Inner Loop Header: Depth=1
	s_sleep 1
	global_store_dwordx2 v[6:7], v[4:5], off
	s_waitcnt_vscnt null, 0x0
	global_atomic_cmpswap_x2 v[9:10], v8, v[2:5], s[6:7] offset:24 glc
	s_waitcnt vmcnt(0)
	v_cmp_eq_u64_e32 vcc_lo, v[9:10], v[4:5]
	v_mov_b32_e32 v4, v9
	v_mov_b32_e32 v5, v10
	s_or_b32 s4, vcc_lo, s4
	s_andn2_b32 exec_lo, exec_lo, s4
	s_cbranch_execnz .LBB7_837
.LBB7_838:
	s_or_b32 exec_lo, exec_lo, s5
	s_getpc_b64 s[10:11]
	s_add_u32 s10, s10, .str.7@rel32@lo+4
	s_addc_u32 s11, s11, .str.7@rel32@hi+12
	s_cmp_lg_u64 s[10:11], 0
	s_cbranch_scc0 .LBB7_917
; %bb.839:
	s_waitcnt vmcnt(0)
	v_and_b32_e32 v33, 2, v0
	v_mov_b32_e32 v6, 0
	v_and_b32_e32 v2, -3, v0
	v_mov_b32_e32 v3, v1
	v_mov_b32_e32 v7, 2
	;; [unrolled: 1-line block ×3, first 2 shown]
	s_mov_b64 s[16:17], 4
	s_branch .LBB7_841
.LBB7_840:                              ;   in Loop: Header=BB7_841 Depth=1
	s_or_b32 exec_lo, exec_lo, s5
	s_sub_u32 s16, s16, s18
	s_subb_u32 s17, s17, s19
	s_add_u32 s10, s10, s18
	s_addc_u32 s11, s11, s19
	s_cmp_lg_u64 s[16:17], 0
	s_cbranch_scc0 .LBB7_916
.LBB7_841:                              ; =>This Loop Header: Depth=1
                                        ;     Child Loop BB7_850 Depth 2
                                        ;     Child Loop BB7_846 Depth 2
	;; [unrolled: 1-line block ×11, first 2 shown]
	v_cmp_lt_u64_e64 s4, s[16:17], 56
	v_cmp_gt_u64_e64 s5, s[16:17], 7
                                        ; implicit-def: $vgpr11_vgpr12
                                        ; implicit-def: $sgpr25
	s_and_b32 s4, s4, exec_lo
	s_cselect_b32 s19, s17, 0
	s_cselect_b32 s18, s16, 56
	s_and_b32 vcc_lo, exec_lo, s5
	s_mov_b32 s4, -1
	s_cbranch_vccz .LBB7_848
; %bb.842:                              ;   in Loop: Header=BB7_841 Depth=1
	s_andn2_b32 vcc_lo, exec_lo, s4
	s_mov_b64 s[4:5], s[10:11]
	s_cbranch_vccz .LBB7_852
.LBB7_843:                              ;   in Loop: Header=BB7_841 Depth=1
	s_cmp_gt_u32 s25, 7
	s_cbranch_scc1 .LBB7_853
.LBB7_844:                              ;   in Loop: Header=BB7_841 Depth=1
	v_mov_b32_e32 v13, 0
	v_mov_b32_e32 v14, 0
	s_cmp_eq_u32 s25, 0
	s_cbranch_scc1 .LBB7_847
; %bb.845:                              ;   in Loop: Header=BB7_841 Depth=1
	s_mov_b64 s[20:21], 0
	s_mov_b64 s[22:23], 0
.LBB7_846:                              ;   Parent Loop BB7_841 Depth=1
                                        ; =>  This Inner Loop Header: Depth=2
	s_add_u32 s26, s4, s22
	s_addc_u32 s27, s5, s23
	s_add_u32 s22, s22, 1
	global_load_ubyte v4, v6, s[26:27]
	s_addc_u32 s23, s23, 0
	s_waitcnt vmcnt(0)
	v_and_b32_e32 v5, 0xffff, v4
	v_lshlrev_b64 v[4:5], s20, v[5:6]
	s_add_u32 s20, s20, 8
	s_addc_u32 s21, s21, 0
	s_cmp_lg_u32 s25, s22
	v_or_b32_e32 v13, v4, v13
	v_or_b32_e32 v14, v5, v14
	s_cbranch_scc1 .LBB7_846
.LBB7_847:                              ;   in Loop: Header=BB7_841 Depth=1
	s_mov_b32 s26, 0
	s_cbranch_execz .LBB7_854
	s_branch .LBB7_855
.LBB7_848:                              ;   in Loop: Header=BB7_841 Depth=1
	v_mov_b32_e32 v11, 0
	v_mov_b32_e32 v12, 0
	s_cmp_eq_u64 s[16:17], 0
	s_mov_b64 s[4:5], 0
	s_cbranch_scc1 .LBB7_851
; %bb.849:                              ;   in Loop: Header=BB7_841 Depth=1
	v_mov_b32_e32 v11, 0
	v_mov_b32_e32 v12, 0
	s_lshl_b64 s[20:21], s[18:19], 3
	s_mov_b64 s[22:23], s[10:11]
.LBB7_850:                              ;   Parent Loop BB7_841 Depth=1
                                        ; =>  This Inner Loop Header: Depth=2
	global_load_ubyte v4, v6, s[22:23]
	s_waitcnt vmcnt(0)
	v_and_b32_e32 v5, 0xffff, v4
	v_lshlrev_b64 v[4:5], s4, v[5:6]
	s_add_u32 s4, s4, 8
	s_addc_u32 s5, s5, 0
	s_add_u32 s22, s22, 1
	s_addc_u32 s23, s23, 0
	s_cmp_lg_u32 s20, s4
	v_or_b32_e32 v11, v4, v11
	v_or_b32_e32 v12, v5, v12
	s_cbranch_scc1 .LBB7_850
.LBB7_851:                              ;   in Loop: Header=BB7_841 Depth=1
	s_mov_b32 s25, 0
	s_mov_b64 s[4:5], s[10:11]
	s_cbranch_execnz .LBB7_843
.LBB7_852:                              ;   in Loop: Header=BB7_841 Depth=1
	global_load_dwordx2 v[11:12], v6, s[10:11]
	s_add_i32 s25, s18, -8
	s_add_u32 s4, s10, 8
	s_addc_u32 s5, s11, 0
	s_cmp_gt_u32 s25, 7
	s_cbranch_scc0 .LBB7_844
.LBB7_853:                              ;   in Loop: Header=BB7_841 Depth=1
                                        ; implicit-def: $vgpr13_vgpr14
                                        ; implicit-def: $sgpr26
.LBB7_854:                              ;   in Loop: Header=BB7_841 Depth=1
	global_load_dwordx2 v[13:14], v6, s[4:5]
	s_add_i32 s26, s25, -8
	s_add_u32 s4, s4, 8
	s_addc_u32 s5, s5, 0
.LBB7_855:                              ;   in Loop: Header=BB7_841 Depth=1
	s_cmp_gt_u32 s26, 7
	s_cbranch_scc1 .LBB7_860
; %bb.856:                              ;   in Loop: Header=BB7_841 Depth=1
	v_mov_b32_e32 v15, 0
	v_mov_b32_e32 v16, 0
	s_cmp_eq_u32 s26, 0
	s_cbranch_scc1 .LBB7_859
; %bb.857:                              ;   in Loop: Header=BB7_841 Depth=1
	s_mov_b64 s[20:21], 0
	s_mov_b64 s[22:23], 0
.LBB7_858:                              ;   Parent Loop BB7_841 Depth=1
                                        ; =>  This Inner Loop Header: Depth=2
	s_add_u32 s28, s4, s22
	s_addc_u32 s29, s5, s23
	s_add_u32 s22, s22, 1
	global_load_ubyte v4, v6, s[28:29]
	s_addc_u32 s23, s23, 0
	s_waitcnt vmcnt(0)
	v_and_b32_e32 v5, 0xffff, v4
	v_lshlrev_b64 v[4:5], s20, v[5:6]
	s_add_u32 s20, s20, 8
	s_addc_u32 s21, s21, 0
	s_cmp_lg_u32 s26, s22
	v_or_b32_e32 v15, v4, v15
	v_or_b32_e32 v16, v5, v16
	s_cbranch_scc1 .LBB7_858
.LBB7_859:                              ;   in Loop: Header=BB7_841 Depth=1
	s_mov_b32 s25, 0
	s_cbranch_execz .LBB7_861
	s_branch .LBB7_862
.LBB7_860:                              ;   in Loop: Header=BB7_841 Depth=1
                                        ; implicit-def: $sgpr25
.LBB7_861:                              ;   in Loop: Header=BB7_841 Depth=1
	global_load_dwordx2 v[15:16], v6, s[4:5]
	s_add_i32 s25, s26, -8
	s_add_u32 s4, s4, 8
	s_addc_u32 s5, s5, 0
.LBB7_862:                              ;   in Loop: Header=BB7_841 Depth=1
	s_cmp_gt_u32 s25, 7
	s_cbranch_scc1 .LBB7_867
; %bb.863:                              ;   in Loop: Header=BB7_841 Depth=1
	v_mov_b32_e32 v17, 0
	v_mov_b32_e32 v18, 0
	s_cmp_eq_u32 s25, 0
	s_cbranch_scc1 .LBB7_866
; %bb.864:                              ;   in Loop: Header=BB7_841 Depth=1
	s_mov_b64 s[20:21], 0
	s_mov_b64 s[22:23], 0
.LBB7_865:                              ;   Parent Loop BB7_841 Depth=1
                                        ; =>  This Inner Loop Header: Depth=2
	s_add_u32 s26, s4, s22
	s_addc_u32 s27, s5, s23
	s_add_u32 s22, s22, 1
	global_load_ubyte v4, v6, s[26:27]
	s_addc_u32 s23, s23, 0
	s_waitcnt vmcnt(0)
	v_and_b32_e32 v5, 0xffff, v4
	v_lshlrev_b64 v[4:5], s20, v[5:6]
	s_add_u32 s20, s20, 8
	s_addc_u32 s21, s21, 0
	s_cmp_lg_u32 s25, s22
	v_or_b32_e32 v17, v4, v17
	v_or_b32_e32 v18, v5, v18
	s_cbranch_scc1 .LBB7_865
.LBB7_866:                              ;   in Loop: Header=BB7_841 Depth=1
	s_mov_b32 s26, 0
	s_cbranch_execz .LBB7_868
	s_branch .LBB7_869
.LBB7_867:                              ;   in Loop: Header=BB7_841 Depth=1
                                        ; implicit-def: $vgpr17_vgpr18
                                        ; implicit-def: $sgpr26
.LBB7_868:                              ;   in Loop: Header=BB7_841 Depth=1
	global_load_dwordx2 v[17:18], v6, s[4:5]
	s_add_i32 s26, s25, -8
	s_add_u32 s4, s4, 8
	s_addc_u32 s5, s5, 0
.LBB7_869:                              ;   in Loop: Header=BB7_841 Depth=1
	s_cmp_gt_u32 s26, 7
	s_cbranch_scc1 .LBB7_874
; %bb.870:                              ;   in Loop: Header=BB7_841 Depth=1
	v_mov_b32_e32 v19, 0
	v_mov_b32_e32 v20, 0
	s_cmp_eq_u32 s26, 0
	s_cbranch_scc1 .LBB7_873
; %bb.871:                              ;   in Loop: Header=BB7_841 Depth=1
	s_mov_b64 s[20:21], 0
	s_mov_b64 s[22:23], 0
.LBB7_872:                              ;   Parent Loop BB7_841 Depth=1
                                        ; =>  This Inner Loop Header: Depth=2
	s_add_u32 s28, s4, s22
	s_addc_u32 s29, s5, s23
	s_add_u32 s22, s22, 1
	global_load_ubyte v4, v6, s[28:29]
	s_addc_u32 s23, s23, 0
	s_waitcnt vmcnt(0)
	v_and_b32_e32 v5, 0xffff, v4
	v_lshlrev_b64 v[4:5], s20, v[5:6]
	s_add_u32 s20, s20, 8
	s_addc_u32 s21, s21, 0
	s_cmp_lg_u32 s26, s22
	v_or_b32_e32 v19, v4, v19
	v_or_b32_e32 v20, v5, v20
	s_cbranch_scc1 .LBB7_872
.LBB7_873:                              ;   in Loop: Header=BB7_841 Depth=1
	s_mov_b32 s25, 0
	s_cbranch_execz .LBB7_875
	s_branch .LBB7_876
.LBB7_874:                              ;   in Loop: Header=BB7_841 Depth=1
                                        ; implicit-def: $sgpr25
.LBB7_875:                              ;   in Loop: Header=BB7_841 Depth=1
	global_load_dwordx2 v[19:20], v6, s[4:5]
	s_add_i32 s25, s26, -8
	s_add_u32 s4, s4, 8
	s_addc_u32 s5, s5, 0
.LBB7_876:                              ;   in Loop: Header=BB7_841 Depth=1
	s_cmp_gt_u32 s25, 7
	s_cbranch_scc1 .LBB7_881
; %bb.877:                              ;   in Loop: Header=BB7_841 Depth=1
	v_mov_b32_e32 v21, 0
	v_mov_b32_e32 v22, 0
	s_cmp_eq_u32 s25, 0
	s_cbranch_scc1 .LBB7_880
; %bb.878:                              ;   in Loop: Header=BB7_841 Depth=1
	s_mov_b64 s[20:21], 0
	s_mov_b64 s[22:23], 0
.LBB7_879:                              ;   Parent Loop BB7_841 Depth=1
                                        ; =>  This Inner Loop Header: Depth=2
	s_add_u32 s26, s4, s22
	s_addc_u32 s27, s5, s23
	s_add_u32 s22, s22, 1
	global_load_ubyte v4, v6, s[26:27]
	s_addc_u32 s23, s23, 0
	s_waitcnt vmcnt(0)
	v_and_b32_e32 v5, 0xffff, v4
	v_lshlrev_b64 v[4:5], s20, v[5:6]
	s_add_u32 s20, s20, 8
	s_addc_u32 s21, s21, 0
	s_cmp_lg_u32 s25, s22
	v_or_b32_e32 v21, v4, v21
	v_or_b32_e32 v22, v5, v22
	s_cbranch_scc1 .LBB7_879
.LBB7_880:                              ;   in Loop: Header=BB7_841 Depth=1
	s_mov_b32 s26, 0
	s_cbranch_execz .LBB7_882
	s_branch .LBB7_883
.LBB7_881:                              ;   in Loop: Header=BB7_841 Depth=1
                                        ; implicit-def: $vgpr21_vgpr22
                                        ; implicit-def: $sgpr26
.LBB7_882:                              ;   in Loop: Header=BB7_841 Depth=1
	global_load_dwordx2 v[21:22], v6, s[4:5]
	s_add_i32 s26, s25, -8
	s_add_u32 s4, s4, 8
	s_addc_u32 s5, s5, 0
.LBB7_883:                              ;   in Loop: Header=BB7_841 Depth=1
	s_cmp_gt_u32 s26, 7
	s_cbranch_scc1 .LBB7_888
; %bb.884:                              ;   in Loop: Header=BB7_841 Depth=1
	v_mov_b32_e32 v23, 0
	v_mov_b32_e32 v24, 0
	s_cmp_eq_u32 s26, 0
	s_cbranch_scc1 .LBB7_887
; %bb.885:                              ;   in Loop: Header=BB7_841 Depth=1
	s_mov_b64 s[20:21], 0
	s_mov_b64 s[22:23], s[4:5]
.LBB7_886:                              ;   Parent Loop BB7_841 Depth=1
                                        ; =>  This Inner Loop Header: Depth=2
	global_load_ubyte v4, v6, s[22:23]
	s_add_i32 s26, s26, -1
	s_waitcnt vmcnt(0)
	v_and_b32_e32 v5, 0xffff, v4
	v_lshlrev_b64 v[4:5], s20, v[5:6]
	s_add_u32 s20, s20, 8
	s_addc_u32 s21, s21, 0
	s_add_u32 s22, s22, 1
	s_addc_u32 s23, s23, 0
	s_cmp_lg_u32 s26, 0
	v_or_b32_e32 v23, v4, v23
	v_or_b32_e32 v24, v5, v24
	s_cbranch_scc1 .LBB7_886
.LBB7_887:                              ;   in Loop: Header=BB7_841 Depth=1
	s_cbranch_execz .LBB7_889
	s_branch .LBB7_890
.LBB7_888:                              ;   in Loop: Header=BB7_841 Depth=1
.LBB7_889:                              ;   in Loop: Header=BB7_841 Depth=1
	global_load_dwordx2 v[23:24], v6, s[4:5]
.LBB7_890:                              ;   in Loop: Header=BB7_841 Depth=1
	v_readfirstlane_b32 s4, v32
	s_waitcnt vmcnt(0)
	v_mov_b32_e32 v4, 0
	v_mov_b32_e32 v5, 0
	v_cmp_eq_u32_e64 s4, s4, v32
	s_and_saveexec_b32 s5, s4
	s_cbranch_execz .LBB7_896
; %bb.891:                              ;   in Loop: Header=BB7_841 Depth=1
	global_load_dwordx2 v[27:28], v6, s[6:7] offset:24 glc dlc
	s_waitcnt vmcnt(0)
	buffer_gl1_inv
	buffer_gl0_inv
	s_clause 0x1
	global_load_dwordx2 v[4:5], v6, s[6:7] offset:40
	global_load_dwordx2 v[9:10], v6, s[6:7]
	s_mov_b32 s20, exec_lo
	s_waitcnt vmcnt(1)
	v_and_b32_e32 v5, v5, v28
	v_and_b32_e32 v4, v4, v27
	v_mul_lo_u32 v5, v5, 24
	v_mul_hi_u32 v25, v4, 24
	v_mul_lo_u32 v4, v4, 24
	v_add_nc_u32_e32 v5, v25, v5
	s_waitcnt vmcnt(0)
	v_add_co_u32 v4, vcc_lo, v9, v4
	v_add_co_ci_u32_e32 v5, vcc_lo, v10, v5, vcc_lo
	global_load_dwordx2 v[25:26], v[4:5], off glc dlc
	s_waitcnt vmcnt(0)
	global_atomic_cmpswap_x2 v[4:5], v6, v[25:28], s[6:7] offset:24 glc
	s_waitcnt vmcnt(0)
	buffer_gl1_inv
	buffer_gl0_inv
	v_cmpx_ne_u64_e64 v[4:5], v[27:28]
	s_cbranch_execz .LBB7_895
; %bb.892:                              ;   in Loop: Header=BB7_841 Depth=1
	s_mov_b32 s21, 0
	.p2align	6
.LBB7_893:                              ;   Parent Loop BB7_841 Depth=1
                                        ; =>  This Inner Loop Header: Depth=2
	s_sleep 1
	s_clause 0x1
	global_load_dwordx2 v[9:10], v6, s[6:7] offset:40
	global_load_dwordx2 v[25:26], v6, s[6:7]
	v_mov_b32_e32 v28, v5
	v_mov_b32_e32 v27, v4
	s_waitcnt vmcnt(1)
	v_and_b32_e32 v4, v9, v27
	v_and_b32_e32 v9, v10, v28
	s_waitcnt vmcnt(0)
	v_mad_u64_u32 v[4:5], null, v4, 24, v[25:26]
	v_mad_u64_u32 v[9:10], null, v9, 24, v[5:6]
	v_mov_b32_e32 v5, v9
	global_load_dwordx2 v[25:26], v[4:5], off glc dlc
	s_waitcnt vmcnt(0)
	global_atomic_cmpswap_x2 v[4:5], v6, v[25:28], s[6:7] offset:24 glc
	s_waitcnt vmcnt(0)
	buffer_gl1_inv
	buffer_gl0_inv
	v_cmp_eq_u64_e32 vcc_lo, v[4:5], v[27:28]
	s_or_b32 s21, vcc_lo, s21
	s_andn2_b32 exec_lo, exec_lo, s21
	s_cbranch_execnz .LBB7_893
; %bb.894:                              ;   in Loop: Header=BB7_841 Depth=1
	s_or_b32 exec_lo, exec_lo, s21
.LBB7_895:                              ;   in Loop: Header=BB7_841 Depth=1
	s_or_b32 exec_lo, exec_lo, s20
.LBB7_896:                              ;   in Loop: Header=BB7_841 Depth=1
	s_or_b32 exec_lo, exec_lo, s5
	s_clause 0x1
	global_load_dwordx2 v[9:10], v6, s[6:7] offset:40
	global_load_dwordx4 v[25:28], v6, s[6:7]
	v_readfirstlane_b32 s20, v4
	v_readfirstlane_b32 s21, v5
	s_mov_b32 s5, exec_lo
	s_waitcnt vmcnt(1)
	v_readfirstlane_b32 s22, v9
	v_readfirstlane_b32 s23, v10
	s_and_b64 s[22:23], s[20:21], s[22:23]
	s_mul_i32 s25, s23, 24
	s_mul_hi_u32 s26, s22, 24
	s_mul_i32 s27, s22, 24
	s_add_i32 s26, s26, s25
	s_waitcnt vmcnt(0)
	v_add_co_u32 v29, vcc_lo, v25, s27
	v_add_co_ci_u32_e32 v30, vcc_lo, s26, v26, vcc_lo
	s_and_saveexec_b32 s25, s4
	s_cbranch_execz .LBB7_898
; %bb.897:                              ;   in Loop: Header=BB7_841 Depth=1
	v_mov_b32_e32 v5, s5
	global_store_dwordx4 v[29:30], v[5:8], off offset:8
.LBB7_898:                              ;   in Loop: Header=BB7_841 Depth=1
	s_or_b32 exec_lo, exec_lo, s25
	s_lshl_b64 s[22:23], s[22:23], 12
	v_cmp_gt_u64_e64 vcc_lo, s[16:17], 56
	v_or_b32_e32 v5, v2, v33
	v_add_co_u32 v27, s5, v27, s22
	v_add_co_ci_u32_e64 v28, s5, s23, v28, s5
	s_lshl_b32 s5, s18, 2
	v_or_b32_e32 v4, 0, v3
	v_cndmask_b32_e32 v2, v5, v2, vcc_lo
	s_add_i32 s5, s5, 28
	v_readfirstlane_b32 s22, v27
	s_and_b32 s5, s5, 0x1e0
	v_cndmask_b32_e32 v10, v4, v3, vcc_lo
	v_readfirstlane_b32 s23, v28
	v_and_or_b32 v9, 0xffffff1f, v2, s5
	global_store_dwordx4 v31, v[9:12], s[22:23]
	global_store_dwordx4 v31, v[13:16], s[22:23] offset:16
	global_store_dwordx4 v31, v[17:20], s[22:23] offset:32
	;; [unrolled: 1-line block ×3, first 2 shown]
	s_and_saveexec_b32 s5, s4
	s_cbranch_execz .LBB7_906
; %bb.899:                              ;   in Loop: Header=BB7_841 Depth=1
	s_clause 0x1
	global_load_dwordx2 v[13:14], v6, s[6:7] offset:32 glc dlc
	global_load_dwordx2 v[2:3], v6, s[6:7] offset:40
	v_mov_b32_e32 v11, s20
	v_mov_b32_e32 v12, s21
	s_waitcnt vmcnt(0)
	v_readfirstlane_b32 s22, v2
	v_readfirstlane_b32 s23, v3
	s_and_b64 s[22:23], s[22:23], s[20:21]
	s_mul_i32 s23, s23, 24
	s_mul_hi_u32 s25, s22, 24
	s_mul_i32 s22, s22, 24
	s_add_i32 s25, s25, s23
	v_add_co_u32 v9, vcc_lo, v25, s22
	v_add_co_ci_u32_e32 v10, vcc_lo, s25, v26, vcc_lo
	s_mov_b32 s22, exec_lo
	global_store_dwordx2 v[9:10], v[13:14], off
	s_waitcnt_vscnt null, 0x0
	global_atomic_cmpswap_x2 v[4:5], v6, v[11:14], s[6:7] offset:32 glc
	s_waitcnt vmcnt(0)
	v_cmpx_ne_u64_e64 v[4:5], v[13:14]
	s_cbranch_execz .LBB7_902
; %bb.900:                              ;   in Loop: Header=BB7_841 Depth=1
	s_mov_b32 s23, 0
.LBB7_901:                              ;   Parent Loop BB7_841 Depth=1
                                        ; =>  This Inner Loop Header: Depth=2
	v_mov_b32_e32 v2, s20
	v_mov_b32_e32 v3, s21
	s_sleep 1
	global_store_dwordx2 v[9:10], v[4:5], off
	s_waitcnt_vscnt null, 0x0
	global_atomic_cmpswap_x2 v[2:3], v6, v[2:5], s[6:7] offset:32 glc
	s_waitcnt vmcnt(0)
	v_cmp_eq_u64_e32 vcc_lo, v[2:3], v[4:5]
	v_mov_b32_e32 v5, v3
	v_mov_b32_e32 v4, v2
	s_or_b32 s23, vcc_lo, s23
	s_andn2_b32 exec_lo, exec_lo, s23
	s_cbranch_execnz .LBB7_901
.LBB7_902:                              ;   in Loop: Header=BB7_841 Depth=1
	s_or_b32 exec_lo, exec_lo, s22
	global_load_dwordx2 v[2:3], v6, s[6:7] offset:16
	s_mov_b32 s23, exec_lo
	s_mov_b32 s22, exec_lo
	v_mbcnt_lo_u32_b32 v4, s23, 0
	v_cmpx_eq_u32_e32 0, v4
	s_cbranch_execz .LBB7_904
; %bb.903:                              ;   in Loop: Header=BB7_841 Depth=1
	s_bcnt1_i32_b32 s23, s23
	v_mov_b32_e32 v5, s23
	s_waitcnt vmcnt(0)
	global_atomic_add_x2 v[2:3], v[5:6], off offset:8
.LBB7_904:                              ;   in Loop: Header=BB7_841 Depth=1
	s_or_b32 exec_lo, exec_lo, s22
	s_waitcnt vmcnt(0)
	global_load_dwordx2 v[9:10], v[2:3], off offset:16
	s_waitcnt vmcnt(0)
	v_cmp_eq_u64_e32 vcc_lo, 0, v[9:10]
	s_cbranch_vccnz .LBB7_906
; %bb.905:                              ;   in Loop: Header=BB7_841 Depth=1
	global_load_dword v5, v[2:3], off offset:24
	s_waitcnt vmcnt(0)
	v_and_b32_e32 v2, 0x7fffff, v5
	s_waitcnt_vscnt null, 0x0
	global_store_dwordx2 v[9:10], v[5:6], off
	v_readfirstlane_b32 m0, v2
	s_sendmsg sendmsg(MSG_INTERRUPT)
.LBB7_906:                              ;   in Loop: Header=BB7_841 Depth=1
	s_or_b32 exec_lo, exec_lo, s5
	v_add_co_u32 v2, vcc_lo, v27, v31
	v_add_co_ci_u32_e32 v3, vcc_lo, 0, v28, vcc_lo
	s_branch .LBB7_910
	.p2align	6
.LBB7_907:                              ;   in Loop: Header=BB7_910 Depth=2
	s_or_b32 exec_lo, exec_lo, s5
	v_readfirstlane_b32 s5, v4
	s_cmp_eq_u32 s5, 0
	s_cbranch_scc1 .LBB7_909
; %bb.908:                              ;   in Loop: Header=BB7_910 Depth=2
	s_sleep 1
	s_cbranch_execnz .LBB7_910
	s_branch .LBB7_912
	.p2align	6
.LBB7_909:                              ;   in Loop: Header=BB7_841 Depth=1
	s_branch .LBB7_912
.LBB7_910:                              ;   Parent Loop BB7_841 Depth=1
                                        ; =>  This Inner Loop Header: Depth=2
	v_mov_b32_e32 v4, 1
	s_and_saveexec_b32 s5, s4
	s_cbranch_execz .LBB7_907
; %bb.911:                              ;   in Loop: Header=BB7_910 Depth=2
	global_load_dword v4, v[29:30], off offset:20 glc dlc
	s_waitcnt vmcnt(0)
	buffer_gl1_inv
	buffer_gl0_inv
	v_and_b32_e32 v4, 1, v4
	s_branch .LBB7_907
.LBB7_912:                              ;   in Loop: Header=BB7_841 Depth=1
	global_load_dwordx4 v[2:5], v[2:3], off
	s_and_saveexec_b32 s5, s4
	s_cbranch_execz .LBB7_840
; %bb.913:                              ;   in Loop: Header=BB7_841 Depth=1
	s_clause 0x2
	global_load_dwordx2 v[4:5], v6, s[6:7] offset:40
	global_load_dwordx2 v[13:14], v6, s[6:7] offset:24 glc dlc
	global_load_dwordx2 v[11:12], v6, s[6:7]
	s_waitcnt vmcnt(2)
	v_add_co_u32 v15, vcc_lo, v4, 1
	v_add_co_ci_u32_e32 v16, vcc_lo, 0, v5, vcc_lo
	v_add_co_u32 v9, vcc_lo, v15, s20
	v_add_co_ci_u32_e32 v10, vcc_lo, s21, v16, vcc_lo
	v_cmp_eq_u64_e32 vcc_lo, 0, v[9:10]
	v_cndmask_b32_e32 v10, v10, v16, vcc_lo
	v_cndmask_b32_e32 v9, v9, v15, vcc_lo
	v_and_b32_e32 v5, v10, v5
	v_and_b32_e32 v4, v9, v4
	v_mul_lo_u32 v5, v5, 24
	v_mul_hi_u32 v15, v4, 24
	v_mul_lo_u32 v4, v4, 24
	v_add_nc_u32_e32 v5, v15, v5
	s_waitcnt vmcnt(0)
	v_add_co_u32 v4, vcc_lo, v11, v4
	v_mov_b32_e32 v11, v13
	v_add_co_ci_u32_e32 v5, vcc_lo, v12, v5, vcc_lo
	v_mov_b32_e32 v12, v14
	global_store_dwordx2 v[4:5], v[13:14], off
	s_waitcnt_vscnt null, 0x0
	global_atomic_cmpswap_x2 v[11:12], v6, v[9:12], s[6:7] offset:24 glc
	s_waitcnt vmcnt(0)
	v_cmp_ne_u64_e32 vcc_lo, v[11:12], v[13:14]
	s_and_b32 exec_lo, exec_lo, vcc_lo
	s_cbranch_execz .LBB7_840
; %bb.914:                              ;   in Loop: Header=BB7_841 Depth=1
	s_mov_b32 s4, 0
.LBB7_915:                              ;   Parent Loop BB7_841 Depth=1
                                        ; =>  This Inner Loop Header: Depth=2
	s_sleep 1
	global_store_dwordx2 v[4:5], v[11:12], off
	s_waitcnt_vscnt null, 0x0
	global_atomic_cmpswap_x2 v[13:14], v6, v[9:12], s[6:7] offset:24 glc
	s_waitcnt vmcnt(0)
	v_cmp_eq_u64_e32 vcc_lo, v[13:14], v[11:12]
	v_mov_b32_e32 v11, v13
	v_mov_b32_e32 v12, v14
	s_or_b32 s4, vcc_lo, s4
	s_andn2_b32 exec_lo, exec_lo, s4
	s_cbranch_execnz .LBB7_915
	s_branch .LBB7_840
.LBB7_916:
	s_branch .LBB7_945
.LBB7_917:
                                        ; implicit-def: $vgpr2_vgpr3
	s_cbranch_execz .LBB7_945
; %bb.918:
	v_readfirstlane_b32 s4, v32
	v_mov_b32_e32 v8, 0
	v_mov_b32_e32 v9, 0
	v_cmp_eq_u32_e64 s4, s4, v32
	s_and_saveexec_b32 s5, s4
	s_cbranch_execz .LBB7_924
; %bb.919:
	s_waitcnt vmcnt(0)
	v_mov_b32_e32 v2, 0
	s_mov_b32 s10, exec_lo
	global_load_dwordx2 v[5:6], v2, s[6:7] offset:24 glc dlc
	s_waitcnt vmcnt(0)
	buffer_gl1_inv
	buffer_gl0_inv
	s_clause 0x1
	global_load_dwordx2 v[3:4], v2, s[6:7] offset:40
	global_load_dwordx2 v[7:8], v2, s[6:7]
	s_waitcnt vmcnt(1)
	v_and_b32_e32 v4, v4, v6
	v_and_b32_e32 v3, v3, v5
	v_mul_lo_u32 v4, v4, 24
	v_mul_hi_u32 v9, v3, 24
	v_mul_lo_u32 v3, v3, 24
	v_add_nc_u32_e32 v4, v9, v4
	s_waitcnt vmcnt(0)
	v_add_co_u32 v3, vcc_lo, v7, v3
	v_add_co_ci_u32_e32 v4, vcc_lo, v8, v4, vcc_lo
	global_load_dwordx2 v[3:4], v[3:4], off glc dlc
	s_waitcnt vmcnt(0)
	global_atomic_cmpswap_x2 v[8:9], v2, v[3:6], s[6:7] offset:24 glc
	s_waitcnt vmcnt(0)
	buffer_gl1_inv
	buffer_gl0_inv
	v_cmpx_ne_u64_e64 v[8:9], v[5:6]
	s_cbranch_execz .LBB7_923
; %bb.920:
	s_mov_b32 s11, 0
	.p2align	6
.LBB7_921:                              ; =>This Inner Loop Header: Depth=1
	s_sleep 1
	s_clause 0x1
	global_load_dwordx2 v[3:4], v2, s[6:7] offset:40
	global_load_dwordx2 v[10:11], v2, s[6:7]
	v_mov_b32_e32 v5, v8
	v_mov_b32_e32 v6, v9
	s_waitcnt vmcnt(1)
	v_and_b32_e32 v3, v3, v5
	v_and_b32_e32 v4, v4, v6
	s_waitcnt vmcnt(0)
	v_mad_u64_u32 v[7:8], null, v3, 24, v[10:11]
	v_mov_b32_e32 v3, v8
	v_mad_u64_u32 v[3:4], null, v4, 24, v[3:4]
	v_mov_b32_e32 v8, v3
	global_load_dwordx2 v[3:4], v[7:8], off glc dlc
	s_waitcnt vmcnt(0)
	global_atomic_cmpswap_x2 v[8:9], v2, v[3:6], s[6:7] offset:24 glc
	s_waitcnt vmcnt(0)
	buffer_gl1_inv
	buffer_gl0_inv
	v_cmp_eq_u64_e32 vcc_lo, v[8:9], v[5:6]
	s_or_b32 s11, vcc_lo, s11
	s_andn2_b32 exec_lo, exec_lo, s11
	s_cbranch_execnz .LBB7_921
; %bb.922:
	s_or_b32 exec_lo, exec_lo, s11
.LBB7_923:
	s_or_b32 exec_lo, exec_lo, s10
.LBB7_924:
	s_or_b32 exec_lo, exec_lo, s5
	s_waitcnt vmcnt(0)
	v_mov_b32_e32 v2, 0
	v_readfirstlane_b32 s10, v8
	v_readfirstlane_b32 s11, v9
	s_mov_b32 s5, exec_lo
	s_clause 0x1
	global_load_dwordx2 v[10:11], v2, s[6:7] offset:40
	global_load_dwordx4 v[4:7], v2, s[6:7]
	s_waitcnt vmcnt(1)
	v_readfirstlane_b32 s16, v10
	v_readfirstlane_b32 s17, v11
	s_and_b64 s[16:17], s[10:11], s[16:17]
	s_mul_i32 s18, s17, 24
	s_mul_hi_u32 s19, s16, 24
	s_mul_i32 s20, s16, 24
	s_add_i32 s19, s19, s18
	s_waitcnt vmcnt(0)
	v_add_co_u32 v8, vcc_lo, v4, s20
	v_add_co_ci_u32_e32 v9, vcc_lo, s19, v5, vcc_lo
	s_and_saveexec_b32 s18, s4
	s_cbranch_execz .LBB7_926
; %bb.925:
	v_mov_b32_e32 v10, s5
	v_mov_b32_e32 v11, v2
	;; [unrolled: 1-line block ×4, first 2 shown]
	global_store_dwordx4 v[8:9], v[10:13], off offset:8
.LBB7_926:
	s_or_b32 exec_lo, exec_lo, s18
	s_lshl_b64 s[16:17], s[16:17], 12
	v_and_or_b32 v0, 0xffffff1f, v0, 32
	v_add_co_u32 v6, vcc_lo, v6, s16
	v_add_co_ci_u32_e32 v7, vcc_lo, s17, v7, vcc_lo
	s_mov_b32 s16, 0
	v_readfirstlane_b32 s20, v6
	v_add_co_u32 v6, vcc_lo, v6, v31
	s_mov_b32 s17, s16
	s_mov_b32 s18, s16
	;; [unrolled: 1-line block ×3, first 2 shown]
	v_mov_b32_e32 v3, v2
	v_readfirstlane_b32 s21, v7
	v_mov_b32_e32 v10, s16
	v_add_co_ci_u32_e32 v7, vcc_lo, 0, v7, vcc_lo
	v_mov_b32_e32 v11, s17
	v_mov_b32_e32 v12, s18
	;; [unrolled: 1-line block ×3, first 2 shown]
	global_store_dwordx4 v31, v[0:3], s[20:21]
	global_store_dwordx4 v31, v[10:13], s[20:21] offset:16
	global_store_dwordx4 v31, v[10:13], s[20:21] offset:32
	;; [unrolled: 1-line block ×3, first 2 shown]
	s_and_saveexec_b32 s5, s4
	s_cbranch_execz .LBB7_934
; %bb.927:
	v_mov_b32_e32 v10, 0
	v_mov_b32_e32 v11, s10
	;; [unrolled: 1-line block ×3, first 2 shown]
	s_clause 0x1
	global_load_dwordx2 v[13:14], v10, s[6:7] offset:32 glc dlc
	global_load_dwordx2 v[0:1], v10, s[6:7] offset:40
	s_waitcnt vmcnt(0)
	v_readfirstlane_b32 s16, v0
	v_readfirstlane_b32 s17, v1
	s_and_b64 s[16:17], s[16:17], s[10:11]
	s_mul_i32 s17, s17, 24
	s_mul_hi_u32 s18, s16, 24
	s_mul_i32 s16, s16, 24
	s_add_i32 s18, s18, s17
	v_add_co_u32 v4, vcc_lo, v4, s16
	v_add_co_ci_u32_e32 v5, vcc_lo, s18, v5, vcc_lo
	s_mov_b32 s16, exec_lo
	global_store_dwordx2 v[4:5], v[13:14], off
	s_waitcnt_vscnt null, 0x0
	global_atomic_cmpswap_x2 v[2:3], v10, v[11:14], s[6:7] offset:32 glc
	s_waitcnt vmcnt(0)
	v_cmpx_ne_u64_e64 v[2:3], v[13:14]
	s_cbranch_execz .LBB7_930
; %bb.928:
	s_mov_b32 s17, 0
.LBB7_929:                              ; =>This Inner Loop Header: Depth=1
	v_mov_b32_e32 v0, s10
	v_mov_b32_e32 v1, s11
	s_sleep 1
	global_store_dwordx2 v[4:5], v[2:3], off
	s_waitcnt_vscnt null, 0x0
	global_atomic_cmpswap_x2 v[0:1], v10, v[0:3], s[6:7] offset:32 glc
	s_waitcnt vmcnt(0)
	v_cmp_eq_u64_e32 vcc_lo, v[0:1], v[2:3]
	v_mov_b32_e32 v3, v1
	v_mov_b32_e32 v2, v0
	s_or_b32 s17, vcc_lo, s17
	s_andn2_b32 exec_lo, exec_lo, s17
	s_cbranch_execnz .LBB7_929
.LBB7_930:
	s_or_b32 exec_lo, exec_lo, s16
	v_mov_b32_e32 v3, 0
	s_mov_b32 s17, exec_lo
	s_mov_b32 s16, exec_lo
	v_mbcnt_lo_u32_b32 v2, s17, 0
	global_load_dwordx2 v[0:1], v3, s[6:7] offset:16
	v_cmpx_eq_u32_e32 0, v2
	s_cbranch_execz .LBB7_932
; %bb.931:
	s_bcnt1_i32_b32 s17, s17
	v_mov_b32_e32 v2, s17
	s_waitcnt vmcnt(0)
	global_atomic_add_x2 v[0:1], v[2:3], off offset:8
.LBB7_932:
	s_or_b32 exec_lo, exec_lo, s16
	s_waitcnt vmcnt(0)
	global_load_dwordx2 v[2:3], v[0:1], off offset:16
	s_waitcnt vmcnt(0)
	v_cmp_eq_u64_e32 vcc_lo, 0, v[2:3]
	s_cbranch_vccnz .LBB7_934
; %bb.933:
	global_load_dword v0, v[0:1], off offset:24
	v_mov_b32_e32 v1, 0
	s_waitcnt vmcnt(0)
	v_and_b32_e32 v4, 0x7fffff, v0
	s_waitcnt_vscnt null, 0x0
	global_store_dwordx2 v[2:3], v[0:1], off
	v_readfirstlane_b32 m0, v4
	s_sendmsg sendmsg(MSG_INTERRUPT)
.LBB7_934:
	s_or_b32 exec_lo, exec_lo, s5
	s_branch .LBB7_938
	.p2align	6
.LBB7_935:                              ;   in Loop: Header=BB7_938 Depth=1
	s_or_b32 exec_lo, exec_lo, s5
	v_readfirstlane_b32 s5, v0
	s_cmp_eq_u32 s5, 0
	s_cbranch_scc1 .LBB7_937
; %bb.936:                              ;   in Loop: Header=BB7_938 Depth=1
	s_sleep 1
	s_cbranch_execnz .LBB7_938
	s_branch .LBB7_940
	.p2align	6
.LBB7_937:
	s_branch .LBB7_940
.LBB7_938:                              ; =>This Inner Loop Header: Depth=1
	v_mov_b32_e32 v0, 1
	s_and_saveexec_b32 s5, s4
	s_cbranch_execz .LBB7_935
; %bb.939:                              ;   in Loop: Header=BB7_938 Depth=1
	global_load_dword v0, v[8:9], off offset:20 glc dlc
	s_waitcnt vmcnt(0)
	buffer_gl1_inv
	buffer_gl0_inv
	v_and_b32_e32 v0, 1, v0
	s_branch .LBB7_935
.LBB7_940:
	global_load_dwordx2 v[2:3], v[6:7], off
	s_and_saveexec_b32 s5, s4
	s_cbranch_execz .LBB7_944
; %bb.941:
	v_mov_b32_e32 v8, 0
	s_clause 0x2
	global_load_dwordx2 v[0:1], v8, s[6:7] offset:40
	global_load_dwordx2 v[9:10], v8, s[6:7] offset:24 glc dlc
	global_load_dwordx2 v[6:7], v8, s[6:7]
	s_waitcnt vmcnt(2)
	v_add_co_u32 v11, vcc_lo, v0, 1
	v_add_co_ci_u32_e32 v12, vcc_lo, 0, v1, vcc_lo
	v_add_co_u32 v4, vcc_lo, v11, s10
	v_add_co_ci_u32_e32 v5, vcc_lo, s11, v12, vcc_lo
	v_cmp_eq_u64_e32 vcc_lo, 0, v[4:5]
	v_cndmask_b32_e32 v5, v5, v12, vcc_lo
	v_cndmask_b32_e32 v4, v4, v11, vcc_lo
	v_and_b32_e32 v1, v5, v1
	v_and_b32_e32 v0, v4, v0
	v_mul_lo_u32 v1, v1, 24
	v_mul_hi_u32 v11, v0, 24
	v_mul_lo_u32 v0, v0, 24
	v_add_nc_u32_e32 v1, v11, v1
	s_waitcnt vmcnt(0)
	v_add_co_u32 v0, vcc_lo, v6, v0
	v_mov_b32_e32 v6, v9
	v_add_co_ci_u32_e32 v1, vcc_lo, v7, v1, vcc_lo
	v_mov_b32_e32 v7, v10
	global_store_dwordx2 v[0:1], v[9:10], off
	s_waitcnt_vscnt null, 0x0
	global_atomic_cmpswap_x2 v[6:7], v8, v[4:7], s[6:7] offset:24 glc
	s_waitcnt vmcnt(0)
	v_cmp_ne_u64_e32 vcc_lo, v[6:7], v[9:10]
	s_and_b32 exec_lo, exec_lo, vcc_lo
	s_cbranch_execz .LBB7_944
; %bb.942:
	s_mov_b32 s4, 0
.LBB7_943:                              ; =>This Inner Loop Header: Depth=1
	s_sleep 1
	global_store_dwordx2 v[0:1], v[6:7], off
	s_waitcnt_vscnt null, 0x0
	global_atomic_cmpswap_x2 v[9:10], v8, v[4:7], s[6:7] offset:24 glc
	s_waitcnt vmcnt(0)
	v_cmp_eq_u64_e32 vcc_lo, v[9:10], v[6:7]
	v_mov_b32_e32 v6, v9
	v_mov_b32_e32 v7, v10
	s_or_b32 s4, vcc_lo, s4
	s_andn2_b32 exec_lo, exec_lo, s4
	s_cbranch_execnz .LBB7_943
.LBB7_944:
	s_or_b32 exec_lo, exec_lo, s5
.LBB7_945:
	v_readfirstlane_b32 s4, v32
	s_waitcnt vmcnt(0)
	v_mov_b32_e32 v0, 0
	v_mov_b32_e32 v1, 0
	v_cmp_eq_u32_e64 s4, s4, v32
	s_and_saveexec_b32 s5, s4
	s_cbranch_execz .LBB7_951
; %bb.946:
	v_mov_b32_e32 v4, 0
	s_mov_b32 s10, exec_lo
	global_load_dwordx2 v[7:8], v4, s[6:7] offset:24 glc dlc
	s_waitcnt vmcnt(0)
	buffer_gl1_inv
	buffer_gl0_inv
	s_clause 0x1
	global_load_dwordx2 v[0:1], v4, s[6:7] offset:40
	global_load_dwordx2 v[5:6], v4, s[6:7]
	s_waitcnt vmcnt(1)
	v_and_b32_e32 v1, v1, v8
	v_and_b32_e32 v0, v0, v7
	v_mul_lo_u32 v1, v1, 24
	v_mul_hi_u32 v9, v0, 24
	v_mul_lo_u32 v0, v0, 24
	v_add_nc_u32_e32 v1, v9, v1
	s_waitcnt vmcnt(0)
	v_add_co_u32 v0, vcc_lo, v5, v0
	v_add_co_ci_u32_e32 v1, vcc_lo, v6, v1, vcc_lo
	global_load_dwordx2 v[5:6], v[0:1], off glc dlc
	s_waitcnt vmcnt(0)
	global_atomic_cmpswap_x2 v[0:1], v4, v[5:8], s[6:7] offset:24 glc
	s_waitcnt vmcnt(0)
	buffer_gl1_inv
	buffer_gl0_inv
	v_cmpx_ne_u64_e64 v[0:1], v[7:8]
	s_cbranch_execz .LBB7_950
; %bb.947:
	s_mov_b32 s11, 0
	.p2align	6
.LBB7_948:                              ; =>This Inner Loop Header: Depth=1
	s_sleep 1
	s_clause 0x1
	global_load_dwordx2 v[5:6], v4, s[6:7] offset:40
	global_load_dwordx2 v[9:10], v4, s[6:7]
	v_mov_b32_e32 v8, v1
	v_mov_b32_e32 v7, v0
	s_waitcnt vmcnt(1)
	v_and_b32_e32 v0, v5, v7
	v_and_b32_e32 v5, v6, v8
	s_waitcnt vmcnt(0)
	v_mad_u64_u32 v[0:1], null, v0, 24, v[9:10]
	v_mad_u64_u32 v[5:6], null, v5, 24, v[1:2]
	v_mov_b32_e32 v1, v5
	global_load_dwordx2 v[5:6], v[0:1], off glc dlc
	s_waitcnt vmcnt(0)
	global_atomic_cmpswap_x2 v[0:1], v4, v[5:8], s[6:7] offset:24 glc
	s_waitcnt vmcnt(0)
	buffer_gl1_inv
	buffer_gl0_inv
	v_cmp_eq_u64_e32 vcc_lo, v[0:1], v[7:8]
	s_or_b32 s11, vcc_lo, s11
	s_andn2_b32 exec_lo, exec_lo, s11
	s_cbranch_execnz .LBB7_948
; %bb.949:
	s_or_b32 exec_lo, exec_lo, s11
.LBB7_950:
	s_or_b32 exec_lo, exec_lo, s10
.LBB7_951:
	s_or_b32 exec_lo, exec_lo, s5
	v_mov_b32_e32 v5, 0
	v_readfirstlane_b32 s10, v0
	v_readfirstlane_b32 s11, v1
	s_mov_b32 s5, exec_lo
	s_clause 0x1
	global_load_dwordx2 v[10:11], v5, s[6:7] offset:40
	global_load_dwordx4 v[6:9], v5, s[6:7]
	s_waitcnt vmcnt(1)
	v_readfirstlane_b32 s16, v10
	v_readfirstlane_b32 s17, v11
	s_and_b64 s[16:17], s[10:11], s[16:17]
	s_mul_i32 s18, s17, 24
	s_mul_hi_u32 s19, s16, 24
	s_mul_i32 s20, s16, 24
	s_add_i32 s19, s19, s18
	s_waitcnt vmcnt(0)
	v_add_co_u32 v10, vcc_lo, v6, s20
	v_add_co_ci_u32_e32 v11, vcc_lo, s19, v7, vcc_lo
	s_and_saveexec_b32 s18, s4
	s_cbranch_execz .LBB7_953
; %bb.952:
	v_mov_b32_e32 v4, s5
	v_mov_b32_e32 v13, v5
	;; [unrolled: 1-line block ×5, first 2 shown]
	global_store_dwordx4 v[10:11], v[12:15], off offset:8
.LBB7_953:
	s_or_b32 exec_lo, exec_lo, s18
	s_lshl_b64 s[16:17], s[16:17], 12
	v_and_or_b32 v2, 0xffffff1d, v2, 34
	v_add_co_u32 v0, vcc_lo, v8, s16
	v_add_co_ci_u32_e32 v1, vcc_lo, s17, v9, vcc_lo
	s_mov_b32 s16, 0
	v_mov_b32_e32 v4, 0x428
	s_mov_b32 s17, s16
	s_mov_b32 s18, s16
	s_mov_b32 s19, s16
	v_readfirstlane_b32 s20, v0
	v_readfirstlane_b32 s21, v1
	v_mov_b32_e32 v12, s16
	v_mov_b32_e32 v13, s17
	;; [unrolled: 1-line block ×4, first 2 shown]
	global_store_dwordx4 v31, v[2:5], s[20:21]
	global_store_dwordx4 v31, v[12:15], s[20:21] offset:16
	global_store_dwordx4 v31, v[12:15], s[20:21] offset:32
	;; [unrolled: 1-line block ×3, first 2 shown]
	s_and_saveexec_b32 s5, s4
	s_cbranch_execz .LBB7_961
; %bb.954:
	v_mov_b32_e32 v8, 0
	v_mov_b32_e32 v12, s10
	;; [unrolled: 1-line block ×3, first 2 shown]
	s_clause 0x1
	global_load_dwordx2 v[14:15], v8, s[6:7] offset:32 glc dlc
	global_load_dwordx2 v[0:1], v8, s[6:7] offset:40
	s_waitcnt vmcnt(0)
	v_readfirstlane_b32 s16, v0
	v_readfirstlane_b32 s17, v1
	s_and_b64 s[16:17], s[16:17], s[10:11]
	s_mul_i32 s17, s17, 24
	s_mul_hi_u32 s18, s16, 24
	s_mul_i32 s16, s16, 24
	s_add_i32 s18, s18, s17
	v_add_co_u32 v4, vcc_lo, v6, s16
	v_add_co_ci_u32_e32 v5, vcc_lo, s18, v7, vcc_lo
	s_mov_b32 s16, exec_lo
	global_store_dwordx2 v[4:5], v[14:15], off
	s_waitcnt_vscnt null, 0x0
	global_atomic_cmpswap_x2 v[2:3], v8, v[12:15], s[6:7] offset:32 glc
	s_waitcnt vmcnt(0)
	v_cmpx_ne_u64_e64 v[2:3], v[14:15]
	s_cbranch_execz .LBB7_957
; %bb.955:
	s_mov_b32 s17, 0
.LBB7_956:                              ; =>This Inner Loop Header: Depth=1
	v_mov_b32_e32 v0, s10
	v_mov_b32_e32 v1, s11
	s_sleep 1
	global_store_dwordx2 v[4:5], v[2:3], off
	s_waitcnt_vscnt null, 0x0
	global_atomic_cmpswap_x2 v[0:1], v8, v[0:3], s[6:7] offset:32 glc
	s_waitcnt vmcnt(0)
	v_cmp_eq_u64_e32 vcc_lo, v[0:1], v[2:3]
	v_mov_b32_e32 v3, v1
	v_mov_b32_e32 v2, v0
	s_or_b32 s17, vcc_lo, s17
	s_andn2_b32 exec_lo, exec_lo, s17
	s_cbranch_execnz .LBB7_956
.LBB7_957:
	s_or_b32 exec_lo, exec_lo, s16
	v_mov_b32_e32 v3, 0
	s_mov_b32 s17, exec_lo
	s_mov_b32 s16, exec_lo
	v_mbcnt_lo_u32_b32 v2, s17, 0
	global_load_dwordx2 v[0:1], v3, s[6:7] offset:16
	v_cmpx_eq_u32_e32 0, v2
	s_cbranch_execz .LBB7_959
; %bb.958:
	s_bcnt1_i32_b32 s17, s17
	v_mov_b32_e32 v2, s17
	s_waitcnt vmcnt(0)
	global_atomic_add_x2 v[0:1], v[2:3], off offset:8
.LBB7_959:
	s_or_b32 exec_lo, exec_lo, s16
	s_waitcnt vmcnt(0)
	global_load_dwordx2 v[2:3], v[0:1], off offset:16
	s_waitcnt vmcnt(0)
	v_cmp_eq_u64_e32 vcc_lo, 0, v[2:3]
	s_cbranch_vccnz .LBB7_961
; %bb.960:
	global_load_dword v0, v[0:1], off offset:24
	v_mov_b32_e32 v1, 0
	s_waitcnt vmcnt(0)
	v_and_b32_e32 v4, 0x7fffff, v0
	s_waitcnt_vscnt null, 0x0
	global_store_dwordx2 v[2:3], v[0:1], off
	v_readfirstlane_b32 m0, v4
	s_sendmsg sendmsg(MSG_INTERRUPT)
.LBB7_961:
	s_or_b32 exec_lo, exec_lo, s5
	s_branch .LBB7_965
	.p2align	6
.LBB7_962:                              ;   in Loop: Header=BB7_965 Depth=1
	s_or_b32 exec_lo, exec_lo, s5
	v_readfirstlane_b32 s5, v0
	s_cmp_eq_u32 s5, 0
	s_cbranch_scc1 .LBB7_964
; %bb.963:                              ;   in Loop: Header=BB7_965 Depth=1
	s_sleep 1
	s_cbranch_execnz .LBB7_965
	s_branch .LBB7_967
	.p2align	6
.LBB7_964:
	s_branch .LBB7_967
.LBB7_965:                              ; =>This Inner Loop Header: Depth=1
	v_mov_b32_e32 v0, 1
	s_and_saveexec_b32 s5, s4
	s_cbranch_execz .LBB7_962
; %bb.966:                              ;   in Loop: Header=BB7_965 Depth=1
	global_load_dword v0, v[10:11], off offset:20 glc dlc
	s_waitcnt vmcnt(0)
	buffer_gl1_inv
	buffer_gl0_inv
	v_and_b32_e32 v0, 1, v0
	s_branch .LBB7_962
.LBB7_967:
	s_and_saveexec_b32 s5, s4
	s_cbranch_execz .LBB7_971
; %bb.968:
	v_mov_b32_e32 v6, 0
	s_clause 0x2
	global_load_dwordx2 v[2:3], v6, s[6:7] offset:40
	global_load_dwordx2 v[7:8], v6, s[6:7] offset:24 glc dlc
	global_load_dwordx2 v[4:5], v6, s[6:7]
	s_waitcnt vmcnt(2)
	v_add_co_u32 v9, vcc_lo, v2, 1
	v_add_co_ci_u32_e32 v10, vcc_lo, 0, v3, vcc_lo
	v_add_co_u32 v0, vcc_lo, v9, s10
	v_add_co_ci_u32_e32 v1, vcc_lo, s11, v10, vcc_lo
	v_cmp_eq_u64_e32 vcc_lo, 0, v[0:1]
	v_cndmask_b32_e32 v1, v1, v10, vcc_lo
	v_cndmask_b32_e32 v0, v0, v9, vcc_lo
	v_and_b32_e32 v3, v1, v3
	v_and_b32_e32 v2, v0, v2
	v_mul_lo_u32 v3, v3, 24
	v_mul_hi_u32 v9, v2, 24
	v_mul_lo_u32 v2, v2, 24
	v_add_nc_u32_e32 v3, v9, v3
	s_waitcnt vmcnt(0)
	v_add_co_u32 v4, vcc_lo, v4, v2
	v_mov_b32_e32 v2, v7
	v_add_co_ci_u32_e32 v5, vcc_lo, v5, v3, vcc_lo
	v_mov_b32_e32 v3, v8
	global_store_dwordx2 v[4:5], v[7:8], off
	s_waitcnt_vscnt null, 0x0
	global_atomic_cmpswap_x2 v[2:3], v6, v[0:3], s[6:7] offset:24 glc
	s_waitcnt vmcnt(0)
	v_cmp_ne_u64_e32 vcc_lo, v[2:3], v[7:8]
	s_and_b32 exec_lo, exec_lo, vcc_lo
	s_cbranch_execz .LBB7_971
; %bb.969:
	s_mov_b32 s4, 0
.LBB7_970:                              ; =>This Inner Loop Header: Depth=1
	s_sleep 1
	global_store_dwordx2 v[4:5], v[2:3], off
	s_waitcnt_vscnt null, 0x0
	global_atomic_cmpswap_x2 v[7:8], v6, v[0:3], s[6:7] offset:24 glc
	s_waitcnt vmcnt(0)
	v_cmp_eq_u64_e32 vcc_lo, v[7:8], v[2:3]
	v_mov_b32_e32 v2, v7
	v_mov_b32_e32 v3, v8
	s_or_b32 s4, vcc_lo, s4
	s_andn2_b32 exec_lo, exec_lo, s4
	s_cbranch_execnz .LBB7_970
.LBB7_971:
	s_or_b32 exec_lo, exec_lo, s5
	v_readfirstlane_b32 s4, v32
	v_mov_b32_e32 v6, 0
	v_mov_b32_e32 v7, 0
	v_cmp_eq_u32_e64 s4, s4, v32
	s_and_saveexec_b32 s5, s4
	s_cbranch_execz .LBB7_977
; %bb.972:
	v_mov_b32_e32 v0, 0
	s_mov_b32 s10, exec_lo
	global_load_dwordx2 v[3:4], v0, s[6:7] offset:24 glc dlc
	s_waitcnt vmcnt(0)
	buffer_gl1_inv
	buffer_gl0_inv
	s_clause 0x1
	global_load_dwordx2 v[1:2], v0, s[6:7] offset:40
	global_load_dwordx2 v[5:6], v0, s[6:7]
	s_waitcnt vmcnt(1)
	v_and_b32_e32 v2, v2, v4
	v_and_b32_e32 v1, v1, v3
	v_mul_lo_u32 v2, v2, 24
	v_mul_hi_u32 v7, v1, 24
	v_mul_lo_u32 v1, v1, 24
	v_add_nc_u32_e32 v2, v7, v2
	s_waitcnt vmcnt(0)
	v_add_co_u32 v1, vcc_lo, v5, v1
	v_add_co_ci_u32_e32 v2, vcc_lo, v6, v2, vcc_lo
	global_load_dwordx2 v[1:2], v[1:2], off glc dlc
	s_waitcnt vmcnt(0)
	global_atomic_cmpswap_x2 v[6:7], v0, v[1:4], s[6:7] offset:24 glc
	s_waitcnt vmcnt(0)
	buffer_gl1_inv
	buffer_gl0_inv
	v_cmpx_ne_u64_e64 v[6:7], v[3:4]
	s_cbranch_execz .LBB7_976
; %bb.973:
	s_mov_b32 s11, 0
	.p2align	6
.LBB7_974:                              ; =>This Inner Loop Header: Depth=1
	s_sleep 1
	s_clause 0x1
	global_load_dwordx2 v[1:2], v0, s[6:7] offset:40
	global_load_dwordx2 v[8:9], v0, s[6:7]
	v_mov_b32_e32 v3, v6
	v_mov_b32_e32 v4, v7
	s_waitcnt vmcnt(1)
	v_and_b32_e32 v1, v1, v3
	v_and_b32_e32 v2, v2, v4
	s_waitcnt vmcnt(0)
	v_mad_u64_u32 v[5:6], null, v1, 24, v[8:9]
	v_mov_b32_e32 v1, v6
	v_mad_u64_u32 v[1:2], null, v2, 24, v[1:2]
	v_mov_b32_e32 v6, v1
	global_load_dwordx2 v[1:2], v[5:6], off glc dlc
	s_waitcnt vmcnt(0)
	global_atomic_cmpswap_x2 v[6:7], v0, v[1:4], s[6:7] offset:24 glc
	s_waitcnt vmcnt(0)
	buffer_gl1_inv
	buffer_gl0_inv
	v_cmp_eq_u64_e32 vcc_lo, v[6:7], v[3:4]
	s_or_b32 s11, vcc_lo, s11
	s_andn2_b32 exec_lo, exec_lo, s11
	s_cbranch_execnz .LBB7_974
; %bb.975:
	s_or_b32 exec_lo, exec_lo, s11
.LBB7_976:
	s_or_b32 exec_lo, exec_lo, s10
.LBB7_977:
	s_or_b32 exec_lo, exec_lo, s5
	v_mov_b32_e32 v5, 0
	v_readfirstlane_b32 s10, v6
	v_readfirstlane_b32 s11, v7
	s_mov_b32 s5, exec_lo
	s_clause 0x1
	global_load_dwordx2 v[8:9], v5, s[6:7] offset:40
	global_load_dwordx4 v[0:3], v5, s[6:7]
	s_waitcnt vmcnt(1)
	v_readfirstlane_b32 s16, v8
	v_readfirstlane_b32 s17, v9
	s_and_b64 s[16:17], s[10:11], s[16:17]
	s_mul_i32 s18, s17, 24
	s_mul_hi_u32 s19, s16, 24
	s_mul_i32 s20, s16, 24
	s_add_i32 s19, s19, s18
	s_waitcnt vmcnt(0)
	v_add_co_u32 v8, vcc_lo, v0, s20
	v_add_co_ci_u32_e32 v9, vcc_lo, s19, v1, vcc_lo
	s_and_saveexec_b32 s18, s4
	s_cbranch_execz .LBB7_979
; %bb.978:
	v_mov_b32_e32 v4, s5
	v_mov_b32_e32 v6, 2
	;; [unrolled: 1-line block ×3, first 2 shown]
	global_store_dwordx4 v[8:9], v[4:7], off offset:8
.LBB7_979:
	s_or_b32 exec_lo, exec_lo, s18
	s_lshl_b64 s[16:17], s[16:17], 12
	v_mov_b32_e32 v4, 33
	v_add_co_u32 v2, vcc_lo, v2, s16
	v_add_co_ci_u32_e32 v3, vcc_lo, s17, v3, vcc_lo
	s_mov_b32 s16, 0
	v_add_co_u32 v10, vcc_lo, v2, v31
	s_mov_b32 s17, s16
	s_mov_b32 s18, s16
	;; [unrolled: 1-line block ×3, first 2 shown]
	v_mov_b32_e32 v6, v5
	v_mov_b32_e32 v7, v5
	v_readfirstlane_b32 s20, v2
	v_readfirstlane_b32 s21, v3
	v_mov_b32_e32 v12, s16
	v_add_co_ci_u32_e32 v11, vcc_lo, 0, v3, vcc_lo
	v_mov_b32_e32 v13, s17
	v_mov_b32_e32 v14, s18
	;; [unrolled: 1-line block ×3, first 2 shown]
	global_store_dwordx4 v31, v[4:7], s[20:21]
	global_store_dwordx4 v31, v[12:15], s[20:21] offset:16
	global_store_dwordx4 v31, v[12:15], s[20:21] offset:32
	;; [unrolled: 1-line block ×3, first 2 shown]
	s_and_saveexec_b32 s5, s4
	s_cbranch_execz .LBB7_987
; %bb.980:
	v_mov_b32_e32 v6, 0
	v_mov_b32_e32 v12, s10
	;; [unrolled: 1-line block ×3, first 2 shown]
	s_clause 0x1
	global_load_dwordx2 v[14:15], v6, s[6:7] offset:32 glc dlc
	global_load_dwordx2 v[2:3], v6, s[6:7] offset:40
	s_waitcnt vmcnt(0)
	v_readfirstlane_b32 s16, v2
	v_readfirstlane_b32 s17, v3
	s_and_b64 s[16:17], s[16:17], s[10:11]
	s_mul_i32 s17, s17, 24
	s_mul_hi_u32 s18, s16, 24
	s_mul_i32 s16, s16, 24
	s_add_i32 s18, s18, s17
	v_add_co_u32 v4, vcc_lo, v0, s16
	v_add_co_ci_u32_e32 v5, vcc_lo, s18, v1, vcc_lo
	s_mov_b32 s16, exec_lo
	global_store_dwordx2 v[4:5], v[14:15], off
	s_waitcnt_vscnt null, 0x0
	global_atomic_cmpswap_x2 v[2:3], v6, v[12:15], s[6:7] offset:32 glc
	s_waitcnt vmcnt(0)
	v_cmpx_ne_u64_e64 v[2:3], v[14:15]
	s_cbranch_execz .LBB7_983
; %bb.981:
	s_mov_b32 s17, 0
.LBB7_982:                              ; =>This Inner Loop Header: Depth=1
	v_mov_b32_e32 v0, s10
	v_mov_b32_e32 v1, s11
	s_sleep 1
	global_store_dwordx2 v[4:5], v[2:3], off
	s_waitcnt_vscnt null, 0x0
	global_atomic_cmpswap_x2 v[0:1], v6, v[0:3], s[6:7] offset:32 glc
	s_waitcnt vmcnt(0)
	v_cmp_eq_u64_e32 vcc_lo, v[0:1], v[2:3]
	v_mov_b32_e32 v3, v1
	v_mov_b32_e32 v2, v0
	s_or_b32 s17, vcc_lo, s17
	s_andn2_b32 exec_lo, exec_lo, s17
	s_cbranch_execnz .LBB7_982
.LBB7_983:
	s_or_b32 exec_lo, exec_lo, s16
	v_mov_b32_e32 v3, 0
	s_mov_b32 s17, exec_lo
	s_mov_b32 s16, exec_lo
	v_mbcnt_lo_u32_b32 v2, s17, 0
	global_load_dwordx2 v[0:1], v3, s[6:7] offset:16
	v_cmpx_eq_u32_e32 0, v2
	s_cbranch_execz .LBB7_985
; %bb.984:
	s_bcnt1_i32_b32 s17, s17
	v_mov_b32_e32 v2, s17
	s_waitcnt vmcnt(0)
	global_atomic_add_x2 v[0:1], v[2:3], off offset:8
.LBB7_985:
	s_or_b32 exec_lo, exec_lo, s16
	s_waitcnt vmcnt(0)
	global_load_dwordx2 v[2:3], v[0:1], off offset:16
	s_waitcnt vmcnt(0)
	v_cmp_eq_u64_e32 vcc_lo, 0, v[2:3]
	s_cbranch_vccnz .LBB7_987
; %bb.986:
	global_load_dword v0, v[0:1], off offset:24
	v_mov_b32_e32 v1, 0
	s_waitcnt vmcnt(0)
	v_and_b32_e32 v4, 0x7fffff, v0
	s_waitcnt_vscnt null, 0x0
	global_store_dwordx2 v[2:3], v[0:1], off
	v_readfirstlane_b32 m0, v4
	s_sendmsg sendmsg(MSG_INTERRUPT)
.LBB7_987:
	s_or_b32 exec_lo, exec_lo, s5
	s_branch .LBB7_991
	.p2align	6
.LBB7_988:                              ;   in Loop: Header=BB7_991 Depth=1
	s_or_b32 exec_lo, exec_lo, s5
	v_readfirstlane_b32 s5, v0
	s_cmp_eq_u32 s5, 0
	s_cbranch_scc1 .LBB7_990
; %bb.989:                              ;   in Loop: Header=BB7_991 Depth=1
	s_sleep 1
	s_cbranch_execnz .LBB7_991
	s_branch .LBB7_993
	.p2align	6
.LBB7_990:
	s_branch .LBB7_993
.LBB7_991:                              ; =>This Inner Loop Header: Depth=1
	v_mov_b32_e32 v0, 1
	s_and_saveexec_b32 s5, s4
	s_cbranch_execz .LBB7_988
; %bb.992:                              ;   in Loop: Header=BB7_991 Depth=1
	global_load_dword v0, v[8:9], off offset:20 glc dlc
	s_waitcnt vmcnt(0)
	buffer_gl1_inv
	buffer_gl0_inv
	v_and_b32_e32 v0, 1, v0
	s_branch .LBB7_988
.LBB7_993:
	global_load_dwordx2 v[0:1], v[10:11], off
	s_and_saveexec_b32 s5, s4
	s_cbranch_execz .LBB7_997
; %bb.994:
	v_mov_b32_e32 v8, 0
	s_clause 0x2
	global_load_dwordx2 v[4:5], v8, s[6:7] offset:40
	global_load_dwordx2 v[9:10], v8, s[6:7] offset:24 glc dlc
	global_load_dwordx2 v[6:7], v8, s[6:7]
	s_waitcnt vmcnt(2)
	v_add_co_u32 v11, vcc_lo, v4, 1
	v_add_co_ci_u32_e32 v12, vcc_lo, 0, v5, vcc_lo
	v_add_co_u32 v2, vcc_lo, v11, s10
	v_add_co_ci_u32_e32 v3, vcc_lo, s11, v12, vcc_lo
	v_cmp_eq_u64_e32 vcc_lo, 0, v[2:3]
	v_cndmask_b32_e32 v3, v3, v12, vcc_lo
	v_cndmask_b32_e32 v2, v2, v11, vcc_lo
	v_and_b32_e32 v5, v3, v5
	v_and_b32_e32 v4, v2, v4
	v_mul_lo_u32 v5, v5, 24
	v_mul_hi_u32 v11, v4, 24
	v_mul_lo_u32 v4, v4, 24
	v_add_nc_u32_e32 v5, v11, v5
	s_waitcnt vmcnt(0)
	v_add_co_u32 v6, vcc_lo, v6, v4
	v_mov_b32_e32 v4, v9
	v_add_co_ci_u32_e32 v7, vcc_lo, v7, v5, vcc_lo
	v_mov_b32_e32 v5, v10
	global_store_dwordx2 v[6:7], v[9:10], off
	s_waitcnt_vscnt null, 0x0
	global_atomic_cmpswap_x2 v[4:5], v8, v[2:5], s[6:7] offset:24 glc
	s_waitcnt vmcnt(0)
	v_cmp_ne_u64_e32 vcc_lo, v[4:5], v[9:10]
	s_and_b32 exec_lo, exec_lo, vcc_lo
	s_cbranch_execz .LBB7_997
; %bb.995:
	s_mov_b32 s4, 0
.LBB7_996:                              ; =>This Inner Loop Header: Depth=1
	s_sleep 1
	global_store_dwordx2 v[6:7], v[4:5], off
	s_waitcnt_vscnt null, 0x0
	global_atomic_cmpswap_x2 v[9:10], v8, v[2:5], s[6:7] offset:24 glc
	s_waitcnt vmcnt(0)
	v_cmp_eq_u64_e32 vcc_lo, v[9:10], v[4:5]
	v_mov_b32_e32 v4, v9
	v_mov_b32_e32 v5, v10
	s_or_b32 s4, vcc_lo, s4
	s_andn2_b32 exec_lo, exec_lo, s4
	s_cbranch_execnz .LBB7_996
.LBB7_997:
	s_or_b32 exec_lo, exec_lo, s5
	s_and_b32 vcc_lo, exec_lo, s24
	s_cbranch_vccz .LBB7_1076
; %bb.998:
	s_waitcnt vmcnt(0)
	v_and_b32_e32 v33, 2, v0
	v_mov_b32_e32 v6, 0
	v_and_b32_e32 v2, -3, v0
	v_mov_b32_e32 v3, v1
	v_mov_b32_e32 v7, 2
	;; [unrolled: 1-line block ×3, first 2 shown]
	s_mov_b64 s[16:17], 3
	s_getpc_b64 s[10:11]
	s_add_u32 s10, s10, .str.6@rel32@lo+4
	s_addc_u32 s11, s11, .str.6@rel32@hi+12
	s_branch .LBB7_1000
.LBB7_999:                              ;   in Loop: Header=BB7_1000 Depth=1
	s_or_b32 exec_lo, exec_lo, s5
	s_sub_u32 s16, s16, s18
	s_subb_u32 s17, s17, s19
	s_add_u32 s10, s10, s18
	s_addc_u32 s11, s11, s19
	s_cmp_lg_u64 s[16:17], 0
	s_cbranch_scc0 .LBB7_1075
.LBB7_1000:                             ; =>This Loop Header: Depth=1
                                        ;     Child Loop BB7_1009 Depth 2
                                        ;     Child Loop BB7_1005 Depth 2
	;; [unrolled: 1-line block ×11, first 2 shown]
	v_cmp_lt_u64_e64 s4, s[16:17], 56
	v_cmp_gt_u64_e64 s5, s[16:17], 7
                                        ; implicit-def: $vgpr11_vgpr12
                                        ; implicit-def: $sgpr25
	s_and_b32 s4, s4, exec_lo
	s_cselect_b32 s19, s17, 0
	s_cselect_b32 s18, s16, 56
	s_and_b32 vcc_lo, exec_lo, s5
	s_mov_b32 s4, -1
	s_cbranch_vccz .LBB7_1007
; %bb.1001:                             ;   in Loop: Header=BB7_1000 Depth=1
	s_andn2_b32 vcc_lo, exec_lo, s4
	s_mov_b64 s[4:5], s[10:11]
	s_cbranch_vccz .LBB7_1011
.LBB7_1002:                             ;   in Loop: Header=BB7_1000 Depth=1
	s_cmp_gt_u32 s25, 7
	s_cbranch_scc1 .LBB7_1012
.LBB7_1003:                             ;   in Loop: Header=BB7_1000 Depth=1
	v_mov_b32_e32 v13, 0
	v_mov_b32_e32 v14, 0
	s_cmp_eq_u32 s25, 0
	s_cbranch_scc1 .LBB7_1006
; %bb.1004:                             ;   in Loop: Header=BB7_1000 Depth=1
	s_mov_b64 s[20:21], 0
	s_mov_b64 s[22:23], 0
.LBB7_1005:                             ;   Parent Loop BB7_1000 Depth=1
                                        ; =>  This Inner Loop Header: Depth=2
	s_add_u32 s26, s4, s22
	s_addc_u32 s27, s5, s23
	s_add_u32 s22, s22, 1
	global_load_ubyte v4, v6, s[26:27]
	s_addc_u32 s23, s23, 0
	s_waitcnt vmcnt(0)
	v_and_b32_e32 v5, 0xffff, v4
	v_lshlrev_b64 v[4:5], s20, v[5:6]
	s_add_u32 s20, s20, 8
	s_addc_u32 s21, s21, 0
	s_cmp_lg_u32 s25, s22
	v_or_b32_e32 v13, v4, v13
	v_or_b32_e32 v14, v5, v14
	s_cbranch_scc1 .LBB7_1005
.LBB7_1006:                             ;   in Loop: Header=BB7_1000 Depth=1
	s_mov_b32 s26, 0
	s_cbranch_execz .LBB7_1013
	s_branch .LBB7_1014
.LBB7_1007:                             ;   in Loop: Header=BB7_1000 Depth=1
	v_mov_b32_e32 v11, 0
	v_mov_b32_e32 v12, 0
	s_cmp_eq_u64 s[16:17], 0
	s_mov_b64 s[4:5], 0
	s_cbranch_scc1 .LBB7_1010
; %bb.1008:                             ;   in Loop: Header=BB7_1000 Depth=1
	v_mov_b32_e32 v11, 0
	v_mov_b32_e32 v12, 0
	s_lshl_b64 s[20:21], s[18:19], 3
	s_mov_b64 s[22:23], s[10:11]
.LBB7_1009:                             ;   Parent Loop BB7_1000 Depth=1
                                        ; =>  This Inner Loop Header: Depth=2
	global_load_ubyte v4, v6, s[22:23]
	s_waitcnt vmcnt(0)
	v_and_b32_e32 v5, 0xffff, v4
	v_lshlrev_b64 v[4:5], s4, v[5:6]
	s_add_u32 s4, s4, 8
	s_addc_u32 s5, s5, 0
	s_add_u32 s22, s22, 1
	s_addc_u32 s23, s23, 0
	s_cmp_lg_u32 s20, s4
	v_or_b32_e32 v11, v4, v11
	v_or_b32_e32 v12, v5, v12
	s_cbranch_scc1 .LBB7_1009
.LBB7_1010:                             ;   in Loop: Header=BB7_1000 Depth=1
	s_mov_b32 s25, 0
	s_mov_b64 s[4:5], s[10:11]
	s_cbranch_execnz .LBB7_1002
.LBB7_1011:                             ;   in Loop: Header=BB7_1000 Depth=1
	global_load_dwordx2 v[11:12], v6, s[10:11]
	s_add_i32 s25, s18, -8
	s_add_u32 s4, s10, 8
	s_addc_u32 s5, s11, 0
	s_cmp_gt_u32 s25, 7
	s_cbranch_scc0 .LBB7_1003
.LBB7_1012:                             ;   in Loop: Header=BB7_1000 Depth=1
                                        ; implicit-def: $vgpr13_vgpr14
                                        ; implicit-def: $sgpr26
.LBB7_1013:                             ;   in Loop: Header=BB7_1000 Depth=1
	global_load_dwordx2 v[13:14], v6, s[4:5]
	s_add_i32 s26, s25, -8
	s_add_u32 s4, s4, 8
	s_addc_u32 s5, s5, 0
.LBB7_1014:                             ;   in Loop: Header=BB7_1000 Depth=1
	s_cmp_gt_u32 s26, 7
	s_cbranch_scc1 .LBB7_1019
; %bb.1015:                             ;   in Loop: Header=BB7_1000 Depth=1
	v_mov_b32_e32 v15, 0
	v_mov_b32_e32 v16, 0
	s_cmp_eq_u32 s26, 0
	s_cbranch_scc1 .LBB7_1018
; %bb.1016:                             ;   in Loop: Header=BB7_1000 Depth=1
	s_mov_b64 s[20:21], 0
	s_mov_b64 s[22:23], 0
.LBB7_1017:                             ;   Parent Loop BB7_1000 Depth=1
                                        ; =>  This Inner Loop Header: Depth=2
	s_add_u32 s28, s4, s22
	s_addc_u32 s29, s5, s23
	s_add_u32 s22, s22, 1
	global_load_ubyte v4, v6, s[28:29]
	s_addc_u32 s23, s23, 0
	s_waitcnt vmcnt(0)
	v_and_b32_e32 v5, 0xffff, v4
	v_lshlrev_b64 v[4:5], s20, v[5:6]
	s_add_u32 s20, s20, 8
	s_addc_u32 s21, s21, 0
	s_cmp_lg_u32 s26, s22
	v_or_b32_e32 v15, v4, v15
	v_or_b32_e32 v16, v5, v16
	s_cbranch_scc1 .LBB7_1017
.LBB7_1018:                             ;   in Loop: Header=BB7_1000 Depth=1
	s_mov_b32 s25, 0
	s_cbranch_execz .LBB7_1020
	s_branch .LBB7_1021
.LBB7_1019:                             ;   in Loop: Header=BB7_1000 Depth=1
                                        ; implicit-def: $sgpr25
.LBB7_1020:                             ;   in Loop: Header=BB7_1000 Depth=1
	global_load_dwordx2 v[15:16], v6, s[4:5]
	s_add_i32 s25, s26, -8
	s_add_u32 s4, s4, 8
	s_addc_u32 s5, s5, 0
.LBB7_1021:                             ;   in Loop: Header=BB7_1000 Depth=1
	s_cmp_gt_u32 s25, 7
	s_cbranch_scc1 .LBB7_1026
; %bb.1022:                             ;   in Loop: Header=BB7_1000 Depth=1
	v_mov_b32_e32 v17, 0
	v_mov_b32_e32 v18, 0
	s_cmp_eq_u32 s25, 0
	s_cbranch_scc1 .LBB7_1025
; %bb.1023:                             ;   in Loop: Header=BB7_1000 Depth=1
	s_mov_b64 s[20:21], 0
	s_mov_b64 s[22:23], 0
.LBB7_1024:                             ;   Parent Loop BB7_1000 Depth=1
                                        ; =>  This Inner Loop Header: Depth=2
	s_add_u32 s26, s4, s22
	s_addc_u32 s27, s5, s23
	s_add_u32 s22, s22, 1
	global_load_ubyte v4, v6, s[26:27]
	s_addc_u32 s23, s23, 0
	s_waitcnt vmcnt(0)
	v_and_b32_e32 v5, 0xffff, v4
	v_lshlrev_b64 v[4:5], s20, v[5:6]
	s_add_u32 s20, s20, 8
	s_addc_u32 s21, s21, 0
	s_cmp_lg_u32 s25, s22
	v_or_b32_e32 v17, v4, v17
	v_or_b32_e32 v18, v5, v18
	s_cbranch_scc1 .LBB7_1024
.LBB7_1025:                             ;   in Loop: Header=BB7_1000 Depth=1
	s_mov_b32 s26, 0
	s_cbranch_execz .LBB7_1027
	s_branch .LBB7_1028
.LBB7_1026:                             ;   in Loop: Header=BB7_1000 Depth=1
                                        ; implicit-def: $vgpr17_vgpr18
                                        ; implicit-def: $sgpr26
.LBB7_1027:                             ;   in Loop: Header=BB7_1000 Depth=1
	global_load_dwordx2 v[17:18], v6, s[4:5]
	s_add_i32 s26, s25, -8
	s_add_u32 s4, s4, 8
	s_addc_u32 s5, s5, 0
.LBB7_1028:                             ;   in Loop: Header=BB7_1000 Depth=1
	s_cmp_gt_u32 s26, 7
	s_cbranch_scc1 .LBB7_1033
; %bb.1029:                             ;   in Loop: Header=BB7_1000 Depth=1
	v_mov_b32_e32 v19, 0
	v_mov_b32_e32 v20, 0
	s_cmp_eq_u32 s26, 0
	s_cbranch_scc1 .LBB7_1032
; %bb.1030:                             ;   in Loop: Header=BB7_1000 Depth=1
	s_mov_b64 s[20:21], 0
	s_mov_b64 s[22:23], 0
.LBB7_1031:                             ;   Parent Loop BB7_1000 Depth=1
                                        ; =>  This Inner Loop Header: Depth=2
	s_add_u32 s28, s4, s22
	s_addc_u32 s29, s5, s23
	s_add_u32 s22, s22, 1
	global_load_ubyte v4, v6, s[28:29]
	s_addc_u32 s23, s23, 0
	s_waitcnt vmcnt(0)
	v_and_b32_e32 v5, 0xffff, v4
	v_lshlrev_b64 v[4:5], s20, v[5:6]
	s_add_u32 s20, s20, 8
	s_addc_u32 s21, s21, 0
	s_cmp_lg_u32 s26, s22
	v_or_b32_e32 v19, v4, v19
	v_or_b32_e32 v20, v5, v20
	s_cbranch_scc1 .LBB7_1031
.LBB7_1032:                             ;   in Loop: Header=BB7_1000 Depth=1
	s_mov_b32 s25, 0
	s_cbranch_execz .LBB7_1034
	s_branch .LBB7_1035
.LBB7_1033:                             ;   in Loop: Header=BB7_1000 Depth=1
                                        ; implicit-def: $sgpr25
.LBB7_1034:                             ;   in Loop: Header=BB7_1000 Depth=1
	global_load_dwordx2 v[19:20], v6, s[4:5]
	s_add_i32 s25, s26, -8
	s_add_u32 s4, s4, 8
	s_addc_u32 s5, s5, 0
.LBB7_1035:                             ;   in Loop: Header=BB7_1000 Depth=1
	s_cmp_gt_u32 s25, 7
	s_cbranch_scc1 .LBB7_1040
; %bb.1036:                             ;   in Loop: Header=BB7_1000 Depth=1
	v_mov_b32_e32 v21, 0
	v_mov_b32_e32 v22, 0
	s_cmp_eq_u32 s25, 0
	s_cbranch_scc1 .LBB7_1039
; %bb.1037:                             ;   in Loop: Header=BB7_1000 Depth=1
	s_mov_b64 s[20:21], 0
	s_mov_b64 s[22:23], 0
.LBB7_1038:                             ;   Parent Loop BB7_1000 Depth=1
                                        ; =>  This Inner Loop Header: Depth=2
	s_add_u32 s26, s4, s22
	s_addc_u32 s27, s5, s23
	s_add_u32 s22, s22, 1
	global_load_ubyte v4, v6, s[26:27]
	s_addc_u32 s23, s23, 0
	s_waitcnt vmcnt(0)
	v_and_b32_e32 v5, 0xffff, v4
	v_lshlrev_b64 v[4:5], s20, v[5:6]
	s_add_u32 s20, s20, 8
	s_addc_u32 s21, s21, 0
	s_cmp_lg_u32 s25, s22
	v_or_b32_e32 v21, v4, v21
	v_or_b32_e32 v22, v5, v22
	s_cbranch_scc1 .LBB7_1038
.LBB7_1039:                             ;   in Loop: Header=BB7_1000 Depth=1
	s_mov_b32 s26, 0
	s_cbranch_execz .LBB7_1041
	s_branch .LBB7_1042
.LBB7_1040:                             ;   in Loop: Header=BB7_1000 Depth=1
                                        ; implicit-def: $vgpr21_vgpr22
                                        ; implicit-def: $sgpr26
.LBB7_1041:                             ;   in Loop: Header=BB7_1000 Depth=1
	global_load_dwordx2 v[21:22], v6, s[4:5]
	s_add_i32 s26, s25, -8
	s_add_u32 s4, s4, 8
	s_addc_u32 s5, s5, 0
.LBB7_1042:                             ;   in Loop: Header=BB7_1000 Depth=1
	s_cmp_gt_u32 s26, 7
	s_cbranch_scc1 .LBB7_1047
; %bb.1043:                             ;   in Loop: Header=BB7_1000 Depth=1
	v_mov_b32_e32 v23, 0
	v_mov_b32_e32 v24, 0
	s_cmp_eq_u32 s26, 0
	s_cbranch_scc1 .LBB7_1046
; %bb.1044:                             ;   in Loop: Header=BB7_1000 Depth=1
	s_mov_b64 s[20:21], 0
	s_mov_b64 s[22:23], s[4:5]
.LBB7_1045:                             ;   Parent Loop BB7_1000 Depth=1
                                        ; =>  This Inner Loop Header: Depth=2
	global_load_ubyte v4, v6, s[22:23]
	s_add_i32 s26, s26, -1
	s_waitcnt vmcnt(0)
	v_and_b32_e32 v5, 0xffff, v4
	v_lshlrev_b64 v[4:5], s20, v[5:6]
	s_add_u32 s20, s20, 8
	s_addc_u32 s21, s21, 0
	s_add_u32 s22, s22, 1
	s_addc_u32 s23, s23, 0
	s_cmp_lg_u32 s26, 0
	v_or_b32_e32 v23, v4, v23
	v_or_b32_e32 v24, v5, v24
	s_cbranch_scc1 .LBB7_1045
.LBB7_1046:                             ;   in Loop: Header=BB7_1000 Depth=1
	s_cbranch_execz .LBB7_1048
	s_branch .LBB7_1049
.LBB7_1047:                             ;   in Loop: Header=BB7_1000 Depth=1
.LBB7_1048:                             ;   in Loop: Header=BB7_1000 Depth=1
	global_load_dwordx2 v[23:24], v6, s[4:5]
.LBB7_1049:                             ;   in Loop: Header=BB7_1000 Depth=1
	v_readfirstlane_b32 s4, v32
	s_waitcnt vmcnt(0)
	v_mov_b32_e32 v4, 0
	v_mov_b32_e32 v5, 0
	v_cmp_eq_u32_e64 s4, s4, v32
	s_and_saveexec_b32 s5, s4
	s_cbranch_execz .LBB7_1055
; %bb.1050:                             ;   in Loop: Header=BB7_1000 Depth=1
	global_load_dwordx2 v[27:28], v6, s[6:7] offset:24 glc dlc
	s_waitcnt vmcnt(0)
	buffer_gl1_inv
	buffer_gl0_inv
	s_clause 0x1
	global_load_dwordx2 v[4:5], v6, s[6:7] offset:40
	global_load_dwordx2 v[9:10], v6, s[6:7]
	s_mov_b32 s20, exec_lo
	s_waitcnt vmcnt(1)
	v_and_b32_e32 v5, v5, v28
	v_and_b32_e32 v4, v4, v27
	v_mul_lo_u32 v5, v5, 24
	v_mul_hi_u32 v25, v4, 24
	v_mul_lo_u32 v4, v4, 24
	v_add_nc_u32_e32 v5, v25, v5
	s_waitcnt vmcnt(0)
	v_add_co_u32 v4, vcc_lo, v9, v4
	v_add_co_ci_u32_e32 v5, vcc_lo, v10, v5, vcc_lo
	global_load_dwordx2 v[25:26], v[4:5], off glc dlc
	s_waitcnt vmcnt(0)
	global_atomic_cmpswap_x2 v[4:5], v6, v[25:28], s[6:7] offset:24 glc
	s_waitcnt vmcnt(0)
	buffer_gl1_inv
	buffer_gl0_inv
	v_cmpx_ne_u64_e64 v[4:5], v[27:28]
	s_cbranch_execz .LBB7_1054
; %bb.1051:                             ;   in Loop: Header=BB7_1000 Depth=1
	s_mov_b32 s21, 0
	.p2align	6
.LBB7_1052:                             ;   Parent Loop BB7_1000 Depth=1
                                        ; =>  This Inner Loop Header: Depth=2
	s_sleep 1
	s_clause 0x1
	global_load_dwordx2 v[9:10], v6, s[6:7] offset:40
	global_load_dwordx2 v[25:26], v6, s[6:7]
	v_mov_b32_e32 v28, v5
	v_mov_b32_e32 v27, v4
	s_waitcnt vmcnt(1)
	v_and_b32_e32 v4, v9, v27
	v_and_b32_e32 v9, v10, v28
	s_waitcnt vmcnt(0)
	v_mad_u64_u32 v[4:5], null, v4, 24, v[25:26]
	v_mad_u64_u32 v[9:10], null, v9, 24, v[5:6]
	v_mov_b32_e32 v5, v9
	global_load_dwordx2 v[25:26], v[4:5], off glc dlc
	s_waitcnt vmcnt(0)
	global_atomic_cmpswap_x2 v[4:5], v6, v[25:28], s[6:7] offset:24 glc
	s_waitcnt vmcnt(0)
	buffer_gl1_inv
	buffer_gl0_inv
	v_cmp_eq_u64_e32 vcc_lo, v[4:5], v[27:28]
	s_or_b32 s21, vcc_lo, s21
	s_andn2_b32 exec_lo, exec_lo, s21
	s_cbranch_execnz .LBB7_1052
; %bb.1053:                             ;   in Loop: Header=BB7_1000 Depth=1
	s_or_b32 exec_lo, exec_lo, s21
.LBB7_1054:                             ;   in Loop: Header=BB7_1000 Depth=1
	s_or_b32 exec_lo, exec_lo, s20
.LBB7_1055:                             ;   in Loop: Header=BB7_1000 Depth=1
	s_or_b32 exec_lo, exec_lo, s5
	s_clause 0x1
	global_load_dwordx2 v[9:10], v6, s[6:7] offset:40
	global_load_dwordx4 v[25:28], v6, s[6:7]
	v_readfirstlane_b32 s20, v4
	v_readfirstlane_b32 s21, v5
	s_mov_b32 s5, exec_lo
	s_waitcnt vmcnt(1)
	v_readfirstlane_b32 s22, v9
	v_readfirstlane_b32 s23, v10
	s_and_b64 s[22:23], s[20:21], s[22:23]
	s_mul_i32 s25, s23, 24
	s_mul_hi_u32 s26, s22, 24
	s_mul_i32 s27, s22, 24
	s_add_i32 s26, s26, s25
	s_waitcnt vmcnt(0)
	v_add_co_u32 v29, vcc_lo, v25, s27
	v_add_co_ci_u32_e32 v30, vcc_lo, s26, v26, vcc_lo
	s_and_saveexec_b32 s25, s4
	s_cbranch_execz .LBB7_1057
; %bb.1056:                             ;   in Loop: Header=BB7_1000 Depth=1
	v_mov_b32_e32 v5, s5
	global_store_dwordx4 v[29:30], v[5:8], off offset:8
.LBB7_1057:                             ;   in Loop: Header=BB7_1000 Depth=1
	s_or_b32 exec_lo, exec_lo, s25
	s_lshl_b64 s[22:23], s[22:23], 12
	v_cmp_gt_u64_e64 vcc_lo, s[16:17], 56
	v_or_b32_e32 v5, v2, v33
	v_add_co_u32 v27, s5, v27, s22
	v_add_co_ci_u32_e64 v28, s5, s23, v28, s5
	s_lshl_b32 s5, s18, 2
	v_or_b32_e32 v4, 0, v3
	v_cndmask_b32_e32 v2, v5, v2, vcc_lo
	s_add_i32 s5, s5, 28
	v_readfirstlane_b32 s22, v27
	s_and_b32 s5, s5, 0x1e0
	v_cndmask_b32_e32 v10, v4, v3, vcc_lo
	v_readfirstlane_b32 s23, v28
	v_and_or_b32 v9, 0xffffff1f, v2, s5
	global_store_dwordx4 v31, v[9:12], s[22:23]
	global_store_dwordx4 v31, v[13:16], s[22:23] offset:16
	global_store_dwordx4 v31, v[17:20], s[22:23] offset:32
	;; [unrolled: 1-line block ×3, first 2 shown]
	s_and_saveexec_b32 s5, s4
	s_cbranch_execz .LBB7_1065
; %bb.1058:                             ;   in Loop: Header=BB7_1000 Depth=1
	s_clause 0x1
	global_load_dwordx2 v[13:14], v6, s[6:7] offset:32 glc dlc
	global_load_dwordx2 v[2:3], v6, s[6:7] offset:40
	v_mov_b32_e32 v11, s20
	v_mov_b32_e32 v12, s21
	s_waitcnt vmcnt(0)
	v_readfirstlane_b32 s22, v2
	v_readfirstlane_b32 s23, v3
	s_and_b64 s[22:23], s[22:23], s[20:21]
	s_mul_i32 s23, s23, 24
	s_mul_hi_u32 s25, s22, 24
	s_mul_i32 s22, s22, 24
	s_add_i32 s25, s25, s23
	v_add_co_u32 v9, vcc_lo, v25, s22
	v_add_co_ci_u32_e32 v10, vcc_lo, s25, v26, vcc_lo
	s_mov_b32 s22, exec_lo
	global_store_dwordx2 v[9:10], v[13:14], off
	s_waitcnt_vscnt null, 0x0
	global_atomic_cmpswap_x2 v[4:5], v6, v[11:14], s[6:7] offset:32 glc
	s_waitcnt vmcnt(0)
	v_cmpx_ne_u64_e64 v[4:5], v[13:14]
	s_cbranch_execz .LBB7_1061
; %bb.1059:                             ;   in Loop: Header=BB7_1000 Depth=1
	s_mov_b32 s23, 0
.LBB7_1060:                             ;   Parent Loop BB7_1000 Depth=1
                                        ; =>  This Inner Loop Header: Depth=2
	v_mov_b32_e32 v2, s20
	v_mov_b32_e32 v3, s21
	s_sleep 1
	global_store_dwordx2 v[9:10], v[4:5], off
	s_waitcnt_vscnt null, 0x0
	global_atomic_cmpswap_x2 v[2:3], v6, v[2:5], s[6:7] offset:32 glc
	s_waitcnt vmcnt(0)
	v_cmp_eq_u64_e32 vcc_lo, v[2:3], v[4:5]
	v_mov_b32_e32 v5, v3
	v_mov_b32_e32 v4, v2
	s_or_b32 s23, vcc_lo, s23
	s_andn2_b32 exec_lo, exec_lo, s23
	s_cbranch_execnz .LBB7_1060
.LBB7_1061:                             ;   in Loop: Header=BB7_1000 Depth=1
	s_or_b32 exec_lo, exec_lo, s22
	global_load_dwordx2 v[2:3], v6, s[6:7] offset:16
	s_mov_b32 s23, exec_lo
	s_mov_b32 s22, exec_lo
	v_mbcnt_lo_u32_b32 v4, s23, 0
	v_cmpx_eq_u32_e32 0, v4
	s_cbranch_execz .LBB7_1063
; %bb.1062:                             ;   in Loop: Header=BB7_1000 Depth=1
	s_bcnt1_i32_b32 s23, s23
	v_mov_b32_e32 v5, s23
	s_waitcnt vmcnt(0)
	global_atomic_add_x2 v[2:3], v[5:6], off offset:8
.LBB7_1063:                             ;   in Loop: Header=BB7_1000 Depth=1
	s_or_b32 exec_lo, exec_lo, s22
	s_waitcnt vmcnt(0)
	global_load_dwordx2 v[9:10], v[2:3], off offset:16
	s_waitcnt vmcnt(0)
	v_cmp_eq_u64_e32 vcc_lo, 0, v[9:10]
	s_cbranch_vccnz .LBB7_1065
; %bb.1064:                             ;   in Loop: Header=BB7_1000 Depth=1
	global_load_dword v5, v[2:3], off offset:24
	s_waitcnt vmcnt(0)
	v_and_b32_e32 v2, 0x7fffff, v5
	s_waitcnt_vscnt null, 0x0
	global_store_dwordx2 v[9:10], v[5:6], off
	v_readfirstlane_b32 m0, v2
	s_sendmsg sendmsg(MSG_INTERRUPT)
.LBB7_1065:                             ;   in Loop: Header=BB7_1000 Depth=1
	s_or_b32 exec_lo, exec_lo, s5
	v_add_co_u32 v2, vcc_lo, v27, v31
	v_add_co_ci_u32_e32 v3, vcc_lo, 0, v28, vcc_lo
	s_branch .LBB7_1069
	.p2align	6
.LBB7_1066:                             ;   in Loop: Header=BB7_1069 Depth=2
	s_or_b32 exec_lo, exec_lo, s5
	v_readfirstlane_b32 s5, v4
	s_cmp_eq_u32 s5, 0
	s_cbranch_scc1 .LBB7_1068
; %bb.1067:                             ;   in Loop: Header=BB7_1069 Depth=2
	s_sleep 1
	s_cbranch_execnz .LBB7_1069
	s_branch .LBB7_1071
	.p2align	6
.LBB7_1068:                             ;   in Loop: Header=BB7_1000 Depth=1
	s_branch .LBB7_1071
.LBB7_1069:                             ;   Parent Loop BB7_1000 Depth=1
                                        ; =>  This Inner Loop Header: Depth=2
	v_mov_b32_e32 v4, 1
	s_and_saveexec_b32 s5, s4
	s_cbranch_execz .LBB7_1066
; %bb.1070:                             ;   in Loop: Header=BB7_1069 Depth=2
	global_load_dword v4, v[29:30], off offset:20 glc dlc
	s_waitcnt vmcnt(0)
	buffer_gl1_inv
	buffer_gl0_inv
	v_and_b32_e32 v4, 1, v4
	s_branch .LBB7_1066
.LBB7_1071:                             ;   in Loop: Header=BB7_1000 Depth=1
	global_load_dwordx4 v[2:5], v[2:3], off
	s_and_saveexec_b32 s5, s4
	s_cbranch_execz .LBB7_999
; %bb.1072:                             ;   in Loop: Header=BB7_1000 Depth=1
	s_clause 0x2
	global_load_dwordx2 v[4:5], v6, s[6:7] offset:40
	global_load_dwordx2 v[13:14], v6, s[6:7] offset:24 glc dlc
	global_load_dwordx2 v[11:12], v6, s[6:7]
	s_waitcnt vmcnt(2)
	v_add_co_u32 v15, vcc_lo, v4, 1
	v_add_co_ci_u32_e32 v16, vcc_lo, 0, v5, vcc_lo
	v_add_co_u32 v9, vcc_lo, v15, s20
	v_add_co_ci_u32_e32 v10, vcc_lo, s21, v16, vcc_lo
	v_cmp_eq_u64_e32 vcc_lo, 0, v[9:10]
	v_cndmask_b32_e32 v10, v10, v16, vcc_lo
	v_cndmask_b32_e32 v9, v9, v15, vcc_lo
	v_and_b32_e32 v5, v10, v5
	v_and_b32_e32 v4, v9, v4
	v_mul_lo_u32 v5, v5, 24
	v_mul_hi_u32 v15, v4, 24
	v_mul_lo_u32 v4, v4, 24
	v_add_nc_u32_e32 v5, v15, v5
	s_waitcnt vmcnt(0)
	v_add_co_u32 v4, vcc_lo, v11, v4
	v_mov_b32_e32 v11, v13
	v_add_co_ci_u32_e32 v5, vcc_lo, v12, v5, vcc_lo
	v_mov_b32_e32 v12, v14
	global_store_dwordx2 v[4:5], v[13:14], off
	s_waitcnt_vscnt null, 0x0
	global_atomic_cmpswap_x2 v[11:12], v6, v[9:12], s[6:7] offset:24 glc
	s_waitcnt vmcnt(0)
	v_cmp_ne_u64_e32 vcc_lo, v[11:12], v[13:14]
	s_and_b32 exec_lo, exec_lo, vcc_lo
	s_cbranch_execz .LBB7_999
; %bb.1073:                             ;   in Loop: Header=BB7_1000 Depth=1
	s_mov_b32 s4, 0
.LBB7_1074:                             ;   Parent Loop BB7_1000 Depth=1
                                        ; =>  This Inner Loop Header: Depth=2
	s_sleep 1
	global_store_dwordx2 v[4:5], v[11:12], off
	s_waitcnt_vscnt null, 0x0
	global_atomic_cmpswap_x2 v[13:14], v6, v[9:12], s[6:7] offset:24 glc
	s_waitcnt vmcnt(0)
	v_cmp_eq_u64_e32 vcc_lo, v[13:14], v[11:12]
	v_mov_b32_e32 v11, v13
	v_mov_b32_e32 v12, v14
	s_or_b32 s4, vcc_lo, s4
	s_andn2_b32 exec_lo, exec_lo, s4
	s_cbranch_execnz .LBB7_1074
	s_branch .LBB7_999
.LBB7_1075:
	s_branch .LBB7_1104
.LBB7_1076:
                                        ; implicit-def: $vgpr2_vgpr3
	s_cbranch_execz .LBB7_1104
; %bb.1077:
	v_readfirstlane_b32 s4, v32
	v_mov_b32_e32 v8, 0
	v_mov_b32_e32 v9, 0
	v_cmp_eq_u32_e64 s4, s4, v32
	s_and_saveexec_b32 s5, s4
	s_cbranch_execz .LBB7_1083
; %bb.1078:
	s_waitcnt vmcnt(0)
	v_mov_b32_e32 v2, 0
	s_mov_b32 s10, exec_lo
	global_load_dwordx2 v[5:6], v2, s[6:7] offset:24 glc dlc
	s_waitcnt vmcnt(0)
	buffer_gl1_inv
	buffer_gl0_inv
	s_clause 0x1
	global_load_dwordx2 v[3:4], v2, s[6:7] offset:40
	global_load_dwordx2 v[7:8], v2, s[6:7]
	s_waitcnt vmcnt(1)
	v_and_b32_e32 v4, v4, v6
	v_and_b32_e32 v3, v3, v5
	v_mul_lo_u32 v4, v4, 24
	v_mul_hi_u32 v9, v3, 24
	v_mul_lo_u32 v3, v3, 24
	v_add_nc_u32_e32 v4, v9, v4
	s_waitcnt vmcnt(0)
	v_add_co_u32 v3, vcc_lo, v7, v3
	v_add_co_ci_u32_e32 v4, vcc_lo, v8, v4, vcc_lo
	global_load_dwordx2 v[3:4], v[3:4], off glc dlc
	s_waitcnt vmcnt(0)
	global_atomic_cmpswap_x2 v[8:9], v2, v[3:6], s[6:7] offset:24 glc
	s_waitcnt vmcnt(0)
	buffer_gl1_inv
	buffer_gl0_inv
	v_cmpx_ne_u64_e64 v[8:9], v[5:6]
	s_cbranch_execz .LBB7_1082
; %bb.1079:
	s_mov_b32 s11, 0
	.p2align	6
.LBB7_1080:                             ; =>This Inner Loop Header: Depth=1
	s_sleep 1
	s_clause 0x1
	global_load_dwordx2 v[3:4], v2, s[6:7] offset:40
	global_load_dwordx2 v[10:11], v2, s[6:7]
	v_mov_b32_e32 v5, v8
	v_mov_b32_e32 v6, v9
	s_waitcnt vmcnt(1)
	v_and_b32_e32 v3, v3, v5
	v_and_b32_e32 v4, v4, v6
	s_waitcnt vmcnt(0)
	v_mad_u64_u32 v[7:8], null, v3, 24, v[10:11]
	v_mov_b32_e32 v3, v8
	v_mad_u64_u32 v[3:4], null, v4, 24, v[3:4]
	v_mov_b32_e32 v8, v3
	global_load_dwordx2 v[3:4], v[7:8], off glc dlc
	s_waitcnt vmcnt(0)
	global_atomic_cmpswap_x2 v[8:9], v2, v[3:6], s[6:7] offset:24 glc
	s_waitcnt vmcnt(0)
	buffer_gl1_inv
	buffer_gl0_inv
	v_cmp_eq_u64_e32 vcc_lo, v[8:9], v[5:6]
	s_or_b32 s11, vcc_lo, s11
	s_andn2_b32 exec_lo, exec_lo, s11
	s_cbranch_execnz .LBB7_1080
; %bb.1081:
	s_or_b32 exec_lo, exec_lo, s11
.LBB7_1082:
	s_or_b32 exec_lo, exec_lo, s10
.LBB7_1083:
	s_or_b32 exec_lo, exec_lo, s5
	s_waitcnt vmcnt(0)
	v_mov_b32_e32 v2, 0
	v_readfirstlane_b32 s10, v8
	v_readfirstlane_b32 s11, v9
	s_mov_b32 s5, exec_lo
	s_clause 0x1
	global_load_dwordx2 v[10:11], v2, s[6:7] offset:40
	global_load_dwordx4 v[4:7], v2, s[6:7]
	s_waitcnt vmcnt(1)
	v_readfirstlane_b32 s16, v10
	v_readfirstlane_b32 s17, v11
	s_and_b64 s[16:17], s[10:11], s[16:17]
	s_mul_i32 s18, s17, 24
	s_mul_hi_u32 s19, s16, 24
	s_mul_i32 s20, s16, 24
	s_add_i32 s19, s19, s18
	s_waitcnt vmcnt(0)
	v_add_co_u32 v8, vcc_lo, v4, s20
	v_add_co_ci_u32_e32 v9, vcc_lo, s19, v5, vcc_lo
	s_and_saveexec_b32 s18, s4
	s_cbranch_execz .LBB7_1085
; %bb.1084:
	v_mov_b32_e32 v10, s5
	v_mov_b32_e32 v11, v2
	;; [unrolled: 1-line block ×4, first 2 shown]
	global_store_dwordx4 v[8:9], v[10:13], off offset:8
.LBB7_1085:
	s_or_b32 exec_lo, exec_lo, s18
	s_lshl_b64 s[16:17], s[16:17], 12
	v_and_or_b32 v0, 0xffffff1f, v0, 32
	v_add_co_u32 v6, vcc_lo, v6, s16
	v_add_co_ci_u32_e32 v7, vcc_lo, s17, v7, vcc_lo
	s_mov_b32 s16, 0
	v_readfirstlane_b32 s20, v6
	v_add_co_u32 v6, vcc_lo, v6, v31
	s_mov_b32 s17, s16
	s_mov_b32 s18, s16
	;; [unrolled: 1-line block ×3, first 2 shown]
	v_mov_b32_e32 v3, v2
	v_readfirstlane_b32 s21, v7
	v_mov_b32_e32 v10, s16
	v_add_co_ci_u32_e32 v7, vcc_lo, 0, v7, vcc_lo
	v_mov_b32_e32 v11, s17
	v_mov_b32_e32 v12, s18
	;; [unrolled: 1-line block ×3, first 2 shown]
	global_store_dwordx4 v31, v[0:3], s[20:21]
	global_store_dwordx4 v31, v[10:13], s[20:21] offset:16
	global_store_dwordx4 v31, v[10:13], s[20:21] offset:32
	;; [unrolled: 1-line block ×3, first 2 shown]
	s_and_saveexec_b32 s5, s4
	s_cbranch_execz .LBB7_1093
; %bb.1086:
	v_mov_b32_e32 v10, 0
	v_mov_b32_e32 v11, s10
	;; [unrolled: 1-line block ×3, first 2 shown]
	s_clause 0x1
	global_load_dwordx2 v[13:14], v10, s[6:7] offset:32 glc dlc
	global_load_dwordx2 v[0:1], v10, s[6:7] offset:40
	s_waitcnt vmcnt(0)
	v_readfirstlane_b32 s16, v0
	v_readfirstlane_b32 s17, v1
	s_and_b64 s[16:17], s[16:17], s[10:11]
	s_mul_i32 s17, s17, 24
	s_mul_hi_u32 s18, s16, 24
	s_mul_i32 s16, s16, 24
	s_add_i32 s18, s18, s17
	v_add_co_u32 v4, vcc_lo, v4, s16
	v_add_co_ci_u32_e32 v5, vcc_lo, s18, v5, vcc_lo
	s_mov_b32 s16, exec_lo
	global_store_dwordx2 v[4:5], v[13:14], off
	s_waitcnt_vscnt null, 0x0
	global_atomic_cmpswap_x2 v[2:3], v10, v[11:14], s[6:7] offset:32 glc
	s_waitcnt vmcnt(0)
	v_cmpx_ne_u64_e64 v[2:3], v[13:14]
	s_cbranch_execz .LBB7_1089
; %bb.1087:
	s_mov_b32 s17, 0
.LBB7_1088:                             ; =>This Inner Loop Header: Depth=1
	v_mov_b32_e32 v0, s10
	v_mov_b32_e32 v1, s11
	s_sleep 1
	global_store_dwordx2 v[4:5], v[2:3], off
	s_waitcnt_vscnt null, 0x0
	global_atomic_cmpswap_x2 v[0:1], v10, v[0:3], s[6:7] offset:32 glc
	s_waitcnt vmcnt(0)
	v_cmp_eq_u64_e32 vcc_lo, v[0:1], v[2:3]
	v_mov_b32_e32 v3, v1
	v_mov_b32_e32 v2, v0
	s_or_b32 s17, vcc_lo, s17
	s_andn2_b32 exec_lo, exec_lo, s17
	s_cbranch_execnz .LBB7_1088
.LBB7_1089:
	s_or_b32 exec_lo, exec_lo, s16
	v_mov_b32_e32 v3, 0
	s_mov_b32 s17, exec_lo
	s_mov_b32 s16, exec_lo
	v_mbcnt_lo_u32_b32 v2, s17, 0
	global_load_dwordx2 v[0:1], v3, s[6:7] offset:16
	v_cmpx_eq_u32_e32 0, v2
	s_cbranch_execz .LBB7_1091
; %bb.1090:
	s_bcnt1_i32_b32 s17, s17
	v_mov_b32_e32 v2, s17
	s_waitcnt vmcnt(0)
	global_atomic_add_x2 v[0:1], v[2:3], off offset:8
.LBB7_1091:
	s_or_b32 exec_lo, exec_lo, s16
	s_waitcnt vmcnt(0)
	global_load_dwordx2 v[2:3], v[0:1], off offset:16
	s_waitcnt vmcnt(0)
	v_cmp_eq_u64_e32 vcc_lo, 0, v[2:3]
	s_cbranch_vccnz .LBB7_1093
; %bb.1092:
	global_load_dword v0, v[0:1], off offset:24
	v_mov_b32_e32 v1, 0
	s_waitcnt vmcnt(0)
	v_and_b32_e32 v4, 0x7fffff, v0
	s_waitcnt_vscnt null, 0x0
	global_store_dwordx2 v[2:3], v[0:1], off
	v_readfirstlane_b32 m0, v4
	s_sendmsg sendmsg(MSG_INTERRUPT)
.LBB7_1093:
	s_or_b32 exec_lo, exec_lo, s5
	s_branch .LBB7_1097
	.p2align	6
.LBB7_1094:                             ;   in Loop: Header=BB7_1097 Depth=1
	s_or_b32 exec_lo, exec_lo, s5
	v_readfirstlane_b32 s5, v0
	s_cmp_eq_u32 s5, 0
	s_cbranch_scc1 .LBB7_1096
; %bb.1095:                             ;   in Loop: Header=BB7_1097 Depth=1
	s_sleep 1
	s_cbranch_execnz .LBB7_1097
	s_branch .LBB7_1099
	.p2align	6
.LBB7_1096:
	s_branch .LBB7_1099
.LBB7_1097:                             ; =>This Inner Loop Header: Depth=1
	v_mov_b32_e32 v0, 1
	s_and_saveexec_b32 s5, s4
	s_cbranch_execz .LBB7_1094
; %bb.1098:                             ;   in Loop: Header=BB7_1097 Depth=1
	global_load_dword v0, v[8:9], off offset:20 glc dlc
	s_waitcnt vmcnt(0)
	buffer_gl1_inv
	buffer_gl0_inv
	v_and_b32_e32 v0, 1, v0
	s_branch .LBB7_1094
.LBB7_1099:
	global_load_dwordx2 v[2:3], v[6:7], off
	s_and_saveexec_b32 s5, s4
	s_cbranch_execz .LBB7_1103
; %bb.1100:
	v_mov_b32_e32 v8, 0
	s_clause 0x2
	global_load_dwordx2 v[0:1], v8, s[6:7] offset:40
	global_load_dwordx2 v[9:10], v8, s[6:7] offset:24 glc dlc
	global_load_dwordx2 v[6:7], v8, s[6:7]
	s_waitcnt vmcnt(2)
	v_add_co_u32 v11, vcc_lo, v0, 1
	v_add_co_ci_u32_e32 v12, vcc_lo, 0, v1, vcc_lo
	v_add_co_u32 v4, vcc_lo, v11, s10
	v_add_co_ci_u32_e32 v5, vcc_lo, s11, v12, vcc_lo
	v_cmp_eq_u64_e32 vcc_lo, 0, v[4:5]
	v_cndmask_b32_e32 v5, v5, v12, vcc_lo
	v_cndmask_b32_e32 v4, v4, v11, vcc_lo
	v_and_b32_e32 v1, v5, v1
	v_and_b32_e32 v0, v4, v0
	v_mul_lo_u32 v1, v1, 24
	v_mul_hi_u32 v11, v0, 24
	v_mul_lo_u32 v0, v0, 24
	v_add_nc_u32_e32 v1, v11, v1
	s_waitcnt vmcnt(0)
	v_add_co_u32 v0, vcc_lo, v6, v0
	v_mov_b32_e32 v6, v9
	v_add_co_ci_u32_e32 v1, vcc_lo, v7, v1, vcc_lo
	v_mov_b32_e32 v7, v10
	global_store_dwordx2 v[0:1], v[9:10], off
	s_waitcnt_vscnt null, 0x0
	global_atomic_cmpswap_x2 v[6:7], v8, v[4:7], s[6:7] offset:24 glc
	s_waitcnt vmcnt(0)
	v_cmp_ne_u64_e32 vcc_lo, v[6:7], v[9:10]
	s_and_b32 exec_lo, exec_lo, vcc_lo
	s_cbranch_execz .LBB7_1103
; %bb.1101:
	s_mov_b32 s4, 0
.LBB7_1102:                             ; =>This Inner Loop Header: Depth=1
	s_sleep 1
	global_store_dwordx2 v[0:1], v[6:7], off
	s_waitcnt_vscnt null, 0x0
	global_atomic_cmpswap_x2 v[9:10], v8, v[4:7], s[6:7] offset:24 glc
	s_waitcnt vmcnt(0)
	v_cmp_eq_u64_e32 vcc_lo, v[9:10], v[6:7]
	v_mov_b32_e32 v6, v9
	v_mov_b32_e32 v7, v10
	s_or_b32 s4, vcc_lo, s4
	s_andn2_b32 exec_lo, exec_lo, s4
	s_cbranch_execnz .LBB7_1102
.LBB7_1103:
	s_or_b32 exec_lo, exec_lo, s5
.LBB7_1104:
	v_readfirstlane_b32 s4, v32
	s_waitcnt vmcnt(0)
	v_mov_b32_e32 v0, 0
	v_mov_b32_e32 v1, 0
	v_cmp_eq_u32_e64 s4, s4, v32
	s_and_saveexec_b32 s5, s4
	s_cbranch_execz .LBB7_1110
; %bb.1105:
	v_mov_b32_e32 v4, 0
	s_mov_b32 s10, exec_lo
	global_load_dwordx2 v[7:8], v4, s[6:7] offset:24 glc dlc
	s_waitcnt vmcnt(0)
	buffer_gl1_inv
	buffer_gl0_inv
	s_clause 0x1
	global_load_dwordx2 v[0:1], v4, s[6:7] offset:40
	global_load_dwordx2 v[5:6], v4, s[6:7]
	s_waitcnt vmcnt(1)
	v_and_b32_e32 v1, v1, v8
	v_and_b32_e32 v0, v0, v7
	v_mul_lo_u32 v1, v1, 24
	v_mul_hi_u32 v9, v0, 24
	v_mul_lo_u32 v0, v0, 24
	v_add_nc_u32_e32 v1, v9, v1
	s_waitcnt vmcnt(0)
	v_add_co_u32 v0, vcc_lo, v5, v0
	v_add_co_ci_u32_e32 v1, vcc_lo, v6, v1, vcc_lo
	global_load_dwordx2 v[5:6], v[0:1], off glc dlc
	s_waitcnt vmcnt(0)
	global_atomic_cmpswap_x2 v[0:1], v4, v[5:8], s[6:7] offset:24 glc
	s_waitcnt vmcnt(0)
	buffer_gl1_inv
	buffer_gl0_inv
	v_cmpx_ne_u64_e64 v[0:1], v[7:8]
	s_cbranch_execz .LBB7_1109
; %bb.1106:
	s_mov_b32 s11, 0
	.p2align	6
.LBB7_1107:                             ; =>This Inner Loop Header: Depth=1
	s_sleep 1
	s_clause 0x1
	global_load_dwordx2 v[5:6], v4, s[6:7] offset:40
	global_load_dwordx2 v[9:10], v4, s[6:7]
	v_mov_b32_e32 v8, v1
	v_mov_b32_e32 v7, v0
	s_waitcnt vmcnt(1)
	v_and_b32_e32 v0, v5, v7
	v_and_b32_e32 v5, v6, v8
	s_waitcnt vmcnt(0)
	v_mad_u64_u32 v[0:1], null, v0, 24, v[9:10]
	v_mad_u64_u32 v[5:6], null, v5, 24, v[1:2]
	v_mov_b32_e32 v1, v5
	global_load_dwordx2 v[5:6], v[0:1], off glc dlc
	s_waitcnt vmcnt(0)
	global_atomic_cmpswap_x2 v[0:1], v4, v[5:8], s[6:7] offset:24 glc
	s_waitcnt vmcnt(0)
	buffer_gl1_inv
	buffer_gl0_inv
	v_cmp_eq_u64_e32 vcc_lo, v[0:1], v[7:8]
	s_or_b32 s11, vcc_lo, s11
	s_andn2_b32 exec_lo, exec_lo, s11
	s_cbranch_execnz .LBB7_1107
; %bb.1108:
	s_or_b32 exec_lo, exec_lo, s11
.LBB7_1109:
	s_or_b32 exec_lo, exec_lo, s10
.LBB7_1110:
	s_or_b32 exec_lo, exec_lo, s5
	v_mov_b32_e32 v5, 0
	v_readfirstlane_b32 s10, v0
	v_readfirstlane_b32 s11, v1
	s_mov_b32 s5, exec_lo
	s_clause 0x1
	global_load_dwordx2 v[10:11], v5, s[6:7] offset:40
	global_load_dwordx4 v[6:9], v5, s[6:7]
	s_waitcnt vmcnt(1)
	v_readfirstlane_b32 s16, v10
	v_readfirstlane_b32 s17, v11
	s_and_b64 s[16:17], s[10:11], s[16:17]
	s_mul_i32 s18, s17, 24
	s_mul_hi_u32 s19, s16, 24
	s_mul_i32 s20, s16, 24
	s_add_i32 s19, s19, s18
	s_waitcnt vmcnt(0)
	v_add_co_u32 v10, vcc_lo, v6, s20
	v_add_co_ci_u32_e32 v11, vcc_lo, s19, v7, vcc_lo
	s_and_saveexec_b32 s18, s4
	s_cbranch_execz .LBB7_1112
; %bb.1111:
	v_mov_b32_e32 v4, s5
	v_mov_b32_e32 v13, v5
	;; [unrolled: 1-line block ×5, first 2 shown]
	global_store_dwordx4 v[10:11], v[12:15], off offset:8
.LBB7_1112:
	s_or_b32 exec_lo, exec_lo, s18
	s_lshl_b64 s[16:17], s[16:17], 12
	v_and_or_b32 v2, 0xffffff1d, v2, 34
	v_add_co_u32 v0, vcc_lo, v8, s16
	v_add_co_ci_u32_e32 v1, vcc_lo, s17, v9, vcc_lo
	s_mov_b32 s16, 0
	v_mov_b32_e32 v4, 58
	s_mov_b32 s17, s16
	s_mov_b32 s18, s16
	;; [unrolled: 1-line block ×3, first 2 shown]
	v_readfirstlane_b32 s20, v0
	v_readfirstlane_b32 s21, v1
	v_mov_b32_e32 v12, s16
	v_mov_b32_e32 v13, s17
	;; [unrolled: 1-line block ×4, first 2 shown]
	global_store_dwordx4 v31, v[2:5], s[20:21]
	global_store_dwordx4 v31, v[12:15], s[20:21] offset:16
	global_store_dwordx4 v31, v[12:15], s[20:21] offset:32
	;; [unrolled: 1-line block ×3, first 2 shown]
	s_and_saveexec_b32 s5, s4
	s_cbranch_execz .LBB7_1120
; %bb.1113:
	v_mov_b32_e32 v8, 0
	v_mov_b32_e32 v12, s10
	;; [unrolled: 1-line block ×3, first 2 shown]
	s_clause 0x1
	global_load_dwordx2 v[14:15], v8, s[6:7] offset:32 glc dlc
	global_load_dwordx2 v[0:1], v8, s[6:7] offset:40
	s_waitcnt vmcnt(0)
	v_readfirstlane_b32 s16, v0
	v_readfirstlane_b32 s17, v1
	s_and_b64 s[16:17], s[16:17], s[10:11]
	s_mul_i32 s17, s17, 24
	s_mul_hi_u32 s18, s16, 24
	s_mul_i32 s16, s16, 24
	s_add_i32 s18, s18, s17
	v_add_co_u32 v4, vcc_lo, v6, s16
	v_add_co_ci_u32_e32 v5, vcc_lo, s18, v7, vcc_lo
	s_mov_b32 s16, exec_lo
	global_store_dwordx2 v[4:5], v[14:15], off
	s_waitcnt_vscnt null, 0x0
	global_atomic_cmpswap_x2 v[2:3], v8, v[12:15], s[6:7] offset:32 glc
	s_waitcnt vmcnt(0)
	v_cmpx_ne_u64_e64 v[2:3], v[14:15]
	s_cbranch_execz .LBB7_1116
; %bb.1114:
	s_mov_b32 s17, 0
.LBB7_1115:                             ; =>This Inner Loop Header: Depth=1
	v_mov_b32_e32 v0, s10
	v_mov_b32_e32 v1, s11
	s_sleep 1
	global_store_dwordx2 v[4:5], v[2:3], off
	s_waitcnt_vscnt null, 0x0
	global_atomic_cmpswap_x2 v[0:1], v8, v[0:3], s[6:7] offset:32 glc
	s_waitcnt vmcnt(0)
	v_cmp_eq_u64_e32 vcc_lo, v[0:1], v[2:3]
	v_mov_b32_e32 v3, v1
	v_mov_b32_e32 v2, v0
	s_or_b32 s17, vcc_lo, s17
	s_andn2_b32 exec_lo, exec_lo, s17
	s_cbranch_execnz .LBB7_1115
.LBB7_1116:
	s_or_b32 exec_lo, exec_lo, s16
	v_mov_b32_e32 v3, 0
	s_mov_b32 s17, exec_lo
	s_mov_b32 s16, exec_lo
	v_mbcnt_lo_u32_b32 v2, s17, 0
	global_load_dwordx2 v[0:1], v3, s[6:7] offset:16
	v_cmpx_eq_u32_e32 0, v2
	s_cbranch_execz .LBB7_1118
; %bb.1117:
	s_bcnt1_i32_b32 s17, s17
	v_mov_b32_e32 v2, s17
	s_waitcnt vmcnt(0)
	global_atomic_add_x2 v[0:1], v[2:3], off offset:8
.LBB7_1118:
	s_or_b32 exec_lo, exec_lo, s16
	s_waitcnt vmcnt(0)
	global_load_dwordx2 v[2:3], v[0:1], off offset:16
	s_waitcnt vmcnt(0)
	v_cmp_eq_u64_e32 vcc_lo, 0, v[2:3]
	s_cbranch_vccnz .LBB7_1120
; %bb.1119:
	global_load_dword v0, v[0:1], off offset:24
	v_mov_b32_e32 v1, 0
	s_waitcnt vmcnt(0)
	v_and_b32_e32 v4, 0x7fffff, v0
	s_waitcnt_vscnt null, 0x0
	global_store_dwordx2 v[2:3], v[0:1], off
	v_readfirstlane_b32 m0, v4
	s_sendmsg sendmsg(MSG_INTERRUPT)
.LBB7_1120:
	s_or_b32 exec_lo, exec_lo, s5
	s_branch .LBB7_1124
	.p2align	6
.LBB7_1121:                             ;   in Loop: Header=BB7_1124 Depth=1
	s_or_b32 exec_lo, exec_lo, s5
	v_readfirstlane_b32 s5, v0
	s_cmp_eq_u32 s5, 0
	s_cbranch_scc1 .LBB7_1123
; %bb.1122:                             ;   in Loop: Header=BB7_1124 Depth=1
	s_sleep 1
	s_cbranch_execnz .LBB7_1124
	s_branch .LBB7_1126
	.p2align	6
.LBB7_1123:
	s_branch .LBB7_1126
.LBB7_1124:                             ; =>This Inner Loop Header: Depth=1
	v_mov_b32_e32 v0, 1
	s_and_saveexec_b32 s5, s4
	s_cbranch_execz .LBB7_1121
; %bb.1125:                             ;   in Loop: Header=BB7_1124 Depth=1
	global_load_dword v0, v[10:11], off offset:20 glc dlc
	s_waitcnt vmcnt(0)
	buffer_gl1_inv
	buffer_gl0_inv
	v_and_b32_e32 v0, 1, v0
	s_branch .LBB7_1121
.LBB7_1126:
	s_and_saveexec_b32 s5, s4
	s_cbranch_execz .LBB7_1130
; %bb.1127:
	v_mov_b32_e32 v6, 0
	s_clause 0x2
	global_load_dwordx2 v[2:3], v6, s[6:7] offset:40
	global_load_dwordx2 v[7:8], v6, s[6:7] offset:24 glc dlc
	global_load_dwordx2 v[4:5], v6, s[6:7]
	s_waitcnt vmcnt(2)
	v_add_co_u32 v9, vcc_lo, v2, 1
	v_add_co_ci_u32_e32 v10, vcc_lo, 0, v3, vcc_lo
	v_add_co_u32 v0, vcc_lo, v9, s10
	v_add_co_ci_u32_e32 v1, vcc_lo, s11, v10, vcc_lo
	v_cmp_eq_u64_e32 vcc_lo, 0, v[0:1]
	v_cndmask_b32_e32 v1, v1, v10, vcc_lo
	v_cndmask_b32_e32 v0, v0, v9, vcc_lo
	v_and_b32_e32 v3, v1, v3
	v_and_b32_e32 v2, v0, v2
	v_mul_lo_u32 v3, v3, 24
	v_mul_hi_u32 v9, v2, 24
	v_mul_lo_u32 v2, v2, 24
	v_add_nc_u32_e32 v3, v9, v3
	s_waitcnt vmcnt(0)
	v_add_co_u32 v4, vcc_lo, v4, v2
	v_mov_b32_e32 v2, v7
	v_add_co_ci_u32_e32 v5, vcc_lo, v5, v3, vcc_lo
	v_mov_b32_e32 v3, v8
	global_store_dwordx2 v[4:5], v[7:8], off
	s_waitcnt_vscnt null, 0x0
	global_atomic_cmpswap_x2 v[2:3], v6, v[0:3], s[6:7] offset:24 glc
	s_waitcnt vmcnt(0)
	v_cmp_ne_u64_e32 vcc_lo, v[2:3], v[7:8]
	s_and_b32 exec_lo, exec_lo, vcc_lo
	s_cbranch_execz .LBB7_1130
; %bb.1128:
	s_mov_b32 s4, 0
.LBB7_1129:                             ; =>This Inner Loop Header: Depth=1
	s_sleep 1
	global_store_dwordx2 v[4:5], v[2:3], off
	s_waitcnt_vscnt null, 0x0
	global_atomic_cmpswap_x2 v[7:8], v6, v[0:3], s[6:7] offset:24 glc
	s_waitcnt vmcnt(0)
	v_cmp_eq_u64_e32 vcc_lo, v[7:8], v[2:3]
	v_mov_b32_e32 v2, v7
	v_mov_b32_e32 v3, v8
	s_or_b32 s4, vcc_lo, s4
	s_andn2_b32 exec_lo, exec_lo, s4
	s_cbranch_execnz .LBB7_1129
.LBB7_1130:
	s_or_b32 exec_lo, exec_lo, s5
	v_readfirstlane_b32 s4, v32
	v_mov_b32_e32 v6, 0
	v_mov_b32_e32 v7, 0
	v_cmp_eq_u32_e64 s4, s4, v32
	s_and_saveexec_b32 s5, s4
	s_cbranch_execz .LBB7_1136
; %bb.1131:
	v_mov_b32_e32 v0, 0
	s_mov_b32 s10, exec_lo
	global_load_dwordx2 v[3:4], v0, s[6:7] offset:24 glc dlc
	s_waitcnt vmcnt(0)
	buffer_gl1_inv
	buffer_gl0_inv
	s_clause 0x1
	global_load_dwordx2 v[1:2], v0, s[6:7] offset:40
	global_load_dwordx2 v[5:6], v0, s[6:7]
	s_waitcnt vmcnt(1)
	v_and_b32_e32 v2, v2, v4
	v_and_b32_e32 v1, v1, v3
	v_mul_lo_u32 v2, v2, 24
	v_mul_hi_u32 v7, v1, 24
	v_mul_lo_u32 v1, v1, 24
	v_add_nc_u32_e32 v2, v7, v2
	s_waitcnt vmcnt(0)
	v_add_co_u32 v1, vcc_lo, v5, v1
	v_add_co_ci_u32_e32 v2, vcc_lo, v6, v2, vcc_lo
	global_load_dwordx2 v[1:2], v[1:2], off glc dlc
	s_waitcnt vmcnt(0)
	global_atomic_cmpswap_x2 v[6:7], v0, v[1:4], s[6:7] offset:24 glc
	s_waitcnt vmcnt(0)
	buffer_gl1_inv
	buffer_gl0_inv
	v_cmpx_ne_u64_e64 v[6:7], v[3:4]
	s_cbranch_execz .LBB7_1135
; %bb.1132:
	s_mov_b32 s11, 0
	.p2align	6
.LBB7_1133:                             ; =>This Inner Loop Header: Depth=1
	s_sleep 1
	s_clause 0x1
	global_load_dwordx2 v[1:2], v0, s[6:7] offset:40
	global_load_dwordx2 v[8:9], v0, s[6:7]
	v_mov_b32_e32 v3, v6
	v_mov_b32_e32 v4, v7
	s_waitcnt vmcnt(1)
	v_and_b32_e32 v1, v1, v3
	v_and_b32_e32 v2, v2, v4
	s_waitcnt vmcnt(0)
	v_mad_u64_u32 v[5:6], null, v1, 24, v[8:9]
	v_mov_b32_e32 v1, v6
	v_mad_u64_u32 v[1:2], null, v2, 24, v[1:2]
	v_mov_b32_e32 v6, v1
	global_load_dwordx2 v[1:2], v[5:6], off glc dlc
	s_waitcnt vmcnt(0)
	global_atomic_cmpswap_x2 v[6:7], v0, v[1:4], s[6:7] offset:24 glc
	s_waitcnt vmcnt(0)
	buffer_gl1_inv
	buffer_gl0_inv
	v_cmp_eq_u64_e32 vcc_lo, v[6:7], v[3:4]
	s_or_b32 s11, vcc_lo, s11
	s_andn2_b32 exec_lo, exec_lo, s11
	s_cbranch_execnz .LBB7_1133
; %bb.1134:
	s_or_b32 exec_lo, exec_lo, s11
.LBB7_1135:
	s_or_b32 exec_lo, exec_lo, s10
.LBB7_1136:
	s_or_b32 exec_lo, exec_lo, s5
	v_mov_b32_e32 v5, 0
	v_readfirstlane_b32 s10, v6
	v_readfirstlane_b32 s11, v7
	s_mov_b32 s5, exec_lo
	s_clause 0x1
	global_load_dwordx2 v[8:9], v5, s[6:7] offset:40
	global_load_dwordx4 v[0:3], v5, s[6:7]
	s_waitcnt vmcnt(1)
	v_readfirstlane_b32 s16, v8
	v_readfirstlane_b32 s17, v9
	s_and_b64 s[16:17], s[10:11], s[16:17]
	s_mul_i32 s18, s17, 24
	s_mul_hi_u32 s19, s16, 24
	s_mul_i32 s20, s16, 24
	s_add_i32 s19, s19, s18
	s_waitcnt vmcnt(0)
	v_add_co_u32 v8, vcc_lo, v0, s20
	v_add_co_ci_u32_e32 v9, vcc_lo, s19, v1, vcc_lo
	s_and_saveexec_b32 s18, s4
	s_cbranch_execz .LBB7_1138
; %bb.1137:
	v_mov_b32_e32 v4, s5
	v_mov_b32_e32 v6, 2
	;; [unrolled: 1-line block ×3, first 2 shown]
	global_store_dwordx4 v[8:9], v[4:7], off offset:8
.LBB7_1138:
	s_or_b32 exec_lo, exec_lo, s18
	s_lshl_b64 s[16:17], s[16:17], 12
	v_mov_b32_e32 v4, 33
	v_add_co_u32 v2, vcc_lo, v2, s16
	v_add_co_ci_u32_e32 v3, vcc_lo, s17, v3, vcc_lo
	s_mov_b32 s16, 0
	v_add_co_u32 v10, vcc_lo, v2, v31
	s_mov_b32 s17, s16
	s_mov_b32 s18, s16
	;; [unrolled: 1-line block ×3, first 2 shown]
	v_mov_b32_e32 v6, v5
	v_mov_b32_e32 v7, v5
	v_readfirstlane_b32 s20, v2
	v_readfirstlane_b32 s21, v3
	v_mov_b32_e32 v12, s16
	v_add_co_ci_u32_e32 v11, vcc_lo, 0, v3, vcc_lo
	v_mov_b32_e32 v13, s17
	v_mov_b32_e32 v14, s18
	;; [unrolled: 1-line block ×3, first 2 shown]
	global_store_dwordx4 v31, v[4:7], s[20:21]
	global_store_dwordx4 v31, v[12:15], s[20:21] offset:16
	global_store_dwordx4 v31, v[12:15], s[20:21] offset:32
	global_store_dwordx4 v31, v[12:15], s[20:21] offset:48
	s_and_saveexec_b32 s5, s4
	s_cbranch_execz .LBB7_1146
; %bb.1139:
	v_mov_b32_e32 v6, 0
	v_mov_b32_e32 v12, s10
	;; [unrolled: 1-line block ×3, first 2 shown]
	s_clause 0x1
	global_load_dwordx2 v[14:15], v6, s[6:7] offset:32 glc dlc
	global_load_dwordx2 v[2:3], v6, s[6:7] offset:40
	s_waitcnt vmcnt(0)
	v_readfirstlane_b32 s16, v2
	v_readfirstlane_b32 s17, v3
	s_and_b64 s[16:17], s[16:17], s[10:11]
	s_mul_i32 s17, s17, 24
	s_mul_hi_u32 s18, s16, 24
	s_mul_i32 s16, s16, 24
	s_add_i32 s18, s18, s17
	v_add_co_u32 v4, vcc_lo, v0, s16
	v_add_co_ci_u32_e32 v5, vcc_lo, s18, v1, vcc_lo
	s_mov_b32 s16, exec_lo
	global_store_dwordx2 v[4:5], v[14:15], off
	s_waitcnt_vscnt null, 0x0
	global_atomic_cmpswap_x2 v[2:3], v6, v[12:15], s[6:7] offset:32 glc
	s_waitcnt vmcnt(0)
	v_cmpx_ne_u64_e64 v[2:3], v[14:15]
	s_cbranch_execz .LBB7_1142
; %bb.1140:
	s_mov_b32 s17, 0
.LBB7_1141:                             ; =>This Inner Loop Header: Depth=1
	v_mov_b32_e32 v0, s10
	v_mov_b32_e32 v1, s11
	s_sleep 1
	global_store_dwordx2 v[4:5], v[2:3], off
	s_waitcnt_vscnt null, 0x0
	global_atomic_cmpswap_x2 v[0:1], v6, v[0:3], s[6:7] offset:32 glc
	s_waitcnt vmcnt(0)
	v_cmp_eq_u64_e32 vcc_lo, v[0:1], v[2:3]
	v_mov_b32_e32 v3, v1
	v_mov_b32_e32 v2, v0
	s_or_b32 s17, vcc_lo, s17
	s_andn2_b32 exec_lo, exec_lo, s17
	s_cbranch_execnz .LBB7_1141
.LBB7_1142:
	s_or_b32 exec_lo, exec_lo, s16
	v_mov_b32_e32 v3, 0
	s_mov_b32 s17, exec_lo
	s_mov_b32 s16, exec_lo
	v_mbcnt_lo_u32_b32 v2, s17, 0
	global_load_dwordx2 v[0:1], v3, s[6:7] offset:16
	v_cmpx_eq_u32_e32 0, v2
	s_cbranch_execz .LBB7_1144
; %bb.1143:
	s_bcnt1_i32_b32 s17, s17
	v_mov_b32_e32 v2, s17
	s_waitcnt vmcnt(0)
	global_atomic_add_x2 v[0:1], v[2:3], off offset:8
.LBB7_1144:
	s_or_b32 exec_lo, exec_lo, s16
	s_waitcnt vmcnt(0)
	global_load_dwordx2 v[2:3], v[0:1], off offset:16
	s_waitcnt vmcnt(0)
	v_cmp_eq_u64_e32 vcc_lo, 0, v[2:3]
	s_cbranch_vccnz .LBB7_1146
; %bb.1145:
	global_load_dword v0, v[0:1], off offset:24
	v_mov_b32_e32 v1, 0
	s_waitcnt vmcnt(0)
	v_and_b32_e32 v4, 0x7fffff, v0
	s_waitcnt_vscnt null, 0x0
	global_store_dwordx2 v[2:3], v[0:1], off
	v_readfirstlane_b32 m0, v4
	s_sendmsg sendmsg(MSG_INTERRUPT)
.LBB7_1146:
	s_or_b32 exec_lo, exec_lo, s5
	s_branch .LBB7_1150
	.p2align	6
.LBB7_1147:                             ;   in Loop: Header=BB7_1150 Depth=1
	s_or_b32 exec_lo, exec_lo, s5
	v_readfirstlane_b32 s5, v0
	s_cmp_eq_u32 s5, 0
	s_cbranch_scc1 .LBB7_1149
; %bb.1148:                             ;   in Loop: Header=BB7_1150 Depth=1
	s_sleep 1
	s_cbranch_execnz .LBB7_1150
	s_branch .LBB7_1152
	.p2align	6
.LBB7_1149:
	s_branch .LBB7_1152
.LBB7_1150:                             ; =>This Inner Loop Header: Depth=1
	v_mov_b32_e32 v0, 1
	s_and_saveexec_b32 s5, s4
	s_cbranch_execz .LBB7_1147
; %bb.1151:                             ;   in Loop: Header=BB7_1150 Depth=1
	global_load_dword v0, v[8:9], off offset:20 glc dlc
	s_waitcnt vmcnt(0)
	buffer_gl1_inv
	buffer_gl0_inv
	v_and_b32_e32 v0, 1, v0
	s_branch .LBB7_1147
.LBB7_1152:
	global_load_dwordx2 v[0:1], v[10:11], off
	s_and_saveexec_b32 s5, s4
	s_cbranch_execz .LBB7_1156
; %bb.1153:
	v_mov_b32_e32 v8, 0
	s_clause 0x2
	global_load_dwordx2 v[4:5], v8, s[6:7] offset:40
	global_load_dwordx2 v[9:10], v8, s[6:7] offset:24 glc dlc
	global_load_dwordx2 v[6:7], v8, s[6:7]
	s_waitcnt vmcnt(2)
	v_add_co_u32 v11, vcc_lo, v4, 1
	v_add_co_ci_u32_e32 v12, vcc_lo, 0, v5, vcc_lo
	v_add_co_u32 v2, vcc_lo, v11, s10
	v_add_co_ci_u32_e32 v3, vcc_lo, s11, v12, vcc_lo
	v_cmp_eq_u64_e32 vcc_lo, 0, v[2:3]
	v_cndmask_b32_e32 v3, v3, v12, vcc_lo
	v_cndmask_b32_e32 v2, v2, v11, vcc_lo
	v_and_b32_e32 v5, v3, v5
	v_and_b32_e32 v4, v2, v4
	v_mul_lo_u32 v5, v5, 24
	v_mul_hi_u32 v11, v4, 24
	v_mul_lo_u32 v4, v4, 24
	v_add_nc_u32_e32 v5, v11, v5
	s_waitcnt vmcnt(0)
	v_add_co_u32 v6, vcc_lo, v6, v4
	v_mov_b32_e32 v4, v9
	v_add_co_ci_u32_e32 v7, vcc_lo, v7, v5, vcc_lo
	v_mov_b32_e32 v5, v10
	global_store_dwordx2 v[6:7], v[9:10], off
	s_waitcnt_vscnt null, 0x0
	global_atomic_cmpswap_x2 v[4:5], v8, v[2:5], s[6:7] offset:24 glc
	s_waitcnt vmcnt(0)
	v_cmp_ne_u64_e32 vcc_lo, v[4:5], v[9:10]
	s_and_b32 exec_lo, exec_lo, vcc_lo
	s_cbranch_execz .LBB7_1156
; %bb.1154:
	s_mov_b32 s4, 0
.LBB7_1155:                             ; =>This Inner Loop Header: Depth=1
	s_sleep 1
	global_store_dwordx2 v[6:7], v[4:5], off
	s_waitcnt_vscnt null, 0x0
	global_atomic_cmpswap_x2 v[9:10], v8, v[2:5], s[6:7] offset:24 glc
	s_waitcnt vmcnt(0)
	v_cmp_eq_u64_e32 vcc_lo, v[9:10], v[4:5]
	v_mov_b32_e32 v4, v9
	v_mov_b32_e32 v5, v10
	s_or_b32 s4, vcc_lo, s4
	s_andn2_b32 exec_lo, exec_lo, s4
	s_cbranch_execnz .LBB7_1155
.LBB7_1156:
	s_or_b32 exec_lo, exec_lo, s5
	s_and_b32 vcc_lo, exec_lo, s24
	s_cbranch_vccz .LBB7_1235
; %bb.1157:
	s_waitcnt vmcnt(0)
	v_and_b32_e32 v33, 2, v0
	v_mov_b32_e32 v6, 0
	v_and_b32_e32 v2, -3, v0
	v_mov_b32_e32 v3, v1
	v_mov_b32_e32 v7, 2
	;; [unrolled: 1-line block ×3, first 2 shown]
	s_mov_b64 s[16:17], 3
	s_getpc_b64 s[10:11]
	s_add_u32 s10, s10, .str.6@rel32@lo+4
	s_addc_u32 s11, s11, .str.6@rel32@hi+12
	s_branch .LBB7_1159
.LBB7_1158:                             ;   in Loop: Header=BB7_1159 Depth=1
	s_or_b32 exec_lo, exec_lo, s5
	s_sub_u32 s16, s16, s18
	s_subb_u32 s17, s17, s19
	s_add_u32 s10, s10, s18
	s_addc_u32 s11, s11, s19
	s_cmp_lg_u64 s[16:17], 0
	s_cbranch_scc0 .LBB7_1234
.LBB7_1159:                             ; =>This Loop Header: Depth=1
                                        ;     Child Loop BB7_1168 Depth 2
                                        ;     Child Loop BB7_1164 Depth 2
	;; [unrolled: 1-line block ×11, first 2 shown]
	v_cmp_lt_u64_e64 s4, s[16:17], 56
	v_cmp_gt_u64_e64 s5, s[16:17], 7
                                        ; implicit-def: $vgpr11_vgpr12
                                        ; implicit-def: $sgpr24
	s_and_b32 s4, s4, exec_lo
	s_cselect_b32 s19, s17, 0
	s_cselect_b32 s18, s16, 56
	s_and_b32 vcc_lo, exec_lo, s5
	s_mov_b32 s4, -1
	s_cbranch_vccz .LBB7_1166
; %bb.1160:                             ;   in Loop: Header=BB7_1159 Depth=1
	s_andn2_b32 vcc_lo, exec_lo, s4
	s_mov_b64 s[4:5], s[10:11]
	s_cbranch_vccz .LBB7_1170
.LBB7_1161:                             ;   in Loop: Header=BB7_1159 Depth=1
	s_cmp_gt_u32 s24, 7
	s_cbranch_scc1 .LBB7_1171
.LBB7_1162:                             ;   in Loop: Header=BB7_1159 Depth=1
	v_mov_b32_e32 v13, 0
	v_mov_b32_e32 v14, 0
	s_cmp_eq_u32 s24, 0
	s_cbranch_scc1 .LBB7_1165
; %bb.1163:                             ;   in Loop: Header=BB7_1159 Depth=1
	s_mov_b64 s[20:21], 0
	s_mov_b64 s[22:23], 0
.LBB7_1164:                             ;   Parent Loop BB7_1159 Depth=1
                                        ; =>  This Inner Loop Header: Depth=2
	s_add_u32 s26, s4, s22
	s_addc_u32 s27, s5, s23
	s_add_u32 s22, s22, 1
	global_load_ubyte v4, v6, s[26:27]
	s_addc_u32 s23, s23, 0
	s_waitcnt vmcnt(0)
	v_and_b32_e32 v5, 0xffff, v4
	v_lshlrev_b64 v[4:5], s20, v[5:6]
	s_add_u32 s20, s20, 8
	s_addc_u32 s21, s21, 0
	s_cmp_lg_u32 s24, s22
	v_or_b32_e32 v13, v4, v13
	v_or_b32_e32 v14, v5, v14
	s_cbranch_scc1 .LBB7_1164
.LBB7_1165:                             ;   in Loop: Header=BB7_1159 Depth=1
	s_mov_b32 s25, 0
	s_cbranch_execz .LBB7_1172
	s_branch .LBB7_1173
.LBB7_1166:                             ;   in Loop: Header=BB7_1159 Depth=1
	v_mov_b32_e32 v11, 0
	v_mov_b32_e32 v12, 0
	s_cmp_eq_u64 s[16:17], 0
	s_mov_b64 s[4:5], 0
	s_cbranch_scc1 .LBB7_1169
; %bb.1167:                             ;   in Loop: Header=BB7_1159 Depth=1
	v_mov_b32_e32 v11, 0
	v_mov_b32_e32 v12, 0
	s_lshl_b64 s[20:21], s[18:19], 3
	s_mov_b64 s[22:23], s[10:11]
.LBB7_1168:                             ;   Parent Loop BB7_1159 Depth=1
                                        ; =>  This Inner Loop Header: Depth=2
	global_load_ubyte v4, v6, s[22:23]
	s_waitcnt vmcnt(0)
	v_and_b32_e32 v5, 0xffff, v4
	v_lshlrev_b64 v[4:5], s4, v[5:6]
	s_add_u32 s4, s4, 8
	s_addc_u32 s5, s5, 0
	s_add_u32 s22, s22, 1
	s_addc_u32 s23, s23, 0
	s_cmp_lg_u32 s20, s4
	v_or_b32_e32 v11, v4, v11
	v_or_b32_e32 v12, v5, v12
	s_cbranch_scc1 .LBB7_1168
.LBB7_1169:                             ;   in Loop: Header=BB7_1159 Depth=1
	s_mov_b32 s24, 0
	s_mov_b64 s[4:5], s[10:11]
	s_cbranch_execnz .LBB7_1161
.LBB7_1170:                             ;   in Loop: Header=BB7_1159 Depth=1
	global_load_dwordx2 v[11:12], v6, s[10:11]
	s_add_i32 s24, s18, -8
	s_add_u32 s4, s10, 8
	s_addc_u32 s5, s11, 0
	s_cmp_gt_u32 s24, 7
	s_cbranch_scc0 .LBB7_1162
.LBB7_1171:                             ;   in Loop: Header=BB7_1159 Depth=1
                                        ; implicit-def: $vgpr13_vgpr14
                                        ; implicit-def: $sgpr25
.LBB7_1172:                             ;   in Loop: Header=BB7_1159 Depth=1
	global_load_dwordx2 v[13:14], v6, s[4:5]
	s_add_i32 s25, s24, -8
	s_add_u32 s4, s4, 8
	s_addc_u32 s5, s5, 0
.LBB7_1173:                             ;   in Loop: Header=BB7_1159 Depth=1
	s_cmp_gt_u32 s25, 7
	s_cbranch_scc1 .LBB7_1178
; %bb.1174:                             ;   in Loop: Header=BB7_1159 Depth=1
	v_mov_b32_e32 v15, 0
	v_mov_b32_e32 v16, 0
	s_cmp_eq_u32 s25, 0
	s_cbranch_scc1 .LBB7_1177
; %bb.1175:                             ;   in Loop: Header=BB7_1159 Depth=1
	s_mov_b64 s[20:21], 0
	s_mov_b64 s[22:23], 0
.LBB7_1176:                             ;   Parent Loop BB7_1159 Depth=1
                                        ; =>  This Inner Loop Header: Depth=2
	s_add_u32 s26, s4, s22
	s_addc_u32 s27, s5, s23
	s_add_u32 s22, s22, 1
	global_load_ubyte v4, v6, s[26:27]
	s_addc_u32 s23, s23, 0
	s_waitcnt vmcnt(0)
	v_and_b32_e32 v5, 0xffff, v4
	v_lshlrev_b64 v[4:5], s20, v[5:6]
	s_add_u32 s20, s20, 8
	s_addc_u32 s21, s21, 0
	s_cmp_lg_u32 s25, s22
	v_or_b32_e32 v15, v4, v15
	v_or_b32_e32 v16, v5, v16
	s_cbranch_scc1 .LBB7_1176
.LBB7_1177:                             ;   in Loop: Header=BB7_1159 Depth=1
	s_mov_b32 s24, 0
	s_cbranch_execz .LBB7_1179
	s_branch .LBB7_1180
.LBB7_1178:                             ;   in Loop: Header=BB7_1159 Depth=1
                                        ; implicit-def: $sgpr24
.LBB7_1179:                             ;   in Loop: Header=BB7_1159 Depth=1
	global_load_dwordx2 v[15:16], v6, s[4:5]
	s_add_i32 s24, s25, -8
	s_add_u32 s4, s4, 8
	s_addc_u32 s5, s5, 0
.LBB7_1180:                             ;   in Loop: Header=BB7_1159 Depth=1
	s_cmp_gt_u32 s24, 7
	s_cbranch_scc1 .LBB7_1185
; %bb.1181:                             ;   in Loop: Header=BB7_1159 Depth=1
	v_mov_b32_e32 v17, 0
	v_mov_b32_e32 v18, 0
	s_cmp_eq_u32 s24, 0
	s_cbranch_scc1 .LBB7_1184
; %bb.1182:                             ;   in Loop: Header=BB7_1159 Depth=1
	s_mov_b64 s[20:21], 0
	s_mov_b64 s[22:23], 0
.LBB7_1183:                             ;   Parent Loop BB7_1159 Depth=1
                                        ; =>  This Inner Loop Header: Depth=2
	s_add_u32 s26, s4, s22
	s_addc_u32 s27, s5, s23
	s_add_u32 s22, s22, 1
	global_load_ubyte v4, v6, s[26:27]
	s_addc_u32 s23, s23, 0
	s_waitcnt vmcnt(0)
	v_and_b32_e32 v5, 0xffff, v4
	v_lshlrev_b64 v[4:5], s20, v[5:6]
	s_add_u32 s20, s20, 8
	s_addc_u32 s21, s21, 0
	s_cmp_lg_u32 s24, s22
	v_or_b32_e32 v17, v4, v17
	v_or_b32_e32 v18, v5, v18
	s_cbranch_scc1 .LBB7_1183
.LBB7_1184:                             ;   in Loop: Header=BB7_1159 Depth=1
	s_mov_b32 s25, 0
	s_cbranch_execz .LBB7_1186
	s_branch .LBB7_1187
.LBB7_1185:                             ;   in Loop: Header=BB7_1159 Depth=1
                                        ; implicit-def: $vgpr17_vgpr18
                                        ; implicit-def: $sgpr25
.LBB7_1186:                             ;   in Loop: Header=BB7_1159 Depth=1
	global_load_dwordx2 v[17:18], v6, s[4:5]
	s_add_i32 s25, s24, -8
	s_add_u32 s4, s4, 8
	s_addc_u32 s5, s5, 0
.LBB7_1187:                             ;   in Loop: Header=BB7_1159 Depth=1
	s_cmp_gt_u32 s25, 7
	s_cbranch_scc1 .LBB7_1192
; %bb.1188:                             ;   in Loop: Header=BB7_1159 Depth=1
	v_mov_b32_e32 v19, 0
	v_mov_b32_e32 v20, 0
	s_cmp_eq_u32 s25, 0
	s_cbranch_scc1 .LBB7_1191
; %bb.1189:                             ;   in Loop: Header=BB7_1159 Depth=1
	s_mov_b64 s[20:21], 0
	s_mov_b64 s[22:23], 0
.LBB7_1190:                             ;   Parent Loop BB7_1159 Depth=1
                                        ; =>  This Inner Loop Header: Depth=2
	s_add_u32 s26, s4, s22
	s_addc_u32 s27, s5, s23
	s_add_u32 s22, s22, 1
	global_load_ubyte v4, v6, s[26:27]
	s_addc_u32 s23, s23, 0
	s_waitcnt vmcnt(0)
	v_and_b32_e32 v5, 0xffff, v4
	v_lshlrev_b64 v[4:5], s20, v[5:6]
	s_add_u32 s20, s20, 8
	s_addc_u32 s21, s21, 0
	s_cmp_lg_u32 s25, s22
	v_or_b32_e32 v19, v4, v19
	v_or_b32_e32 v20, v5, v20
	s_cbranch_scc1 .LBB7_1190
.LBB7_1191:                             ;   in Loop: Header=BB7_1159 Depth=1
	s_mov_b32 s24, 0
	s_cbranch_execz .LBB7_1193
	s_branch .LBB7_1194
.LBB7_1192:                             ;   in Loop: Header=BB7_1159 Depth=1
                                        ; implicit-def: $sgpr24
.LBB7_1193:                             ;   in Loop: Header=BB7_1159 Depth=1
	global_load_dwordx2 v[19:20], v6, s[4:5]
	s_add_i32 s24, s25, -8
	s_add_u32 s4, s4, 8
	s_addc_u32 s5, s5, 0
.LBB7_1194:                             ;   in Loop: Header=BB7_1159 Depth=1
	s_cmp_gt_u32 s24, 7
	s_cbranch_scc1 .LBB7_1199
; %bb.1195:                             ;   in Loop: Header=BB7_1159 Depth=1
	v_mov_b32_e32 v21, 0
	v_mov_b32_e32 v22, 0
	s_cmp_eq_u32 s24, 0
	s_cbranch_scc1 .LBB7_1198
; %bb.1196:                             ;   in Loop: Header=BB7_1159 Depth=1
	s_mov_b64 s[20:21], 0
	s_mov_b64 s[22:23], 0
.LBB7_1197:                             ;   Parent Loop BB7_1159 Depth=1
                                        ; =>  This Inner Loop Header: Depth=2
	s_add_u32 s26, s4, s22
	s_addc_u32 s27, s5, s23
	s_add_u32 s22, s22, 1
	global_load_ubyte v4, v6, s[26:27]
	s_addc_u32 s23, s23, 0
	s_waitcnt vmcnt(0)
	v_and_b32_e32 v5, 0xffff, v4
	v_lshlrev_b64 v[4:5], s20, v[5:6]
	s_add_u32 s20, s20, 8
	s_addc_u32 s21, s21, 0
	s_cmp_lg_u32 s24, s22
	v_or_b32_e32 v21, v4, v21
	v_or_b32_e32 v22, v5, v22
	s_cbranch_scc1 .LBB7_1197
.LBB7_1198:                             ;   in Loop: Header=BB7_1159 Depth=1
	s_mov_b32 s25, 0
	s_cbranch_execz .LBB7_1200
	s_branch .LBB7_1201
.LBB7_1199:                             ;   in Loop: Header=BB7_1159 Depth=1
                                        ; implicit-def: $vgpr21_vgpr22
                                        ; implicit-def: $sgpr25
.LBB7_1200:                             ;   in Loop: Header=BB7_1159 Depth=1
	global_load_dwordx2 v[21:22], v6, s[4:5]
	s_add_i32 s25, s24, -8
	s_add_u32 s4, s4, 8
	s_addc_u32 s5, s5, 0
.LBB7_1201:                             ;   in Loop: Header=BB7_1159 Depth=1
	s_cmp_gt_u32 s25, 7
	s_cbranch_scc1 .LBB7_1206
; %bb.1202:                             ;   in Loop: Header=BB7_1159 Depth=1
	v_mov_b32_e32 v23, 0
	v_mov_b32_e32 v24, 0
	s_cmp_eq_u32 s25, 0
	s_cbranch_scc1 .LBB7_1205
; %bb.1203:                             ;   in Loop: Header=BB7_1159 Depth=1
	s_mov_b64 s[20:21], 0
	s_mov_b64 s[22:23], s[4:5]
.LBB7_1204:                             ;   Parent Loop BB7_1159 Depth=1
                                        ; =>  This Inner Loop Header: Depth=2
	global_load_ubyte v4, v6, s[22:23]
	s_add_i32 s25, s25, -1
	s_waitcnt vmcnt(0)
	v_and_b32_e32 v5, 0xffff, v4
	v_lshlrev_b64 v[4:5], s20, v[5:6]
	s_add_u32 s20, s20, 8
	s_addc_u32 s21, s21, 0
	s_add_u32 s22, s22, 1
	s_addc_u32 s23, s23, 0
	s_cmp_lg_u32 s25, 0
	v_or_b32_e32 v23, v4, v23
	v_or_b32_e32 v24, v5, v24
	s_cbranch_scc1 .LBB7_1204
.LBB7_1205:                             ;   in Loop: Header=BB7_1159 Depth=1
	s_cbranch_execz .LBB7_1207
	s_branch .LBB7_1208
.LBB7_1206:                             ;   in Loop: Header=BB7_1159 Depth=1
.LBB7_1207:                             ;   in Loop: Header=BB7_1159 Depth=1
	global_load_dwordx2 v[23:24], v6, s[4:5]
.LBB7_1208:                             ;   in Loop: Header=BB7_1159 Depth=1
	v_readfirstlane_b32 s4, v32
	s_waitcnt vmcnt(0)
	v_mov_b32_e32 v4, 0
	v_mov_b32_e32 v5, 0
	v_cmp_eq_u32_e64 s4, s4, v32
	s_and_saveexec_b32 s5, s4
	s_cbranch_execz .LBB7_1214
; %bb.1209:                             ;   in Loop: Header=BB7_1159 Depth=1
	global_load_dwordx2 v[27:28], v6, s[6:7] offset:24 glc dlc
	s_waitcnt vmcnt(0)
	buffer_gl1_inv
	buffer_gl0_inv
	s_clause 0x1
	global_load_dwordx2 v[4:5], v6, s[6:7] offset:40
	global_load_dwordx2 v[9:10], v6, s[6:7]
	s_mov_b32 s20, exec_lo
	s_waitcnt vmcnt(1)
	v_and_b32_e32 v5, v5, v28
	v_and_b32_e32 v4, v4, v27
	v_mul_lo_u32 v5, v5, 24
	v_mul_hi_u32 v25, v4, 24
	v_mul_lo_u32 v4, v4, 24
	v_add_nc_u32_e32 v5, v25, v5
	s_waitcnt vmcnt(0)
	v_add_co_u32 v4, vcc_lo, v9, v4
	v_add_co_ci_u32_e32 v5, vcc_lo, v10, v5, vcc_lo
	global_load_dwordx2 v[25:26], v[4:5], off glc dlc
	s_waitcnt vmcnt(0)
	global_atomic_cmpswap_x2 v[4:5], v6, v[25:28], s[6:7] offset:24 glc
	s_waitcnt vmcnt(0)
	buffer_gl1_inv
	buffer_gl0_inv
	v_cmpx_ne_u64_e64 v[4:5], v[27:28]
	s_cbranch_execz .LBB7_1213
; %bb.1210:                             ;   in Loop: Header=BB7_1159 Depth=1
	s_mov_b32 s21, 0
	.p2align	6
.LBB7_1211:                             ;   Parent Loop BB7_1159 Depth=1
                                        ; =>  This Inner Loop Header: Depth=2
	s_sleep 1
	s_clause 0x1
	global_load_dwordx2 v[9:10], v6, s[6:7] offset:40
	global_load_dwordx2 v[25:26], v6, s[6:7]
	v_mov_b32_e32 v28, v5
	v_mov_b32_e32 v27, v4
	s_waitcnt vmcnt(1)
	v_and_b32_e32 v4, v9, v27
	v_and_b32_e32 v9, v10, v28
	s_waitcnt vmcnt(0)
	v_mad_u64_u32 v[4:5], null, v4, 24, v[25:26]
	v_mad_u64_u32 v[9:10], null, v9, 24, v[5:6]
	v_mov_b32_e32 v5, v9
	global_load_dwordx2 v[25:26], v[4:5], off glc dlc
	s_waitcnt vmcnt(0)
	global_atomic_cmpswap_x2 v[4:5], v6, v[25:28], s[6:7] offset:24 glc
	s_waitcnt vmcnt(0)
	buffer_gl1_inv
	buffer_gl0_inv
	v_cmp_eq_u64_e32 vcc_lo, v[4:5], v[27:28]
	s_or_b32 s21, vcc_lo, s21
	s_andn2_b32 exec_lo, exec_lo, s21
	s_cbranch_execnz .LBB7_1211
; %bb.1212:                             ;   in Loop: Header=BB7_1159 Depth=1
	s_or_b32 exec_lo, exec_lo, s21
.LBB7_1213:                             ;   in Loop: Header=BB7_1159 Depth=1
	s_or_b32 exec_lo, exec_lo, s20
.LBB7_1214:                             ;   in Loop: Header=BB7_1159 Depth=1
	s_or_b32 exec_lo, exec_lo, s5
	s_clause 0x1
	global_load_dwordx2 v[9:10], v6, s[6:7] offset:40
	global_load_dwordx4 v[25:28], v6, s[6:7]
	v_readfirstlane_b32 s20, v4
	v_readfirstlane_b32 s21, v5
	s_mov_b32 s5, exec_lo
	s_waitcnt vmcnt(1)
	v_readfirstlane_b32 s22, v9
	v_readfirstlane_b32 s23, v10
	s_and_b64 s[22:23], s[20:21], s[22:23]
	s_mul_i32 s24, s23, 24
	s_mul_hi_u32 s25, s22, 24
	s_mul_i32 s26, s22, 24
	s_add_i32 s25, s25, s24
	s_waitcnt vmcnt(0)
	v_add_co_u32 v29, vcc_lo, v25, s26
	v_add_co_ci_u32_e32 v30, vcc_lo, s25, v26, vcc_lo
	s_and_saveexec_b32 s24, s4
	s_cbranch_execz .LBB7_1216
; %bb.1215:                             ;   in Loop: Header=BB7_1159 Depth=1
	v_mov_b32_e32 v5, s5
	global_store_dwordx4 v[29:30], v[5:8], off offset:8
.LBB7_1216:                             ;   in Loop: Header=BB7_1159 Depth=1
	s_or_b32 exec_lo, exec_lo, s24
	s_lshl_b64 s[22:23], s[22:23], 12
	v_cmp_gt_u64_e64 vcc_lo, s[16:17], 56
	v_or_b32_e32 v5, v2, v33
	v_add_co_u32 v27, s5, v27, s22
	v_add_co_ci_u32_e64 v28, s5, s23, v28, s5
	s_lshl_b32 s5, s18, 2
	v_or_b32_e32 v4, 0, v3
	v_cndmask_b32_e32 v2, v5, v2, vcc_lo
	s_add_i32 s5, s5, 28
	v_readfirstlane_b32 s22, v27
	s_and_b32 s5, s5, 0x1e0
	v_cndmask_b32_e32 v10, v4, v3, vcc_lo
	v_readfirstlane_b32 s23, v28
	v_and_or_b32 v9, 0xffffff1f, v2, s5
	global_store_dwordx4 v31, v[9:12], s[22:23]
	global_store_dwordx4 v31, v[13:16], s[22:23] offset:16
	global_store_dwordx4 v31, v[17:20], s[22:23] offset:32
	;; [unrolled: 1-line block ×3, first 2 shown]
	s_and_saveexec_b32 s5, s4
	s_cbranch_execz .LBB7_1224
; %bb.1217:                             ;   in Loop: Header=BB7_1159 Depth=1
	s_clause 0x1
	global_load_dwordx2 v[13:14], v6, s[6:7] offset:32 glc dlc
	global_load_dwordx2 v[2:3], v6, s[6:7] offset:40
	v_mov_b32_e32 v11, s20
	v_mov_b32_e32 v12, s21
	s_waitcnt vmcnt(0)
	v_readfirstlane_b32 s22, v2
	v_readfirstlane_b32 s23, v3
	s_and_b64 s[22:23], s[22:23], s[20:21]
	s_mul_i32 s23, s23, 24
	s_mul_hi_u32 s24, s22, 24
	s_mul_i32 s22, s22, 24
	s_add_i32 s24, s24, s23
	v_add_co_u32 v9, vcc_lo, v25, s22
	v_add_co_ci_u32_e32 v10, vcc_lo, s24, v26, vcc_lo
	s_mov_b32 s22, exec_lo
	global_store_dwordx2 v[9:10], v[13:14], off
	s_waitcnt_vscnt null, 0x0
	global_atomic_cmpswap_x2 v[4:5], v6, v[11:14], s[6:7] offset:32 glc
	s_waitcnt vmcnt(0)
	v_cmpx_ne_u64_e64 v[4:5], v[13:14]
	s_cbranch_execz .LBB7_1220
; %bb.1218:                             ;   in Loop: Header=BB7_1159 Depth=1
	s_mov_b32 s23, 0
.LBB7_1219:                             ;   Parent Loop BB7_1159 Depth=1
                                        ; =>  This Inner Loop Header: Depth=2
	v_mov_b32_e32 v2, s20
	v_mov_b32_e32 v3, s21
	s_sleep 1
	global_store_dwordx2 v[9:10], v[4:5], off
	s_waitcnt_vscnt null, 0x0
	global_atomic_cmpswap_x2 v[2:3], v6, v[2:5], s[6:7] offset:32 glc
	s_waitcnt vmcnt(0)
	v_cmp_eq_u64_e32 vcc_lo, v[2:3], v[4:5]
	v_mov_b32_e32 v5, v3
	v_mov_b32_e32 v4, v2
	s_or_b32 s23, vcc_lo, s23
	s_andn2_b32 exec_lo, exec_lo, s23
	s_cbranch_execnz .LBB7_1219
.LBB7_1220:                             ;   in Loop: Header=BB7_1159 Depth=1
	s_or_b32 exec_lo, exec_lo, s22
	global_load_dwordx2 v[2:3], v6, s[6:7] offset:16
	s_mov_b32 s23, exec_lo
	s_mov_b32 s22, exec_lo
	v_mbcnt_lo_u32_b32 v4, s23, 0
	v_cmpx_eq_u32_e32 0, v4
	s_cbranch_execz .LBB7_1222
; %bb.1221:                             ;   in Loop: Header=BB7_1159 Depth=1
	s_bcnt1_i32_b32 s23, s23
	v_mov_b32_e32 v5, s23
	s_waitcnt vmcnt(0)
	global_atomic_add_x2 v[2:3], v[5:6], off offset:8
.LBB7_1222:                             ;   in Loop: Header=BB7_1159 Depth=1
	s_or_b32 exec_lo, exec_lo, s22
	s_waitcnt vmcnt(0)
	global_load_dwordx2 v[9:10], v[2:3], off offset:16
	s_waitcnt vmcnt(0)
	v_cmp_eq_u64_e32 vcc_lo, 0, v[9:10]
	s_cbranch_vccnz .LBB7_1224
; %bb.1223:                             ;   in Loop: Header=BB7_1159 Depth=1
	global_load_dword v5, v[2:3], off offset:24
	s_waitcnt vmcnt(0)
	v_and_b32_e32 v2, 0x7fffff, v5
	s_waitcnt_vscnt null, 0x0
	global_store_dwordx2 v[9:10], v[5:6], off
	v_readfirstlane_b32 m0, v2
	s_sendmsg sendmsg(MSG_INTERRUPT)
.LBB7_1224:                             ;   in Loop: Header=BB7_1159 Depth=1
	s_or_b32 exec_lo, exec_lo, s5
	v_add_co_u32 v2, vcc_lo, v27, v31
	v_add_co_ci_u32_e32 v3, vcc_lo, 0, v28, vcc_lo
	s_branch .LBB7_1228
	.p2align	6
.LBB7_1225:                             ;   in Loop: Header=BB7_1228 Depth=2
	s_or_b32 exec_lo, exec_lo, s5
	v_readfirstlane_b32 s5, v4
	s_cmp_eq_u32 s5, 0
	s_cbranch_scc1 .LBB7_1227
; %bb.1226:                             ;   in Loop: Header=BB7_1228 Depth=2
	s_sleep 1
	s_cbranch_execnz .LBB7_1228
	s_branch .LBB7_1230
	.p2align	6
.LBB7_1227:                             ;   in Loop: Header=BB7_1159 Depth=1
	s_branch .LBB7_1230
.LBB7_1228:                             ;   Parent Loop BB7_1159 Depth=1
                                        ; =>  This Inner Loop Header: Depth=2
	v_mov_b32_e32 v4, 1
	s_and_saveexec_b32 s5, s4
	s_cbranch_execz .LBB7_1225
; %bb.1229:                             ;   in Loop: Header=BB7_1228 Depth=2
	global_load_dword v4, v[29:30], off offset:20 glc dlc
	s_waitcnt vmcnt(0)
	buffer_gl1_inv
	buffer_gl0_inv
	v_and_b32_e32 v4, 1, v4
	s_branch .LBB7_1225
.LBB7_1230:                             ;   in Loop: Header=BB7_1159 Depth=1
	global_load_dwordx4 v[2:5], v[2:3], off
	s_and_saveexec_b32 s5, s4
	s_cbranch_execz .LBB7_1158
; %bb.1231:                             ;   in Loop: Header=BB7_1159 Depth=1
	s_clause 0x2
	global_load_dwordx2 v[4:5], v6, s[6:7] offset:40
	global_load_dwordx2 v[13:14], v6, s[6:7] offset:24 glc dlc
	global_load_dwordx2 v[11:12], v6, s[6:7]
	s_waitcnt vmcnt(2)
	v_add_co_u32 v15, vcc_lo, v4, 1
	v_add_co_ci_u32_e32 v16, vcc_lo, 0, v5, vcc_lo
	v_add_co_u32 v9, vcc_lo, v15, s20
	v_add_co_ci_u32_e32 v10, vcc_lo, s21, v16, vcc_lo
	v_cmp_eq_u64_e32 vcc_lo, 0, v[9:10]
	v_cndmask_b32_e32 v10, v10, v16, vcc_lo
	v_cndmask_b32_e32 v9, v9, v15, vcc_lo
	v_and_b32_e32 v5, v10, v5
	v_and_b32_e32 v4, v9, v4
	v_mul_lo_u32 v5, v5, 24
	v_mul_hi_u32 v15, v4, 24
	v_mul_lo_u32 v4, v4, 24
	v_add_nc_u32_e32 v5, v15, v5
	s_waitcnt vmcnt(0)
	v_add_co_u32 v4, vcc_lo, v11, v4
	v_mov_b32_e32 v11, v13
	v_add_co_ci_u32_e32 v5, vcc_lo, v12, v5, vcc_lo
	v_mov_b32_e32 v12, v14
	global_store_dwordx2 v[4:5], v[13:14], off
	s_waitcnt_vscnt null, 0x0
	global_atomic_cmpswap_x2 v[11:12], v6, v[9:12], s[6:7] offset:24 glc
	s_waitcnt vmcnt(0)
	v_cmp_ne_u64_e32 vcc_lo, v[11:12], v[13:14]
	s_and_b32 exec_lo, exec_lo, vcc_lo
	s_cbranch_execz .LBB7_1158
; %bb.1232:                             ;   in Loop: Header=BB7_1159 Depth=1
	s_mov_b32 s4, 0
.LBB7_1233:                             ;   Parent Loop BB7_1159 Depth=1
                                        ; =>  This Inner Loop Header: Depth=2
	s_sleep 1
	global_store_dwordx2 v[4:5], v[11:12], off
	s_waitcnt_vscnt null, 0x0
	global_atomic_cmpswap_x2 v[13:14], v6, v[9:12], s[6:7] offset:24 glc
	s_waitcnt vmcnt(0)
	v_cmp_eq_u64_e32 vcc_lo, v[13:14], v[11:12]
	v_mov_b32_e32 v11, v13
	v_mov_b32_e32 v12, v14
	s_or_b32 s4, vcc_lo, s4
	s_andn2_b32 exec_lo, exec_lo, s4
	s_cbranch_execnz .LBB7_1233
	s_branch .LBB7_1158
.LBB7_1234:
	s_branch .LBB7_1263
.LBB7_1235:
                                        ; implicit-def: $vgpr2_vgpr3
	s_cbranch_execz .LBB7_1263
; %bb.1236:
	v_readfirstlane_b32 s4, v32
	v_mov_b32_e32 v8, 0
	v_mov_b32_e32 v9, 0
	v_cmp_eq_u32_e64 s4, s4, v32
	s_and_saveexec_b32 s5, s4
	s_cbranch_execz .LBB7_1242
; %bb.1237:
	s_waitcnt vmcnt(0)
	v_mov_b32_e32 v2, 0
	s_mov_b32 s10, exec_lo
	global_load_dwordx2 v[5:6], v2, s[6:7] offset:24 glc dlc
	s_waitcnt vmcnt(0)
	buffer_gl1_inv
	buffer_gl0_inv
	s_clause 0x1
	global_load_dwordx2 v[3:4], v2, s[6:7] offset:40
	global_load_dwordx2 v[7:8], v2, s[6:7]
	s_waitcnt vmcnt(1)
	v_and_b32_e32 v4, v4, v6
	v_and_b32_e32 v3, v3, v5
	v_mul_lo_u32 v4, v4, 24
	v_mul_hi_u32 v9, v3, 24
	v_mul_lo_u32 v3, v3, 24
	v_add_nc_u32_e32 v4, v9, v4
	s_waitcnt vmcnt(0)
	v_add_co_u32 v3, vcc_lo, v7, v3
	v_add_co_ci_u32_e32 v4, vcc_lo, v8, v4, vcc_lo
	global_load_dwordx2 v[3:4], v[3:4], off glc dlc
	s_waitcnt vmcnt(0)
	global_atomic_cmpswap_x2 v[8:9], v2, v[3:6], s[6:7] offset:24 glc
	s_waitcnt vmcnt(0)
	buffer_gl1_inv
	buffer_gl0_inv
	v_cmpx_ne_u64_e64 v[8:9], v[5:6]
	s_cbranch_execz .LBB7_1241
; %bb.1238:
	s_mov_b32 s11, 0
	.p2align	6
.LBB7_1239:                             ; =>This Inner Loop Header: Depth=1
	s_sleep 1
	s_clause 0x1
	global_load_dwordx2 v[3:4], v2, s[6:7] offset:40
	global_load_dwordx2 v[10:11], v2, s[6:7]
	v_mov_b32_e32 v5, v8
	v_mov_b32_e32 v6, v9
	s_waitcnt vmcnt(1)
	v_and_b32_e32 v3, v3, v5
	v_and_b32_e32 v4, v4, v6
	s_waitcnt vmcnt(0)
	v_mad_u64_u32 v[7:8], null, v3, 24, v[10:11]
	v_mov_b32_e32 v3, v8
	v_mad_u64_u32 v[3:4], null, v4, 24, v[3:4]
	v_mov_b32_e32 v8, v3
	global_load_dwordx2 v[3:4], v[7:8], off glc dlc
	s_waitcnt vmcnt(0)
	global_atomic_cmpswap_x2 v[8:9], v2, v[3:6], s[6:7] offset:24 glc
	s_waitcnt vmcnt(0)
	buffer_gl1_inv
	buffer_gl0_inv
	v_cmp_eq_u64_e32 vcc_lo, v[8:9], v[5:6]
	s_or_b32 s11, vcc_lo, s11
	s_andn2_b32 exec_lo, exec_lo, s11
	s_cbranch_execnz .LBB7_1239
; %bb.1240:
	s_or_b32 exec_lo, exec_lo, s11
.LBB7_1241:
	s_or_b32 exec_lo, exec_lo, s10
.LBB7_1242:
	s_or_b32 exec_lo, exec_lo, s5
	s_waitcnt vmcnt(0)
	v_mov_b32_e32 v2, 0
	v_readfirstlane_b32 s10, v8
	v_readfirstlane_b32 s11, v9
	s_mov_b32 s5, exec_lo
	s_clause 0x1
	global_load_dwordx2 v[10:11], v2, s[6:7] offset:40
	global_load_dwordx4 v[4:7], v2, s[6:7]
	s_waitcnt vmcnt(1)
	v_readfirstlane_b32 s16, v10
	v_readfirstlane_b32 s17, v11
	s_and_b64 s[16:17], s[10:11], s[16:17]
	s_mul_i32 s18, s17, 24
	s_mul_hi_u32 s19, s16, 24
	s_mul_i32 s20, s16, 24
	s_add_i32 s19, s19, s18
	s_waitcnt vmcnt(0)
	v_add_co_u32 v8, vcc_lo, v4, s20
	v_add_co_ci_u32_e32 v9, vcc_lo, s19, v5, vcc_lo
	s_and_saveexec_b32 s18, s4
	s_cbranch_execz .LBB7_1244
; %bb.1243:
	v_mov_b32_e32 v10, s5
	v_mov_b32_e32 v11, v2
	;; [unrolled: 1-line block ×4, first 2 shown]
	global_store_dwordx4 v[8:9], v[10:13], off offset:8
.LBB7_1244:
	s_or_b32 exec_lo, exec_lo, s18
	s_lshl_b64 s[16:17], s[16:17], 12
	v_and_or_b32 v0, 0xffffff1f, v0, 32
	v_add_co_u32 v6, vcc_lo, v6, s16
	v_add_co_ci_u32_e32 v7, vcc_lo, s17, v7, vcc_lo
	s_mov_b32 s16, 0
	v_readfirstlane_b32 s20, v6
	v_add_co_u32 v6, vcc_lo, v6, v31
	s_mov_b32 s17, s16
	s_mov_b32 s18, s16
	;; [unrolled: 1-line block ×3, first 2 shown]
	v_mov_b32_e32 v3, v2
	v_readfirstlane_b32 s21, v7
	v_mov_b32_e32 v10, s16
	v_add_co_ci_u32_e32 v7, vcc_lo, 0, v7, vcc_lo
	v_mov_b32_e32 v11, s17
	v_mov_b32_e32 v12, s18
	;; [unrolled: 1-line block ×3, first 2 shown]
	global_store_dwordx4 v31, v[0:3], s[20:21]
	global_store_dwordx4 v31, v[10:13], s[20:21] offset:16
	global_store_dwordx4 v31, v[10:13], s[20:21] offset:32
	global_store_dwordx4 v31, v[10:13], s[20:21] offset:48
	s_and_saveexec_b32 s5, s4
	s_cbranch_execz .LBB7_1252
; %bb.1245:
	v_mov_b32_e32 v10, 0
	v_mov_b32_e32 v11, s10
	;; [unrolled: 1-line block ×3, first 2 shown]
	s_clause 0x1
	global_load_dwordx2 v[13:14], v10, s[6:7] offset:32 glc dlc
	global_load_dwordx2 v[0:1], v10, s[6:7] offset:40
	s_waitcnt vmcnt(0)
	v_readfirstlane_b32 s16, v0
	v_readfirstlane_b32 s17, v1
	s_and_b64 s[16:17], s[16:17], s[10:11]
	s_mul_i32 s17, s17, 24
	s_mul_hi_u32 s18, s16, 24
	s_mul_i32 s16, s16, 24
	s_add_i32 s18, s18, s17
	v_add_co_u32 v4, vcc_lo, v4, s16
	v_add_co_ci_u32_e32 v5, vcc_lo, s18, v5, vcc_lo
	s_mov_b32 s16, exec_lo
	global_store_dwordx2 v[4:5], v[13:14], off
	s_waitcnt_vscnt null, 0x0
	global_atomic_cmpswap_x2 v[2:3], v10, v[11:14], s[6:7] offset:32 glc
	s_waitcnt vmcnt(0)
	v_cmpx_ne_u64_e64 v[2:3], v[13:14]
	s_cbranch_execz .LBB7_1248
; %bb.1246:
	s_mov_b32 s17, 0
.LBB7_1247:                             ; =>This Inner Loop Header: Depth=1
	v_mov_b32_e32 v0, s10
	v_mov_b32_e32 v1, s11
	s_sleep 1
	global_store_dwordx2 v[4:5], v[2:3], off
	s_waitcnt_vscnt null, 0x0
	global_atomic_cmpswap_x2 v[0:1], v10, v[0:3], s[6:7] offset:32 glc
	s_waitcnt vmcnt(0)
	v_cmp_eq_u64_e32 vcc_lo, v[0:1], v[2:3]
	v_mov_b32_e32 v3, v1
	v_mov_b32_e32 v2, v0
	s_or_b32 s17, vcc_lo, s17
	s_andn2_b32 exec_lo, exec_lo, s17
	s_cbranch_execnz .LBB7_1247
.LBB7_1248:
	s_or_b32 exec_lo, exec_lo, s16
	v_mov_b32_e32 v3, 0
	s_mov_b32 s17, exec_lo
	s_mov_b32 s16, exec_lo
	v_mbcnt_lo_u32_b32 v2, s17, 0
	global_load_dwordx2 v[0:1], v3, s[6:7] offset:16
	v_cmpx_eq_u32_e32 0, v2
	s_cbranch_execz .LBB7_1250
; %bb.1249:
	s_bcnt1_i32_b32 s17, s17
	v_mov_b32_e32 v2, s17
	s_waitcnt vmcnt(0)
	global_atomic_add_x2 v[0:1], v[2:3], off offset:8
.LBB7_1250:
	s_or_b32 exec_lo, exec_lo, s16
	s_waitcnt vmcnt(0)
	global_load_dwordx2 v[2:3], v[0:1], off offset:16
	s_waitcnt vmcnt(0)
	v_cmp_eq_u64_e32 vcc_lo, 0, v[2:3]
	s_cbranch_vccnz .LBB7_1252
; %bb.1251:
	global_load_dword v0, v[0:1], off offset:24
	v_mov_b32_e32 v1, 0
	s_waitcnt vmcnt(0)
	v_and_b32_e32 v4, 0x7fffff, v0
	s_waitcnt_vscnt null, 0x0
	global_store_dwordx2 v[2:3], v[0:1], off
	v_readfirstlane_b32 m0, v4
	s_sendmsg sendmsg(MSG_INTERRUPT)
.LBB7_1252:
	s_or_b32 exec_lo, exec_lo, s5
	s_branch .LBB7_1256
	.p2align	6
.LBB7_1253:                             ;   in Loop: Header=BB7_1256 Depth=1
	s_or_b32 exec_lo, exec_lo, s5
	v_readfirstlane_b32 s5, v0
	s_cmp_eq_u32 s5, 0
	s_cbranch_scc1 .LBB7_1255
; %bb.1254:                             ;   in Loop: Header=BB7_1256 Depth=1
	s_sleep 1
	s_cbranch_execnz .LBB7_1256
	s_branch .LBB7_1258
	.p2align	6
.LBB7_1255:
	s_branch .LBB7_1258
.LBB7_1256:                             ; =>This Inner Loop Header: Depth=1
	v_mov_b32_e32 v0, 1
	s_and_saveexec_b32 s5, s4
	s_cbranch_execz .LBB7_1253
; %bb.1257:                             ;   in Loop: Header=BB7_1256 Depth=1
	global_load_dword v0, v[8:9], off offset:20 glc dlc
	s_waitcnt vmcnt(0)
	buffer_gl1_inv
	buffer_gl0_inv
	v_and_b32_e32 v0, 1, v0
	s_branch .LBB7_1253
.LBB7_1258:
	global_load_dwordx2 v[2:3], v[6:7], off
	s_and_saveexec_b32 s5, s4
	s_cbranch_execz .LBB7_1262
; %bb.1259:
	v_mov_b32_e32 v8, 0
	s_clause 0x2
	global_load_dwordx2 v[0:1], v8, s[6:7] offset:40
	global_load_dwordx2 v[9:10], v8, s[6:7] offset:24 glc dlc
	global_load_dwordx2 v[6:7], v8, s[6:7]
	s_waitcnt vmcnt(2)
	v_add_co_u32 v11, vcc_lo, v0, 1
	v_add_co_ci_u32_e32 v12, vcc_lo, 0, v1, vcc_lo
	v_add_co_u32 v4, vcc_lo, v11, s10
	v_add_co_ci_u32_e32 v5, vcc_lo, s11, v12, vcc_lo
	v_cmp_eq_u64_e32 vcc_lo, 0, v[4:5]
	v_cndmask_b32_e32 v5, v5, v12, vcc_lo
	v_cndmask_b32_e32 v4, v4, v11, vcc_lo
	v_and_b32_e32 v1, v5, v1
	v_and_b32_e32 v0, v4, v0
	v_mul_lo_u32 v1, v1, 24
	v_mul_hi_u32 v11, v0, 24
	v_mul_lo_u32 v0, v0, 24
	v_add_nc_u32_e32 v1, v11, v1
	s_waitcnt vmcnt(0)
	v_add_co_u32 v0, vcc_lo, v6, v0
	v_mov_b32_e32 v6, v9
	v_add_co_ci_u32_e32 v1, vcc_lo, v7, v1, vcc_lo
	v_mov_b32_e32 v7, v10
	global_store_dwordx2 v[0:1], v[9:10], off
	s_waitcnt_vscnt null, 0x0
	global_atomic_cmpswap_x2 v[6:7], v8, v[4:7], s[6:7] offset:24 glc
	s_waitcnt vmcnt(0)
	v_cmp_ne_u64_e32 vcc_lo, v[6:7], v[9:10]
	s_and_b32 exec_lo, exec_lo, vcc_lo
	s_cbranch_execz .LBB7_1262
; %bb.1260:
	s_mov_b32 s4, 0
.LBB7_1261:                             ; =>This Inner Loop Header: Depth=1
	s_sleep 1
	global_store_dwordx2 v[0:1], v[6:7], off
	s_waitcnt_vscnt null, 0x0
	global_atomic_cmpswap_x2 v[9:10], v8, v[4:7], s[6:7] offset:24 glc
	s_waitcnt vmcnt(0)
	v_cmp_eq_u64_e32 vcc_lo, v[9:10], v[6:7]
	v_mov_b32_e32 v6, v9
	v_mov_b32_e32 v7, v10
	s_or_b32 s4, vcc_lo, s4
	s_andn2_b32 exec_lo, exec_lo, s4
	s_cbranch_execnz .LBB7_1261
.LBB7_1262:
	s_or_b32 exec_lo, exec_lo, s5
.LBB7_1263:
	v_readfirstlane_b32 s4, v32
	s_waitcnt vmcnt(0)
	v_mov_b32_e32 v0, 0
	v_mov_b32_e32 v1, 0
	v_cmp_eq_u32_e64 s4, s4, v32
	s_and_saveexec_b32 s5, s4
	s_cbranch_execz .LBB7_1269
; %bb.1264:
	v_mov_b32_e32 v4, 0
	s_mov_b32 s10, exec_lo
	global_load_dwordx2 v[7:8], v4, s[6:7] offset:24 glc dlc
	s_waitcnt vmcnt(0)
	buffer_gl1_inv
	buffer_gl0_inv
	s_clause 0x1
	global_load_dwordx2 v[0:1], v4, s[6:7] offset:40
	global_load_dwordx2 v[5:6], v4, s[6:7]
	s_waitcnt vmcnt(1)
	v_and_b32_e32 v1, v1, v8
	v_and_b32_e32 v0, v0, v7
	v_mul_lo_u32 v1, v1, 24
	v_mul_hi_u32 v9, v0, 24
	v_mul_lo_u32 v0, v0, 24
	v_add_nc_u32_e32 v1, v9, v1
	s_waitcnt vmcnt(0)
	v_add_co_u32 v0, vcc_lo, v5, v0
	v_add_co_ci_u32_e32 v1, vcc_lo, v6, v1, vcc_lo
	global_load_dwordx2 v[5:6], v[0:1], off glc dlc
	s_waitcnt vmcnt(0)
	global_atomic_cmpswap_x2 v[0:1], v4, v[5:8], s[6:7] offset:24 glc
	s_waitcnt vmcnt(0)
	buffer_gl1_inv
	buffer_gl0_inv
	v_cmpx_ne_u64_e64 v[0:1], v[7:8]
	s_cbranch_execz .LBB7_1268
; %bb.1265:
	s_mov_b32 s11, 0
	.p2align	6
.LBB7_1266:                             ; =>This Inner Loop Header: Depth=1
	s_sleep 1
	s_clause 0x1
	global_load_dwordx2 v[5:6], v4, s[6:7] offset:40
	global_load_dwordx2 v[9:10], v4, s[6:7]
	v_mov_b32_e32 v8, v1
	v_mov_b32_e32 v7, v0
	s_waitcnt vmcnt(1)
	v_and_b32_e32 v0, v5, v7
	v_and_b32_e32 v5, v6, v8
	s_waitcnt vmcnt(0)
	v_mad_u64_u32 v[0:1], null, v0, 24, v[9:10]
	v_mad_u64_u32 v[5:6], null, v5, 24, v[1:2]
	v_mov_b32_e32 v1, v5
	global_load_dwordx2 v[5:6], v[0:1], off glc dlc
	s_waitcnt vmcnt(0)
	global_atomic_cmpswap_x2 v[0:1], v4, v[5:8], s[6:7] offset:24 glc
	s_waitcnt vmcnt(0)
	buffer_gl1_inv
	buffer_gl0_inv
	v_cmp_eq_u64_e32 vcc_lo, v[0:1], v[7:8]
	s_or_b32 s11, vcc_lo, s11
	s_andn2_b32 exec_lo, exec_lo, s11
	s_cbranch_execnz .LBB7_1266
; %bb.1267:
	s_or_b32 exec_lo, exec_lo, s11
.LBB7_1268:
	s_or_b32 exec_lo, exec_lo, s10
.LBB7_1269:
	s_or_b32 exec_lo, exec_lo, s5
	v_mov_b32_e32 v5, 0
	v_readfirstlane_b32 s10, v0
	v_readfirstlane_b32 s11, v1
	s_mov_b32 s5, exec_lo
	s_clause 0x1
	global_load_dwordx2 v[10:11], v5, s[6:7] offset:40
	global_load_dwordx4 v[6:9], v5, s[6:7]
	s_waitcnt vmcnt(1)
	v_readfirstlane_b32 s16, v10
	v_readfirstlane_b32 s17, v11
	s_and_b64 s[16:17], s[10:11], s[16:17]
	s_mul_i32 s18, s17, 24
	s_mul_hi_u32 s19, s16, 24
	s_mul_i32 s20, s16, 24
	s_add_i32 s19, s19, s18
	s_waitcnt vmcnt(0)
	v_add_co_u32 v10, vcc_lo, v6, s20
	v_add_co_ci_u32_e32 v11, vcc_lo, s19, v7, vcc_lo
	s_and_saveexec_b32 s18, s4
	s_cbranch_execz .LBB7_1271
; %bb.1270:
	v_mov_b32_e32 v4, s5
	v_mov_b32_e32 v13, v5
	;; [unrolled: 1-line block ×5, first 2 shown]
	global_store_dwordx4 v[10:11], v[12:15], off offset:8
.LBB7_1271:
	s_or_b32 exec_lo, exec_lo, s18
	s_lshl_b64 s[16:17], s[16:17], 12
	v_and_or_b32 v2, 0xffffff1d, v2, 34
	v_add_co_u32 v0, vcc_lo, v8, s16
	v_add_co_ci_u32_e32 v1, vcc_lo, s17, v9, vcc_lo
	s_mov_b32 s16, 0
	v_mov_b32_e32 v4, 10
	s_mov_b32 s17, s16
	s_mov_b32 s18, s16
	;; [unrolled: 1-line block ×3, first 2 shown]
	v_readfirstlane_b32 s20, v0
	v_readfirstlane_b32 s21, v1
	v_mov_b32_e32 v12, s16
	v_mov_b32_e32 v13, s17
	;; [unrolled: 1-line block ×4, first 2 shown]
	global_store_dwordx4 v31, v[2:5], s[20:21]
	global_store_dwordx4 v31, v[12:15], s[20:21] offset:16
	global_store_dwordx4 v31, v[12:15], s[20:21] offset:32
	;; [unrolled: 1-line block ×3, first 2 shown]
	s_and_saveexec_b32 s5, s4
	s_cbranch_execz .LBB7_1279
; %bb.1272:
	v_mov_b32_e32 v8, 0
	v_mov_b32_e32 v12, s10
	v_mov_b32_e32 v13, s11
	s_clause 0x1
	global_load_dwordx2 v[14:15], v8, s[6:7] offset:32 glc dlc
	global_load_dwordx2 v[0:1], v8, s[6:7] offset:40
	s_waitcnt vmcnt(0)
	v_readfirstlane_b32 s16, v0
	v_readfirstlane_b32 s17, v1
	s_and_b64 s[16:17], s[16:17], s[10:11]
	s_mul_i32 s17, s17, 24
	s_mul_hi_u32 s18, s16, 24
	s_mul_i32 s16, s16, 24
	s_add_i32 s18, s18, s17
	v_add_co_u32 v4, vcc_lo, v6, s16
	v_add_co_ci_u32_e32 v5, vcc_lo, s18, v7, vcc_lo
	s_mov_b32 s16, exec_lo
	global_store_dwordx2 v[4:5], v[14:15], off
	s_waitcnt_vscnt null, 0x0
	global_atomic_cmpswap_x2 v[2:3], v8, v[12:15], s[6:7] offset:32 glc
	s_waitcnt vmcnt(0)
	v_cmpx_ne_u64_e64 v[2:3], v[14:15]
	s_cbranch_execz .LBB7_1275
; %bb.1273:
	s_mov_b32 s17, 0
.LBB7_1274:                             ; =>This Inner Loop Header: Depth=1
	v_mov_b32_e32 v0, s10
	v_mov_b32_e32 v1, s11
	s_sleep 1
	global_store_dwordx2 v[4:5], v[2:3], off
	s_waitcnt_vscnt null, 0x0
	global_atomic_cmpswap_x2 v[0:1], v8, v[0:3], s[6:7] offset:32 glc
	s_waitcnt vmcnt(0)
	v_cmp_eq_u64_e32 vcc_lo, v[0:1], v[2:3]
	v_mov_b32_e32 v3, v1
	v_mov_b32_e32 v2, v0
	s_or_b32 s17, vcc_lo, s17
	s_andn2_b32 exec_lo, exec_lo, s17
	s_cbranch_execnz .LBB7_1274
.LBB7_1275:
	s_or_b32 exec_lo, exec_lo, s16
	v_mov_b32_e32 v3, 0
	s_mov_b32 s17, exec_lo
	s_mov_b32 s16, exec_lo
	v_mbcnt_lo_u32_b32 v2, s17, 0
	global_load_dwordx2 v[0:1], v3, s[6:7] offset:16
	v_cmpx_eq_u32_e32 0, v2
	s_cbranch_execz .LBB7_1277
; %bb.1276:
	s_bcnt1_i32_b32 s17, s17
	v_mov_b32_e32 v2, s17
	s_waitcnt vmcnt(0)
	global_atomic_add_x2 v[0:1], v[2:3], off offset:8
.LBB7_1277:
	s_or_b32 exec_lo, exec_lo, s16
	s_waitcnt vmcnt(0)
	global_load_dwordx2 v[2:3], v[0:1], off offset:16
	s_waitcnt vmcnt(0)
	v_cmp_eq_u64_e32 vcc_lo, 0, v[2:3]
	s_cbranch_vccnz .LBB7_1279
; %bb.1278:
	global_load_dword v0, v[0:1], off offset:24
	v_mov_b32_e32 v1, 0
	s_waitcnt vmcnt(0)
	v_and_b32_e32 v4, 0x7fffff, v0
	s_waitcnt_vscnt null, 0x0
	global_store_dwordx2 v[2:3], v[0:1], off
	v_readfirstlane_b32 m0, v4
	s_sendmsg sendmsg(MSG_INTERRUPT)
.LBB7_1279:
	s_or_b32 exec_lo, exec_lo, s5
	s_branch .LBB7_1283
	.p2align	6
.LBB7_1280:                             ;   in Loop: Header=BB7_1283 Depth=1
	s_or_b32 exec_lo, exec_lo, s5
	v_readfirstlane_b32 s5, v0
	s_cmp_eq_u32 s5, 0
	s_cbranch_scc1 .LBB7_1282
; %bb.1281:                             ;   in Loop: Header=BB7_1283 Depth=1
	s_sleep 1
	s_cbranch_execnz .LBB7_1283
	s_branch .LBB7_1285
	.p2align	6
.LBB7_1282:
	s_branch .LBB7_1285
.LBB7_1283:                             ; =>This Inner Loop Header: Depth=1
	v_mov_b32_e32 v0, 1
	s_and_saveexec_b32 s5, s4
	s_cbranch_execz .LBB7_1280
; %bb.1284:                             ;   in Loop: Header=BB7_1283 Depth=1
	global_load_dword v0, v[10:11], off offset:20 glc dlc
	s_waitcnt vmcnt(0)
	buffer_gl1_inv
	buffer_gl0_inv
	v_and_b32_e32 v0, 1, v0
	s_branch .LBB7_1280
.LBB7_1285:
	s_and_saveexec_b32 s5, s4
	s_cbranch_execz .LBB7_1289
; %bb.1286:
	v_mov_b32_e32 v6, 0
	s_clause 0x2
	global_load_dwordx2 v[2:3], v6, s[6:7] offset:40
	global_load_dwordx2 v[7:8], v6, s[6:7] offset:24 glc dlc
	global_load_dwordx2 v[4:5], v6, s[6:7]
	s_waitcnt vmcnt(2)
	v_add_co_u32 v9, vcc_lo, v2, 1
	v_add_co_ci_u32_e32 v10, vcc_lo, 0, v3, vcc_lo
	v_add_co_u32 v0, vcc_lo, v9, s10
	v_add_co_ci_u32_e32 v1, vcc_lo, s11, v10, vcc_lo
	v_cmp_eq_u64_e32 vcc_lo, 0, v[0:1]
	v_cndmask_b32_e32 v1, v1, v10, vcc_lo
	v_cndmask_b32_e32 v0, v0, v9, vcc_lo
	v_and_b32_e32 v3, v1, v3
	v_and_b32_e32 v2, v0, v2
	v_mul_lo_u32 v3, v3, 24
	v_mul_hi_u32 v9, v2, 24
	v_mul_lo_u32 v2, v2, 24
	v_add_nc_u32_e32 v3, v9, v3
	s_waitcnt vmcnt(0)
	v_add_co_u32 v4, vcc_lo, v4, v2
	v_mov_b32_e32 v2, v7
	v_add_co_ci_u32_e32 v5, vcc_lo, v5, v3, vcc_lo
	v_mov_b32_e32 v3, v8
	global_store_dwordx2 v[4:5], v[7:8], off
	s_waitcnt_vscnt null, 0x0
	global_atomic_cmpswap_x2 v[2:3], v6, v[0:3], s[6:7] offset:24 glc
	s_waitcnt vmcnt(0)
	v_cmp_ne_u64_e32 vcc_lo, v[2:3], v[7:8]
	s_and_b32 exec_lo, exec_lo, vcc_lo
	s_cbranch_execz .LBB7_1289
; %bb.1287:
	s_mov_b32 s4, 0
.LBB7_1288:                             ; =>This Inner Loop Header: Depth=1
	s_sleep 1
	global_store_dwordx2 v[4:5], v[2:3], off
	s_waitcnt_vscnt null, 0x0
	global_atomic_cmpswap_x2 v[7:8], v6, v[0:3], s[6:7] offset:24 glc
	s_waitcnt vmcnt(0)
	v_cmp_eq_u64_e32 vcc_lo, v[7:8], v[2:3]
	v_mov_b32_e32 v2, v7
	v_mov_b32_e32 v3, v8
	s_or_b32 s4, vcc_lo, s4
	s_andn2_b32 exec_lo, exec_lo, s4
	s_cbranch_execnz .LBB7_1288
.LBB7_1289:
	s_or_b32 exec_lo, exec_lo, s5
	v_readfirstlane_b32 s4, v32
	v_mov_b32_e32 v6, 0
	v_mov_b32_e32 v7, 0
	v_cmp_eq_u32_e64 s4, s4, v32
	s_and_saveexec_b32 s5, s4
	s_cbranch_execz .LBB7_1295
; %bb.1290:
	v_mov_b32_e32 v0, 0
	s_mov_b32 s10, exec_lo
	global_load_dwordx2 v[3:4], v0, s[6:7] offset:24 glc dlc
	s_waitcnt vmcnt(0)
	buffer_gl1_inv
	buffer_gl0_inv
	s_clause 0x1
	global_load_dwordx2 v[1:2], v0, s[6:7] offset:40
	global_load_dwordx2 v[5:6], v0, s[6:7]
	s_waitcnt vmcnt(1)
	v_and_b32_e32 v2, v2, v4
	v_and_b32_e32 v1, v1, v3
	v_mul_lo_u32 v2, v2, 24
	v_mul_hi_u32 v7, v1, 24
	v_mul_lo_u32 v1, v1, 24
	v_add_nc_u32_e32 v2, v7, v2
	s_waitcnt vmcnt(0)
	v_add_co_u32 v1, vcc_lo, v5, v1
	v_add_co_ci_u32_e32 v2, vcc_lo, v6, v2, vcc_lo
	global_load_dwordx2 v[1:2], v[1:2], off glc dlc
	s_waitcnt vmcnt(0)
	global_atomic_cmpswap_x2 v[6:7], v0, v[1:4], s[6:7] offset:24 glc
	s_waitcnt vmcnt(0)
	buffer_gl1_inv
	buffer_gl0_inv
	v_cmpx_ne_u64_e64 v[6:7], v[3:4]
	s_cbranch_execz .LBB7_1294
; %bb.1291:
	s_mov_b32 s11, 0
	.p2align	6
.LBB7_1292:                             ; =>This Inner Loop Header: Depth=1
	s_sleep 1
	s_clause 0x1
	global_load_dwordx2 v[1:2], v0, s[6:7] offset:40
	global_load_dwordx2 v[8:9], v0, s[6:7]
	v_mov_b32_e32 v3, v6
	v_mov_b32_e32 v4, v7
	s_waitcnt vmcnt(1)
	v_and_b32_e32 v1, v1, v3
	v_and_b32_e32 v2, v2, v4
	s_waitcnt vmcnt(0)
	v_mad_u64_u32 v[5:6], null, v1, 24, v[8:9]
	v_mov_b32_e32 v1, v6
	v_mad_u64_u32 v[1:2], null, v2, 24, v[1:2]
	v_mov_b32_e32 v6, v1
	global_load_dwordx2 v[1:2], v[5:6], off glc dlc
	s_waitcnt vmcnt(0)
	global_atomic_cmpswap_x2 v[6:7], v0, v[1:4], s[6:7] offset:24 glc
	s_waitcnt vmcnt(0)
	buffer_gl1_inv
	buffer_gl0_inv
	v_cmp_eq_u64_e32 vcc_lo, v[6:7], v[3:4]
	s_or_b32 s11, vcc_lo, s11
	s_andn2_b32 exec_lo, exec_lo, s11
	s_cbranch_execnz .LBB7_1292
; %bb.1293:
	s_or_b32 exec_lo, exec_lo, s11
.LBB7_1294:
	s_or_b32 exec_lo, exec_lo, s10
.LBB7_1295:
	s_or_b32 exec_lo, exec_lo, s5
	v_mov_b32_e32 v5, 0
	v_readfirstlane_b32 s10, v6
	v_readfirstlane_b32 s11, v7
	s_mov_b32 s5, exec_lo
	s_clause 0x1
	global_load_dwordx2 v[8:9], v5, s[6:7] offset:40
	global_load_dwordx4 v[0:3], v5, s[6:7]
	s_waitcnt vmcnt(1)
	v_readfirstlane_b32 s16, v8
	v_readfirstlane_b32 s17, v9
	s_and_b64 s[16:17], s[10:11], s[16:17]
	s_mul_i32 s18, s17, 24
	s_mul_hi_u32 s19, s16, 24
	s_mul_i32 s20, s16, 24
	s_add_i32 s19, s19, s18
	s_waitcnt vmcnt(0)
	v_add_co_u32 v8, vcc_lo, v0, s20
	v_add_co_ci_u32_e32 v9, vcc_lo, s19, v1, vcc_lo
	s_and_saveexec_b32 s18, s4
	s_cbranch_execz .LBB7_1297
; %bb.1296:
	v_mov_b32_e32 v4, s5
	v_mov_b32_e32 v6, 2
	;; [unrolled: 1-line block ×3, first 2 shown]
	global_store_dwordx4 v[8:9], v[4:7], off offset:8
.LBB7_1297:
	s_or_b32 exec_lo, exec_lo, s18
	s_lshl_b64 s[16:17], s[16:17], 12
	v_mov_b32_e32 v4, 33
	v_add_co_u32 v2, vcc_lo, v2, s16
	v_add_co_ci_u32_e32 v3, vcc_lo, s17, v3, vcc_lo
	s_mov_b32 s16, 0
	v_add_co_u32 v10, vcc_lo, v2, v31
	s_mov_b32 s17, s16
	s_mov_b32 s18, s16
	;; [unrolled: 1-line block ×3, first 2 shown]
	v_mov_b32_e32 v6, v5
	v_mov_b32_e32 v7, v5
	v_readfirstlane_b32 s20, v2
	v_readfirstlane_b32 s21, v3
	v_mov_b32_e32 v12, s16
	v_add_co_ci_u32_e32 v11, vcc_lo, 0, v3, vcc_lo
	v_mov_b32_e32 v13, s17
	v_mov_b32_e32 v14, s18
	;; [unrolled: 1-line block ×3, first 2 shown]
	global_store_dwordx4 v31, v[4:7], s[20:21]
	global_store_dwordx4 v31, v[12:15], s[20:21] offset:16
	global_store_dwordx4 v31, v[12:15], s[20:21] offset:32
	;; [unrolled: 1-line block ×3, first 2 shown]
	s_and_saveexec_b32 s5, s4
	s_cbranch_execz .LBB7_1305
; %bb.1298:
	v_mov_b32_e32 v6, 0
	v_mov_b32_e32 v12, s10
	;; [unrolled: 1-line block ×3, first 2 shown]
	s_clause 0x1
	global_load_dwordx2 v[14:15], v6, s[6:7] offset:32 glc dlc
	global_load_dwordx2 v[2:3], v6, s[6:7] offset:40
	s_waitcnt vmcnt(0)
	v_readfirstlane_b32 s16, v2
	v_readfirstlane_b32 s17, v3
	s_and_b64 s[16:17], s[16:17], s[10:11]
	s_mul_i32 s17, s17, 24
	s_mul_hi_u32 s18, s16, 24
	s_mul_i32 s16, s16, 24
	s_add_i32 s18, s18, s17
	v_add_co_u32 v4, vcc_lo, v0, s16
	v_add_co_ci_u32_e32 v5, vcc_lo, s18, v1, vcc_lo
	s_mov_b32 s16, exec_lo
	global_store_dwordx2 v[4:5], v[14:15], off
	s_waitcnt_vscnt null, 0x0
	global_atomic_cmpswap_x2 v[2:3], v6, v[12:15], s[6:7] offset:32 glc
	s_waitcnt vmcnt(0)
	v_cmpx_ne_u64_e64 v[2:3], v[14:15]
	s_cbranch_execz .LBB7_1301
; %bb.1299:
	s_mov_b32 s17, 0
.LBB7_1300:                             ; =>This Inner Loop Header: Depth=1
	v_mov_b32_e32 v0, s10
	v_mov_b32_e32 v1, s11
	s_sleep 1
	global_store_dwordx2 v[4:5], v[2:3], off
	s_waitcnt_vscnt null, 0x0
	global_atomic_cmpswap_x2 v[0:1], v6, v[0:3], s[6:7] offset:32 glc
	s_waitcnt vmcnt(0)
	v_cmp_eq_u64_e32 vcc_lo, v[0:1], v[2:3]
	v_mov_b32_e32 v3, v1
	v_mov_b32_e32 v2, v0
	s_or_b32 s17, vcc_lo, s17
	s_andn2_b32 exec_lo, exec_lo, s17
	s_cbranch_execnz .LBB7_1300
.LBB7_1301:
	s_or_b32 exec_lo, exec_lo, s16
	v_mov_b32_e32 v3, 0
	s_mov_b32 s17, exec_lo
	s_mov_b32 s16, exec_lo
	v_mbcnt_lo_u32_b32 v2, s17, 0
	global_load_dwordx2 v[0:1], v3, s[6:7] offset:16
	v_cmpx_eq_u32_e32 0, v2
	s_cbranch_execz .LBB7_1303
; %bb.1302:
	s_bcnt1_i32_b32 s17, s17
	v_mov_b32_e32 v2, s17
	s_waitcnt vmcnt(0)
	global_atomic_add_x2 v[0:1], v[2:3], off offset:8
.LBB7_1303:
	s_or_b32 exec_lo, exec_lo, s16
	s_waitcnt vmcnt(0)
	global_load_dwordx2 v[2:3], v[0:1], off offset:16
	s_waitcnt vmcnt(0)
	v_cmp_eq_u64_e32 vcc_lo, 0, v[2:3]
	s_cbranch_vccnz .LBB7_1305
; %bb.1304:
	global_load_dword v0, v[0:1], off offset:24
	v_mov_b32_e32 v1, 0
	s_waitcnt vmcnt(0)
	v_and_b32_e32 v4, 0x7fffff, v0
	s_waitcnt_vscnt null, 0x0
	global_store_dwordx2 v[2:3], v[0:1], off
	v_readfirstlane_b32 m0, v4
	s_sendmsg sendmsg(MSG_INTERRUPT)
.LBB7_1305:
	s_or_b32 exec_lo, exec_lo, s5
	s_branch .LBB7_1309
	.p2align	6
.LBB7_1306:                             ;   in Loop: Header=BB7_1309 Depth=1
	s_or_b32 exec_lo, exec_lo, s5
	v_readfirstlane_b32 s5, v0
	s_cmp_eq_u32 s5, 0
	s_cbranch_scc1 .LBB7_1308
; %bb.1307:                             ;   in Loop: Header=BB7_1309 Depth=1
	s_sleep 1
	s_cbranch_execnz .LBB7_1309
	s_branch .LBB7_1311
	.p2align	6
.LBB7_1308:
	s_branch .LBB7_1311
.LBB7_1309:                             ; =>This Inner Loop Header: Depth=1
	v_mov_b32_e32 v0, 1
	s_and_saveexec_b32 s5, s4
	s_cbranch_execz .LBB7_1306
; %bb.1310:                             ;   in Loop: Header=BB7_1309 Depth=1
	global_load_dword v0, v[8:9], off offset:20 glc dlc
	s_waitcnt vmcnt(0)
	buffer_gl1_inv
	buffer_gl0_inv
	v_and_b32_e32 v0, 1, v0
	s_branch .LBB7_1306
.LBB7_1311:
	global_load_dwordx2 v[4:5], v[10:11], off
	s_and_saveexec_b32 s5, s4
	s_cbranch_execz .LBB7_1315
; %bb.1312:
	v_mov_b32_e32 v8, 0
	s_clause 0x2
	global_load_dwordx2 v[2:3], v8, s[6:7] offset:40
	global_load_dwordx2 v[9:10], v8, s[6:7] offset:24 glc dlc
	global_load_dwordx2 v[6:7], v8, s[6:7]
	s_waitcnt vmcnt(2)
	v_add_co_u32 v11, vcc_lo, v2, 1
	v_add_co_ci_u32_e32 v12, vcc_lo, 0, v3, vcc_lo
	v_add_co_u32 v0, vcc_lo, v11, s10
	v_add_co_ci_u32_e32 v1, vcc_lo, s11, v12, vcc_lo
	v_cmp_eq_u64_e32 vcc_lo, 0, v[0:1]
	v_cndmask_b32_e32 v1, v1, v12, vcc_lo
	v_cndmask_b32_e32 v0, v0, v11, vcc_lo
	v_and_b32_e32 v3, v1, v3
	v_and_b32_e32 v2, v0, v2
	v_mul_lo_u32 v3, v3, 24
	v_mul_hi_u32 v11, v2, 24
	v_mul_lo_u32 v2, v2, 24
	v_add_nc_u32_e32 v3, v11, v3
	s_waitcnt vmcnt(0)
	v_add_co_u32 v6, vcc_lo, v6, v2
	v_mov_b32_e32 v2, v9
	v_add_co_ci_u32_e32 v7, vcc_lo, v7, v3, vcc_lo
	v_mov_b32_e32 v3, v10
	global_store_dwordx2 v[6:7], v[9:10], off
	s_waitcnt_vscnt null, 0x0
	global_atomic_cmpswap_x2 v[2:3], v8, v[0:3], s[6:7] offset:24 glc
	s_waitcnt vmcnt(0)
	v_cmp_ne_u64_e32 vcc_lo, v[2:3], v[9:10]
	s_and_b32 exec_lo, exec_lo, vcc_lo
	s_cbranch_execz .LBB7_1315
; %bb.1313:
	s_mov_b32 s4, 0
.LBB7_1314:                             ; =>This Inner Loop Header: Depth=1
	s_sleep 1
	global_store_dwordx2 v[6:7], v[2:3], off
	s_waitcnt_vscnt null, 0x0
	global_atomic_cmpswap_x2 v[9:10], v8, v[0:3], s[6:7] offset:24 glc
	s_waitcnt vmcnt(0)
	v_cmp_eq_u64_e32 vcc_lo, v[9:10], v[2:3]
	v_mov_b32_e32 v2, v9
	v_mov_b32_e32 v3, v10
	s_or_b32 s4, vcc_lo, s4
	s_andn2_b32 exec_lo, exec_lo, s4
	s_cbranch_execnz .LBB7_1314
.LBB7_1315:
	s_or_b32 exec_lo, exec_lo, s5
	s_and_b32 vcc_lo, exec_lo, s15
	s_cbranch_vccz .LBB7_1394
; %bb.1316:
	s_waitcnt vmcnt(0)
	v_and_b32_e32 v28, 2, v4
	v_mov_b32_e32 v7, 0
	v_and_b32_e32 v0, -3, v4
	v_mov_b32_e32 v1, v5
	v_mov_b32_e32 v8, 2
	;; [unrolled: 1-line block ×3, first 2 shown]
	s_mov_b64 s[16:17], 3
	s_getpc_b64 s[10:11]
	s_add_u32 s10, s10, .str.5@rel32@lo+4
	s_addc_u32 s11, s11, .str.5@rel32@hi+12
	s_branch .LBB7_1318
.LBB7_1317:                             ;   in Loop: Header=BB7_1318 Depth=1
	s_or_b32 exec_lo, exec_lo, s5
	s_sub_u32 s16, s16, s18
	s_subb_u32 s17, s17, s19
	s_add_u32 s10, s10, s18
	s_addc_u32 s11, s11, s19
	s_cmp_lg_u64 s[16:17], 0
	s_cbranch_scc0 .LBB7_1393
.LBB7_1318:                             ; =>This Loop Header: Depth=1
                                        ;     Child Loop BB7_1327 Depth 2
                                        ;     Child Loop BB7_1323 Depth 2
	;; [unrolled: 1-line block ×11, first 2 shown]
	v_cmp_lt_u64_e64 s4, s[16:17], 56
	v_cmp_gt_u64_e64 s5, s[16:17], 7
                                        ; implicit-def: $vgpr2_vgpr3
                                        ; implicit-def: $sgpr15
	s_and_b32 s4, s4, exec_lo
	s_cselect_b32 s19, s17, 0
	s_cselect_b32 s18, s16, 56
	s_and_b32 vcc_lo, exec_lo, s5
	s_mov_b32 s4, -1
	s_cbranch_vccz .LBB7_1325
; %bb.1319:                             ;   in Loop: Header=BB7_1318 Depth=1
	s_andn2_b32 vcc_lo, exec_lo, s4
	s_mov_b64 s[4:5], s[10:11]
	s_cbranch_vccz .LBB7_1329
.LBB7_1320:                             ;   in Loop: Header=BB7_1318 Depth=1
	s_cmp_gt_u32 s15, 7
	s_cbranch_scc1 .LBB7_1330
.LBB7_1321:                             ;   in Loop: Header=BB7_1318 Depth=1
	v_mov_b32_e32 v10, 0
	v_mov_b32_e32 v11, 0
	s_cmp_eq_u32 s15, 0
	s_cbranch_scc1 .LBB7_1324
; %bb.1322:                             ;   in Loop: Header=BB7_1318 Depth=1
	s_mov_b64 s[20:21], 0
	s_mov_b64 s[22:23], 0
.LBB7_1323:                             ;   Parent Loop BB7_1318 Depth=1
                                        ; =>  This Inner Loop Header: Depth=2
	s_add_u32 s24, s4, s22
	s_addc_u32 s25, s5, s23
	s_add_u32 s22, s22, 1
	global_load_ubyte v6, v7, s[24:25]
	s_addc_u32 s23, s23, 0
	s_waitcnt vmcnt(0)
	v_and_b32_e32 v6, 0xffff, v6
	v_lshlrev_b64 v[12:13], s20, v[6:7]
	s_add_u32 s20, s20, 8
	s_addc_u32 s21, s21, 0
	s_cmp_lg_u32 s15, s22
	v_or_b32_e32 v10, v12, v10
	v_or_b32_e32 v11, v13, v11
	s_cbranch_scc1 .LBB7_1323
.LBB7_1324:                             ;   in Loop: Header=BB7_1318 Depth=1
	s_mov_b32 s24, 0
	s_cbranch_execz .LBB7_1331
	s_branch .LBB7_1332
.LBB7_1325:                             ;   in Loop: Header=BB7_1318 Depth=1
	s_waitcnt vmcnt(0)
	v_mov_b32_e32 v2, 0
	v_mov_b32_e32 v3, 0
	s_cmp_eq_u64 s[16:17], 0
	s_mov_b64 s[4:5], 0
	s_cbranch_scc1 .LBB7_1328
; %bb.1326:                             ;   in Loop: Header=BB7_1318 Depth=1
	v_mov_b32_e32 v2, 0
	v_mov_b32_e32 v3, 0
	s_lshl_b64 s[20:21], s[18:19], 3
	s_mov_b64 s[22:23], s[10:11]
.LBB7_1327:                             ;   Parent Loop BB7_1318 Depth=1
                                        ; =>  This Inner Loop Header: Depth=2
	global_load_ubyte v6, v7, s[22:23]
	s_waitcnt vmcnt(0)
	v_and_b32_e32 v6, 0xffff, v6
	v_lshlrev_b64 v[10:11], s4, v[6:7]
	s_add_u32 s4, s4, 8
	s_addc_u32 s5, s5, 0
	s_add_u32 s22, s22, 1
	s_addc_u32 s23, s23, 0
	s_cmp_lg_u32 s20, s4
	v_or_b32_e32 v2, v10, v2
	v_or_b32_e32 v3, v11, v3
	s_cbranch_scc1 .LBB7_1327
.LBB7_1328:                             ;   in Loop: Header=BB7_1318 Depth=1
	s_mov_b32 s15, 0
	s_mov_b64 s[4:5], s[10:11]
	s_cbranch_execnz .LBB7_1320
.LBB7_1329:                             ;   in Loop: Header=BB7_1318 Depth=1
	global_load_dwordx2 v[2:3], v7, s[10:11]
	s_add_i32 s15, s18, -8
	s_add_u32 s4, s10, 8
	s_addc_u32 s5, s11, 0
	s_cmp_gt_u32 s15, 7
	s_cbranch_scc0 .LBB7_1321
.LBB7_1330:                             ;   in Loop: Header=BB7_1318 Depth=1
                                        ; implicit-def: $vgpr10_vgpr11
                                        ; implicit-def: $sgpr24
.LBB7_1331:                             ;   in Loop: Header=BB7_1318 Depth=1
	global_load_dwordx2 v[10:11], v7, s[4:5]
	s_add_i32 s24, s15, -8
	s_add_u32 s4, s4, 8
	s_addc_u32 s5, s5, 0
.LBB7_1332:                             ;   in Loop: Header=BB7_1318 Depth=1
	s_cmp_gt_u32 s24, 7
	s_cbranch_scc1 .LBB7_1337
; %bb.1333:                             ;   in Loop: Header=BB7_1318 Depth=1
	v_mov_b32_e32 v12, 0
	v_mov_b32_e32 v13, 0
	s_cmp_eq_u32 s24, 0
	s_cbranch_scc1 .LBB7_1336
; %bb.1334:                             ;   in Loop: Header=BB7_1318 Depth=1
	s_mov_b64 s[20:21], 0
	s_mov_b64 s[22:23], 0
.LBB7_1335:                             ;   Parent Loop BB7_1318 Depth=1
                                        ; =>  This Inner Loop Header: Depth=2
	s_add_u32 s26, s4, s22
	s_addc_u32 s27, s5, s23
	s_add_u32 s22, s22, 1
	global_load_ubyte v6, v7, s[26:27]
	s_addc_u32 s23, s23, 0
	s_waitcnt vmcnt(0)
	v_and_b32_e32 v6, 0xffff, v6
	v_lshlrev_b64 v[14:15], s20, v[6:7]
	s_add_u32 s20, s20, 8
	s_addc_u32 s21, s21, 0
	s_cmp_lg_u32 s24, s22
	v_or_b32_e32 v12, v14, v12
	v_or_b32_e32 v13, v15, v13
	s_cbranch_scc1 .LBB7_1335
.LBB7_1336:                             ;   in Loop: Header=BB7_1318 Depth=1
	s_mov_b32 s15, 0
	s_cbranch_execz .LBB7_1338
	s_branch .LBB7_1339
.LBB7_1337:                             ;   in Loop: Header=BB7_1318 Depth=1
                                        ; implicit-def: $sgpr15
.LBB7_1338:                             ;   in Loop: Header=BB7_1318 Depth=1
	global_load_dwordx2 v[12:13], v7, s[4:5]
	s_add_i32 s15, s24, -8
	s_add_u32 s4, s4, 8
	s_addc_u32 s5, s5, 0
.LBB7_1339:                             ;   in Loop: Header=BB7_1318 Depth=1
	s_cmp_gt_u32 s15, 7
	s_cbranch_scc1 .LBB7_1344
; %bb.1340:                             ;   in Loop: Header=BB7_1318 Depth=1
	v_mov_b32_e32 v14, 0
	v_mov_b32_e32 v15, 0
	s_cmp_eq_u32 s15, 0
	s_cbranch_scc1 .LBB7_1343
; %bb.1341:                             ;   in Loop: Header=BB7_1318 Depth=1
	s_mov_b64 s[20:21], 0
	s_mov_b64 s[22:23], 0
.LBB7_1342:                             ;   Parent Loop BB7_1318 Depth=1
                                        ; =>  This Inner Loop Header: Depth=2
	s_add_u32 s24, s4, s22
	s_addc_u32 s25, s5, s23
	s_add_u32 s22, s22, 1
	global_load_ubyte v6, v7, s[24:25]
	s_addc_u32 s23, s23, 0
	s_waitcnt vmcnt(0)
	v_and_b32_e32 v6, 0xffff, v6
	v_lshlrev_b64 v[16:17], s20, v[6:7]
	s_add_u32 s20, s20, 8
	s_addc_u32 s21, s21, 0
	s_cmp_lg_u32 s15, s22
	v_or_b32_e32 v14, v16, v14
	v_or_b32_e32 v15, v17, v15
	s_cbranch_scc1 .LBB7_1342
.LBB7_1343:                             ;   in Loop: Header=BB7_1318 Depth=1
	s_mov_b32 s24, 0
	s_cbranch_execz .LBB7_1345
	s_branch .LBB7_1346
.LBB7_1344:                             ;   in Loop: Header=BB7_1318 Depth=1
                                        ; implicit-def: $vgpr14_vgpr15
                                        ; implicit-def: $sgpr24
.LBB7_1345:                             ;   in Loop: Header=BB7_1318 Depth=1
	global_load_dwordx2 v[14:15], v7, s[4:5]
	s_add_i32 s24, s15, -8
	s_add_u32 s4, s4, 8
	s_addc_u32 s5, s5, 0
.LBB7_1346:                             ;   in Loop: Header=BB7_1318 Depth=1
	s_cmp_gt_u32 s24, 7
	s_cbranch_scc1 .LBB7_1351
; %bb.1347:                             ;   in Loop: Header=BB7_1318 Depth=1
	v_mov_b32_e32 v16, 0
	v_mov_b32_e32 v17, 0
	s_cmp_eq_u32 s24, 0
	s_cbranch_scc1 .LBB7_1350
; %bb.1348:                             ;   in Loop: Header=BB7_1318 Depth=1
	s_mov_b64 s[20:21], 0
	s_mov_b64 s[22:23], 0
.LBB7_1349:                             ;   Parent Loop BB7_1318 Depth=1
                                        ; =>  This Inner Loop Header: Depth=2
	s_add_u32 s26, s4, s22
	s_addc_u32 s27, s5, s23
	s_add_u32 s22, s22, 1
	global_load_ubyte v6, v7, s[26:27]
	s_addc_u32 s23, s23, 0
	s_waitcnt vmcnt(0)
	v_and_b32_e32 v6, 0xffff, v6
	v_lshlrev_b64 v[18:19], s20, v[6:7]
	s_add_u32 s20, s20, 8
	s_addc_u32 s21, s21, 0
	s_cmp_lg_u32 s24, s22
	v_or_b32_e32 v16, v18, v16
	v_or_b32_e32 v17, v19, v17
	s_cbranch_scc1 .LBB7_1349
.LBB7_1350:                             ;   in Loop: Header=BB7_1318 Depth=1
	s_mov_b32 s15, 0
	s_cbranch_execz .LBB7_1352
	s_branch .LBB7_1353
.LBB7_1351:                             ;   in Loop: Header=BB7_1318 Depth=1
                                        ; implicit-def: $sgpr15
.LBB7_1352:                             ;   in Loop: Header=BB7_1318 Depth=1
	global_load_dwordx2 v[16:17], v7, s[4:5]
	s_add_i32 s15, s24, -8
	s_add_u32 s4, s4, 8
	s_addc_u32 s5, s5, 0
.LBB7_1353:                             ;   in Loop: Header=BB7_1318 Depth=1
	s_cmp_gt_u32 s15, 7
	s_cbranch_scc1 .LBB7_1358
; %bb.1354:                             ;   in Loop: Header=BB7_1318 Depth=1
	v_mov_b32_e32 v18, 0
	v_mov_b32_e32 v19, 0
	s_cmp_eq_u32 s15, 0
	s_cbranch_scc1 .LBB7_1357
; %bb.1355:                             ;   in Loop: Header=BB7_1318 Depth=1
	s_mov_b64 s[20:21], 0
	s_mov_b64 s[22:23], 0
.LBB7_1356:                             ;   Parent Loop BB7_1318 Depth=1
                                        ; =>  This Inner Loop Header: Depth=2
	s_add_u32 s24, s4, s22
	s_addc_u32 s25, s5, s23
	s_add_u32 s22, s22, 1
	global_load_ubyte v6, v7, s[24:25]
	s_addc_u32 s23, s23, 0
	s_waitcnt vmcnt(0)
	v_and_b32_e32 v6, 0xffff, v6
	v_lshlrev_b64 v[20:21], s20, v[6:7]
	s_add_u32 s20, s20, 8
	s_addc_u32 s21, s21, 0
	s_cmp_lg_u32 s15, s22
	v_or_b32_e32 v18, v20, v18
	v_or_b32_e32 v19, v21, v19
	s_cbranch_scc1 .LBB7_1356
.LBB7_1357:                             ;   in Loop: Header=BB7_1318 Depth=1
	s_mov_b32 s24, 0
	s_cbranch_execz .LBB7_1359
	s_branch .LBB7_1360
.LBB7_1358:                             ;   in Loop: Header=BB7_1318 Depth=1
                                        ; implicit-def: $vgpr18_vgpr19
                                        ; implicit-def: $sgpr24
.LBB7_1359:                             ;   in Loop: Header=BB7_1318 Depth=1
	global_load_dwordx2 v[18:19], v7, s[4:5]
	s_add_i32 s24, s15, -8
	s_add_u32 s4, s4, 8
	s_addc_u32 s5, s5, 0
.LBB7_1360:                             ;   in Loop: Header=BB7_1318 Depth=1
	s_cmp_gt_u32 s24, 7
	s_cbranch_scc1 .LBB7_1365
; %bb.1361:                             ;   in Loop: Header=BB7_1318 Depth=1
	v_mov_b32_e32 v20, 0
	v_mov_b32_e32 v21, 0
	s_cmp_eq_u32 s24, 0
	s_cbranch_scc1 .LBB7_1364
; %bb.1362:                             ;   in Loop: Header=BB7_1318 Depth=1
	s_mov_b64 s[20:21], 0
	s_mov_b64 s[22:23], s[4:5]
.LBB7_1363:                             ;   Parent Loop BB7_1318 Depth=1
                                        ; =>  This Inner Loop Header: Depth=2
	global_load_ubyte v6, v7, s[22:23]
	s_add_i32 s24, s24, -1
	s_waitcnt vmcnt(0)
	v_and_b32_e32 v6, 0xffff, v6
	v_lshlrev_b64 v[22:23], s20, v[6:7]
	s_add_u32 s20, s20, 8
	s_addc_u32 s21, s21, 0
	s_add_u32 s22, s22, 1
	s_addc_u32 s23, s23, 0
	s_cmp_lg_u32 s24, 0
	v_or_b32_e32 v20, v22, v20
	v_or_b32_e32 v21, v23, v21
	s_cbranch_scc1 .LBB7_1363
.LBB7_1364:                             ;   in Loop: Header=BB7_1318 Depth=1
	s_cbranch_execz .LBB7_1366
	s_branch .LBB7_1367
.LBB7_1365:                             ;   in Loop: Header=BB7_1318 Depth=1
.LBB7_1366:                             ;   in Loop: Header=BB7_1318 Depth=1
	global_load_dwordx2 v[20:21], v7, s[4:5]
.LBB7_1367:                             ;   in Loop: Header=BB7_1318 Depth=1
	v_readfirstlane_b32 s4, v32
	v_mov_b32_e32 v26, 0
	v_mov_b32_e32 v27, 0
	v_cmp_eq_u32_e64 s4, s4, v32
	s_and_saveexec_b32 s5, s4
	s_cbranch_execz .LBB7_1373
; %bb.1368:                             ;   in Loop: Header=BB7_1318 Depth=1
	global_load_dwordx2 v[24:25], v7, s[6:7] offset:24 glc dlc
	s_waitcnt vmcnt(0)
	buffer_gl1_inv
	buffer_gl0_inv
	s_clause 0x1
	global_load_dwordx2 v[22:23], v7, s[6:7] offset:40
	global_load_dwordx2 v[26:27], v7, s[6:7]
	s_mov_b32 s15, exec_lo
	s_waitcnt vmcnt(1)
	v_and_b32_e32 v6, v23, v25
	v_and_b32_e32 v22, v22, v24
	v_mul_lo_u32 v6, v6, 24
	v_mul_hi_u32 v23, v22, 24
	v_mul_lo_u32 v22, v22, 24
	v_add_nc_u32_e32 v6, v23, v6
	s_waitcnt vmcnt(0)
	v_add_co_u32 v22, vcc_lo, v26, v22
	v_add_co_ci_u32_e32 v23, vcc_lo, v27, v6, vcc_lo
	global_load_dwordx2 v[22:23], v[22:23], off glc dlc
	s_waitcnt vmcnt(0)
	global_atomic_cmpswap_x2 v[26:27], v7, v[22:25], s[6:7] offset:24 glc
	s_waitcnt vmcnt(0)
	buffer_gl1_inv
	buffer_gl0_inv
	v_cmpx_ne_u64_e64 v[26:27], v[24:25]
	s_cbranch_execz .LBB7_1372
; %bb.1369:                             ;   in Loop: Header=BB7_1318 Depth=1
	s_mov_b32 s20, 0
	.p2align	6
.LBB7_1370:                             ;   Parent Loop BB7_1318 Depth=1
                                        ; =>  This Inner Loop Header: Depth=2
	s_sleep 1
	s_clause 0x1
	global_load_dwordx2 v[22:23], v7, s[6:7] offset:40
	global_load_dwordx2 v[29:30], v7, s[6:7]
	v_mov_b32_e32 v24, v26
	v_mov_b32_e32 v25, v27
	s_waitcnt vmcnt(1)
	v_and_b32_e32 v6, v22, v24
	v_and_b32_e32 v22, v23, v25
	s_waitcnt vmcnt(0)
	v_mad_u64_u32 v[26:27], null, v6, 24, v[29:30]
	v_mov_b32_e32 v6, v27
	v_mad_u64_u32 v[22:23], null, v22, 24, v[6:7]
	v_mov_b32_e32 v27, v22
	global_load_dwordx2 v[22:23], v[26:27], off glc dlc
	s_waitcnt vmcnt(0)
	global_atomic_cmpswap_x2 v[26:27], v7, v[22:25], s[6:7] offset:24 glc
	s_waitcnt vmcnt(0)
	buffer_gl1_inv
	buffer_gl0_inv
	v_cmp_eq_u64_e32 vcc_lo, v[26:27], v[24:25]
	s_or_b32 s20, vcc_lo, s20
	s_andn2_b32 exec_lo, exec_lo, s20
	s_cbranch_execnz .LBB7_1370
; %bb.1371:                             ;   in Loop: Header=BB7_1318 Depth=1
	s_or_b32 exec_lo, exec_lo, s20
.LBB7_1372:                             ;   in Loop: Header=BB7_1318 Depth=1
	s_or_b32 exec_lo, exec_lo, s15
.LBB7_1373:                             ;   in Loop: Header=BB7_1318 Depth=1
	s_or_b32 exec_lo, exec_lo, s5
	s_clause 0x1
	global_load_dwordx2 v[29:30], v7, s[6:7] offset:40
	global_load_dwordx4 v[22:25], v7, s[6:7]
	v_readfirstlane_b32 s20, v26
	v_readfirstlane_b32 s21, v27
	s_mov_b32 s5, exec_lo
	s_waitcnt vmcnt(1)
	v_readfirstlane_b32 s22, v29
	v_readfirstlane_b32 s23, v30
	s_and_b64 s[22:23], s[20:21], s[22:23]
	s_mul_i32 s15, s23, 24
	s_mul_hi_u32 s24, s22, 24
	s_mul_i32 s25, s22, 24
	s_add_i32 s24, s24, s15
	s_waitcnt vmcnt(0)
	v_add_co_u32 v26, vcc_lo, v22, s25
	v_add_co_ci_u32_e32 v27, vcc_lo, s24, v23, vcc_lo
	s_and_saveexec_b32 s15, s4
	s_cbranch_execz .LBB7_1375
; %bb.1374:                             ;   in Loop: Header=BB7_1318 Depth=1
	v_mov_b32_e32 v6, s5
	global_store_dwordx4 v[26:27], v[6:9], off offset:8
.LBB7_1375:                             ;   in Loop: Header=BB7_1318 Depth=1
	s_or_b32 exec_lo, exec_lo, s15
	s_lshl_b64 s[22:23], s[22:23], 12
	v_cmp_gt_u64_e64 vcc_lo, s[16:17], 56
	v_or_b32_e32 v29, v0, v28
	v_add_co_u32 v24, s5, v24, s22
	v_add_co_ci_u32_e64 v25, s5, s23, v25, s5
	s_lshl_b32 s5, s18, 2
	v_or_b32_e32 v6, 0, v1
	v_cndmask_b32_e32 v0, v29, v0, vcc_lo
	s_add_i32 s5, s5, 28
	v_readfirstlane_b32 s22, v24
	s_and_b32 s5, s5, 0x1e0
	v_cndmask_b32_e32 v1, v6, v1, vcc_lo
	v_readfirstlane_b32 s23, v25
	v_and_or_b32 v0, 0xffffff1f, v0, s5
	global_store_dwordx4 v31, v[0:3], s[22:23]
	global_store_dwordx4 v31, v[10:13], s[22:23] offset:16
	global_store_dwordx4 v31, v[14:17], s[22:23] offset:32
	;; [unrolled: 1-line block ×3, first 2 shown]
	s_and_saveexec_b32 s5, s4
	s_cbranch_execz .LBB7_1383
; %bb.1376:                             ;   in Loop: Header=BB7_1318 Depth=1
	s_clause 0x1
	global_load_dwordx2 v[14:15], v7, s[6:7] offset:32 glc dlc
	global_load_dwordx2 v[0:1], v7, s[6:7] offset:40
	v_mov_b32_e32 v12, s20
	v_mov_b32_e32 v13, s21
	s_waitcnt vmcnt(0)
	v_readfirstlane_b32 s22, v0
	v_readfirstlane_b32 s23, v1
	s_and_b64 s[22:23], s[22:23], s[20:21]
	s_mul_i32 s15, s23, 24
	s_mul_hi_u32 s23, s22, 24
	s_mul_i32 s22, s22, 24
	s_add_i32 s23, s23, s15
	v_add_co_u32 v10, vcc_lo, v22, s22
	v_add_co_ci_u32_e32 v11, vcc_lo, s23, v23, vcc_lo
	s_mov_b32 s15, exec_lo
	global_store_dwordx2 v[10:11], v[14:15], off
	s_waitcnt_vscnt null, 0x0
	global_atomic_cmpswap_x2 v[2:3], v7, v[12:15], s[6:7] offset:32 glc
	s_waitcnt vmcnt(0)
	v_cmpx_ne_u64_e64 v[2:3], v[14:15]
	s_cbranch_execz .LBB7_1379
; %bb.1377:                             ;   in Loop: Header=BB7_1318 Depth=1
	s_mov_b32 s22, 0
.LBB7_1378:                             ;   Parent Loop BB7_1318 Depth=1
                                        ; =>  This Inner Loop Header: Depth=2
	v_mov_b32_e32 v0, s20
	v_mov_b32_e32 v1, s21
	s_sleep 1
	global_store_dwordx2 v[10:11], v[2:3], off
	s_waitcnt_vscnt null, 0x0
	global_atomic_cmpswap_x2 v[0:1], v7, v[0:3], s[6:7] offset:32 glc
	s_waitcnt vmcnt(0)
	v_cmp_eq_u64_e32 vcc_lo, v[0:1], v[2:3]
	v_mov_b32_e32 v3, v1
	v_mov_b32_e32 v2, v0
	s_or_b32 s22, vcc_lo, s22
	s_andn2_b32 exec_lo, exec_lo, s22
	s_cbranch_execnz .LBB7_1378
.LBB7_1379:                             ;   in Loop: Header=BB7_1318 Depth=1
	s_or_b32 exec_lo, exec_lo, s15
	global_load_dwordx2 v[0:1], v7, s[6:7] offset:16
	s_mov_b32 s22, exec_lo
	s_mov_b32 s15, exec_lo
	v_mbcnt_lo_u32_b32 v2, s22, 0
	v_cmpx_eq_u32_e32 0, v2
	s_cbranch_execz .LBB7_1381
; %bb.1380:                             ;   in Loop: Header=BB7_1318 Depth=1
	s_bcnt1_i32_b32 s22, s22
	v_mov_b32_e32 v6, s22
	s_waitcnt vmcnt(0)
	global_atomic_add_x2 v[0:1], v[6:7], off offset:8
.LBB7_1381:                             ;   in Loop: Header=BB7_1318 Depth=1
	s_or_b32 exec_lo, exec_lo, s15
	s_waitcnt vmcnt(0)
	global_load_dwordx2 v[2:3], v[0:1], off offset:16
	s_waitcnt vmcnt(0)
	v_cmp_eq_u64_e32 vcc_lo, 0, v[2:3]
	s_cbranch_vccnz .LBB7_1383
; %bb.1382:                             ;   in Loop: Header=BB7_1318 Depth=1
	global_load_dword v6, v[0:1], off offset:24
	s_waitcnt vmcnt(0)
	v_and_b32_e32 v0, 0x7fffff, v6
	s_waitcnt_vscnt null, 0x0
	global_store_dwordx2 v[2:3], v[6:7], off
	v_readfirstlane_b32 m0, v0
	s_sendmsg sendmsg(MSG_INTERRUPT)
.LBB7_1383:                             ;   in Loop: Header=BB7_1318 Depth=1
	s_or_b32 exec_lo, exec_lo, s5
	v_add_co_u32 v0, vcc_lo, v24, v31
	v_add_co_ci_u32_e32 v1, vcc_lo, 0, v25, vcc_lo
	s_branch .LBB7_1387
	.p2align	6
.LBB7_1384:                             ;   in Loop: Header=BB7_1387 Depth=2
	s_or_b32 exec_lo, exec_lo, s5
	v_readfirstlane_b32 s5, v2
	s_cmp_eq_u32 s5, 0
	s_cbranch_scc1 .LBB7_1386
; %bb.1385:                             ;   in Loop: Header=BB7_1387 Depth=2
	s_sleep 1
	s_cbranch_execnz .LBB7_1387
	s_branch .LBB7_1389
	.p2align	6
.LBB7_1386:                             ;   in Loop: Header=BB7_1318 Depth=1
	s_branch .LBB7_1389
.LBB7_1387:                             ;   Parent Loop BB7_1318 Depth=1
                                        ; =>  This Inner Loop Header: Depth=2
	v_mov_b32_e32 v2, 1
	s_and_saveexec_b32 s5, s4
	s_cbranch_execz .LBB7_1384
; %bb.1388:                             ;   in Loop: Header=BB7_1387 Depth=2
	global_load_dword v2, v[26:27], off offset:20 glc dlc
	s_waitcnt vmcnt(0)
	buffer_gl1_inv
	buffer_gl0_inv
	v_and_b32_e32 v2, 1, v2
	s_branch .LBB7_1384
.LBB7_1389:                             ;   in Loop: Header=BB7_1318 Depth=1
	global_load_dwordx4 v[0:3], v[0:1], off
	s_and_saveexec_b32 s5, s4
	s_cbranch_execz .LBB7_1317
; %bb.1390:                             ;   in Loop: Header=BB7_1318 Depth=1
	s_clause 0x2
	global_load_dwordx2 v[2:3], v7, s[6:7] offset:40
	global_load_dwordx2 v[14:15], v7, s[6:7] offset:24 glc dlc
	global_load_dwordx2 v[12:13], v7, s[6:7]
	s_waitcnt vmcnt(2)
	v_add_co_u32 v6, vcc_lo, v2, 1
	v_add_co_ci_u32_e32 v16, vcc_lo, 0, v3, vcc_lo
	v_add_co_u32 v10, vcc_lo, v6, s20
	v_add_co_ci_u32_e32 v11, vcc_lo, s21, v16, vcc_lo
	v_cmp_eq_u64_e32 vcc_lo, 0, v[10:11]
	v_cndmask_b32_e32 v11, v11, v16, vcc_lo
	v_cndmask_b32_e32 v10, v10, v6, vcc_lo
	v_and_b32_e32 v3, v11, v3
	v_and_b32_e32 v2, v10, v2
	v_mul_lo_u32 v3, v3, 24
	v_mul_hi_u32 v6, v2, 24
	v_mul_lo_u32 v2, v2, 24
	v_add_nc_u32_e32 v3, v6, v3
	s_waitcnt vmcnt(0)
	v_add_co_u32 v2, vcc_lo, v12, v2
	v_mov_b32_e32 v12, v14
	v_add_co_ci_u32_e32 v3, vcc_lo, v13, v3, vcc_lo
	v_mov_b32_e32 v13, v15
	global_store_dwordx2 v[2:3], v[14:15], off
	s_waitcnt_vscnt null, 0x0
	global_atomic_cmpswap_x2 v[12:13], v7, v[10:13], s[6:7] offset:24 glc
	s_waitcnt vmcnt(0)
	v_cmp_ne_u64_e32 vcc_lo, v[12:13], v[14:15]
	s_and_b32 exec_lo, exec_lo, vcc_lo
	s_cbranch_execz .LBB7_1317
; %bb.1391:                             ;   in Loop: Header=BB7_1318 Depth=1
	s_mov_b32 s4, 0
.LBB7_1392:                             ;   Parent Loop BB7_1318 Depth=1
                                        ; =>  This Inner Loop Header: Depth=2
	s_sleep 1
	global_store_dwordx2 v[2:3], v[12:13], off
	s_waitcnt_vscnt null, 0x0
	global_atomic_cmpswap_x2 v[14:15], v7, v[10:13], s[6:7] offset:24 glc
	s_waitcnt vmcnt(0)
	v_cmp_eq_u64_e32 vcc_lo, v[14:15], v[12:13]
	v_mov_b32_e32 v12, v14
	v_mov_b32_e32 v13, v15
	s_or_b32 s4, vcc_lo, s4
	s_andn2_b32 exec_lo, exec_lo, s4
	s_cbranch_execnz .LBB7_1392
	s_branch .LBB7_1317
.LBB7_1393:
	s_branch .LBB7_1422
.LBB7_1394:
                                        ; implicit-def: $vgpr0_vgpr1
	s_cbranch_execz .LBB7_1422
; %bb.1395:
	v_readfirstlane_b32 s4, v32
	v_mov_b32_e32 v7, 0
	v_mov_b32_e32 v8, 0
	v_cmp_eq_u32_e64 s4, s4, v32
	s_and_saveexec_b32 s5, s4
	s_cbranch_execz .LBB7_1401
; %bb.1396:
	s_waitcnt vmcnt(0)
	v_mov_b32_e32 v0, 0
	s_mov_b32 s10, exec_lo
	global_load_dwordx2 v[9:10], v0, s[6:7] offset:24 glc dlc
	s_waitcnt vmcnt(0)
	buffer_gl1_inv
	buffer_gl0_inv
	s_clause 0x1
	global_load_dwordx2 v[1:2], v0, s[6:7] offset:40
	global_load_dwordx2 v[6:7], v0, s[6:7]
	s_waitcnt vmcnt(1)
	v_and_b32_e32 v2, v2, v10
	v_and_b32_e32 v1, v1, v9
	v_mul_lo_u32 v2, v2, 24
	v_mul_hi_u32 v3, v1, 24
	v_mul_lo_u32 v1, v1, 24
	v_add_nc_u32_e32 v2, v3, v2
	s_waitcnt vmcnt(0)
	v_add_co_u32 v1, vcc_lo, v6, v1
	v_add_co_ci_u32_e32 v2, vcc_lo, v7, v2, vcc_lo
	global_load_dwordx2 v[7:8], v[1:2], off glc dlc
	s_waitcnt vmcnt(0)
	global_atomic_cmpswap_x2 v[7:8], v0, v[7:10], s[6:7] offset:24 glc
	s_waitcnt vmcnt(0)
	buffer_gl1_inv
	buffer_gl0_inv
	v_cmpx_ne_u64_e64 v[7:8], v[9:10]
	s_cbranch_execz .LBB7_1400
; %bb.1397:
	s_mov_b32 s11, 0
	.p2align	6
.LBB7_1398:                             ; =>This Inner Loop Header: Depth=1
	s_sleep 1
	s_clause 0x1
	global_load_dwordx2 v[1:2], v0, s[6:7] offset:40
	global_load_dwordx2 v[11:12], v0, s[6:7]
	v_mov_b32_e32 v10, v8
	v_mov_b32_e32 v9, v7
	s_waitcnt vmcnt(1)
	v_and_b32_e32 v1, v1, v9
	v_and_b32_e32 v2, v2, v10
	s_waitcnt vmcnt(0)
	v_mad_u64_u32 v[6:7], null, v1, 24, v[11:12]
	v_mov_b32_e32 v1, v7
	v_mad_u64_u32 v[1:2], null, v2, 24, v[1:2]
	v_mov_b32_e32 v7, v1
	global_load_dwordx2 v[7:8], v[6:7], off glc dlc
	s_waitcnt vmcnt(0)
	global_atomic_cmpswap_x2 v[7:8], v0, v[7:10], s[6:7] offset:24 glc
	s_waitcnt vmcnt(0)
	buffer_gl1_inv
	buffer_gl0_inv
	v_cmp_eq_u64_e32 vcc_lo, v[7:8], v[9:10]
	s_or_b32 s11, vcc_lo, s11
	s_andn2_b32 exec_lo, exec_lo, s11
	s_cbranch_execnz .LBB7_1398
; %bb.1399:
	s_or_b32 exec_lo, exec_lo, s11
.LBB7_1400:
	s_or_b32 exec_lo, exec_lo, s10
.LBB7_1401:
	s_or_b32 exec_lo, exec_lo, s5
	v_mov_b32_e32 v6, 0
	v_readfirstlane_b32 s10, v7
	v_readfirstlane_b32 s11, v8
	s_mov_b32 s5, exec_lo
	s_clause 0x1
	global_load_dwordx2 v[9:10], v6, s[6:7] offset:40
	global_load_dwordx4 v[0:3], v6, s[6:7]
	s_waitcnt vmcnt(1)
	v_readfirstlane_b32 s16, v9
	v_readfirstlane_b32 s17, v10
	s_and_b64 s[16:17], s[10:11], s[16:17]
	s_mul_i32 s15, s17, 24
	s_mul_hi_u32 s18, s16, 24
	s_mul_i32 s19, s16, 24
	s_add_i32 s18, s18, s15
	s_waitcnt vmcnt(0)
	v_add_co_u32 v8, vcc_lo, v0, s19
	v_add_co_ci_u32_e32 v9, vcc_lo, s18, v1, vcc_lo
	s_and_saveexec_b32 s15, s4
	s_cbranch_execz .LBB7_1403
; %bb.1402:
	v_mov_b32_e32 v10, s5
	v_mov_b32_e32 v11, v6
	;; [unrolled: 1-line block ×4, first 2 shown]
	global_store_dwordx4 v[8:9], v[10:13], off offset:8
.LBB7_1403:
	s_or_b32 exec_lo, exec_lo, s15
	s_lshl_b64 s[16:17], s[16:17], 12
	v_and_or_b32 v4, 0xffffff1f, v4, 32
	v_add_co_u32 v2, vcc_lo, v2, s16
	v_add_co_ci_u32_e32 v3, vcc_lo, s17, v3, vcc_lo
	s_mov_b32 s16, 0
	v_add_co_u32 v10, vcc_lo, v2, v31
	s_mov_b32 s17, s16
	s_mov_b32 s18, s16
	;; [unrolled: 1-line block ×3, first 2 shown]
	v_mov_b32_e32 v7, v6
	v_readfirstlane_b32 s20, v2
	v_readfirstlane_b32 s21, v3
	v_mov_b32_e32 v12, s16
	v_add_co_ci_u32_e32 v11, vcc_lo, 0, v3, vcc_lo
	v_mov_b32_e32 v13, s17
	v_mov_b32_e32 v14, s18
	;; [unrolled: 1-line block ×3, first 2 shown]
	global_store_dwordx4 v31, v[4:7], s[20:21]
	global_store_dwordx4 v31, v[12:15], s[20:21] offset:16
	global_store_dwordx4 v31, v[12:15], s[20:21] offset:32
	;; [unrolled: 1-line block ×3, first 2 shown]
	s_and_saveexec_b32 s5, s4
	s_cbranch_execz .LBB7_1411
; %bb.1404:
	v_mov_b32_e32 v6, 0
	v_mov_b32_e32 v12, s10
	v_mov_b32_e32 v13, s11
	s_clause 0x1
	global_load_dwordx2 v[14:15], v6, s[6:7] offset:32 glc dlc
	global_load_dwordx2 v[2:3], v6, s[6:7] offset:40
	s_waitcnt vmcnt(0)
	v_readfirstlane_b32 s16, v2
	v_readfirstlane_b32 s17, v3
	s_and_b64 s[16:17], s[16:17], s[10:11]
	s_mul_i32 s15, s17, 24
	s_mul_hi_u32 s17, s16, 24
	s_mul_i32 s16, s16, 24
	s_add_i32 s17, s17, s15
	v_add_co_u32 v4, vcc_lo, v0, s16
	v_add_co_ci_u32_e32 v5, vcc_lo, s17, v1, vcc_lo
	s_mov_b32 s15, exec_lo
	global_store_dwordx2 v[4:5], v[14:15], off
	s_waitcnt_vscnt null, 0x0
	global_atomic_cmpswap_x2 v[2:3], v6, v[12:15], s[6:7] offset:32 glc
	s_waitcnt vmcnt(0)
	v_cmpx_ne_u64_e64 v[2:3], v[14:15]
	s_cbranch_execz .LBB7_1407
; %bb.1405:
	s_mov_b32 s16, 0
.LBB7_1406:                             ; =>This Inner Loop Header: Depth=1
	v_mov_b32_e32 v0, s10
	v_mov_b32_e32 v1, s11
	s_sleep 1
	global_store_dwordx2 v[4:5], v[2:3], off
	s_waitcnt_vscnt null, 0x0
	global_atomic_cmpswap_x2 v[0:1], v6, v[0:3], s[6:7] offset:32 glc
	s_waitcnt vmcnt(0)
	v_cmp_eq_u64_e32 vcc_lo, v[0:1], v[2:3]
	v_mov_b32_e32 v3, v1
	v_mov_b32_e32 v2, v0
	s_or_b32 s16, vcc_lo, s16
	s_andn2_b32 exec_lo, exec_lo, s16
	s_cbranch_execnz .LBB7_1406
.LBB7_1407:
	s_or_b32 exec_lo, exec_lo, s15
	v_mov_b32_e32 v3, 0
	s_mov_b32 s16, exec_lo
	s_mov_b32 s15, exec_lo
	v_mbcnt_lo_u32_b32 v2, s16, 0
	global_load_dwordx2 v[0:1], v3, s[6:7] offset:16
	v_cmpx_eq_u32_e32 0, v2
	s_cbranch_execz .LBB7_1409
; %bb.1408:
	s_bcnt1_i32_b32 s16, s16
	v_mov_b32_e32 v2, s16
	s_waitcnt vmcnt(0)
	global_atomic_add_x2 v[0:1], v[2:3], off offset:8
.LBB7_1409:
	s_or_b32 exec_lo, exec_lo, s15
	s_waitcnt vmcnt(0)
	global_load_dwordx2 v[2:3], v[0:1], off offset:16
	s_waitcnt vmcnt(0)
	v_cmp_eq_u64_e32 vcc_lo, 0, v[2:3]
	s_cbranch_vccnz .LBB7_1411
; %bb.1410:
	global_load_dword v0, v[0:1], off offset:24
	v_mov_b32_e32 v1, 0
	s_waitcnt vmcnt(0)
	v_and_b32_e32 v4, 0x7fffff, v0
	s_waitcnt_vscnt null, 0x0
	global_store_dwordx2 v[2:3], v[0:1], off
	v_readfirstlane_b32 m0, v4
	s_sendmsg sendmsg(MSG_INTERRUPT)
.LBB7_1411:
	s_or_b32 exec_lo, exec_lo, s5
	s_branch .LBB7_1415
	.p2align	6
.LBB7_1412:                             ;   in Loop: Header=BB7_1415 Depth=1
	s_or_b32 exec_lo, exec_lo, s5
	v_readfirstlane_b32 s5, v0
	s_cmp_eq_u32 s5, 0
	s_cbranch_scc1 .LBB7_1414
; %bb.1413:                             ;   in Loop: Header=BB7_1415 Depth=1
	s_sleep 1
	s_cbranch_execnz .LBB7_1415
	s_branch .LBB7_1417
	.p2align	6
.LBB7_1414:
	s_branch .LBB7_1417
.LBB7_1415:                             ; =>This Inner Loop Header: Depth=1
	v_mov_b32_e32 v0, 1
	s_and_saveexec_b32 s5, s4
	s_cbranch_execz .LBB7_1412
; %bb.1416:                             ;   in Loop: Header=BB7_1415 Depth=1
	global_load_dword v0, v[8:9], off offset:20 glc dlc
	s_waitcnt vmcnt(0)
	buffer_gl1_inv
	buffer_gl0_inv
	v_and_b32_e32 v0, 1, v0
	s_branch .LBB7_1412
.LBB7_1417:
	global_load_dwordx2 v[0:1], v[10:11], off
	s_and_saveexec_b32 s5, s4
	s_cbranch_execz .LBB7_1421
; %bb.1418:
	v_mov_b32_e32 v8, 0
	s_clause 0x2
	global_load_dwordx2 v[4:5], v8, s[6:7] offset:40
	global_load_dwordx2 v[9:10], v8, s[6:7] offset:24 glc dlc
	global_load_dwordx2 v[6:7], v8, s[6:7]
	s_waitcnt vmcnt(2)
	v_add_co_u32 v11, vcc_lo, v4, 1
	v_add_co_ci_u32_e32 v12, vcc_lo, 0, v5, vcc_lo
	v_add_co_u32 v2, vcc_lo, v11, s10
	v_add_co_ci_u32_e32 v3, vcc_lo, s11, v12, vcc_lo
	v_cmp_eq_u64_e32 vcc_lo, 0, v[2:3]
	v_cndmask_b32_e32 v3, v3, v12, vcc_lo
	v_cndmask_b32_e32 v2, v2, v11, vcc_lo
	v_and_b32_e32 v5, v3, v5
	v_and_b32_e32 v4, v2, v4
	v_mul_lo_u32 v5, v5, 24
	v_mul_hi_u32 v11, v4, 24
	v_mul_lo_u32 v4, v4, 24
	v_add_nc_u32_e32 v5, v11, v5
	s_waitcnt vmcnt(0)
	v_add_co_u32 v6, vcc_lo, v6, v4
	v_mov_b32_e32 v4, v9
	v_add_co_ci_u32_e32 v7, vcc_lo, v7, v5, vcc_lo
	v_mov_b32_e32 v5, v10
	global_store_dwordx2 v[6:7], v[9:10], off
	s_waitcnt_vscnt null, 0x0
	global_atomic_cmpswap_x2 v[4:5], v8, v[2:5], s[6:7] offset:24 glc
	s_waitcnt vmcnt(0)
	v_cmp_ne_u64_e32 vcc_lo, v[4:5], v[9:10]
	s_and_b32 exec_lo, exec_lo, vcc_lo
	s_cbranch_execz .LBB7_1421
; %bb.1419:
	s_mov_b32 s4, 0
.LBB7_1420:                             ; =>This Inner Loop Header: Depth=1
	s_sleep 1
	global_store_dwordx2 v[6:7], v[4:5], off
	s_waitcnt_vscnt null, 0x0
	global_atomic_cmpswap_x2 v[9:10], v8, v[2:5], s[6:7] offset:24 glc
	s_waitcnt vmcnt(0)
	v_cmp_eq_u64_e32 vcc_lo, v[9:10], v[4:5]
	v_mov_b32_e32 v4, v9
	v_mov_b32_e32 v5, v10
	s_or_b32 s4, vcc_lo, s4
	s_andn2_b32 exec_lo, exec_lo, s4
	s_cbranch_execnz .LBB7_1420
.LBB7_1421:
	s_or_b32 exec_lo, exec_lo, s5
.LBB7_1422:
	s_getpc_b64 s[10:11]
	s_add_u32 s10, s10, .str.2@rel32@lo+4
	s_addc_u32 s11, s11, .str.2@rel32@hi+12
	s_cmp_lg_u64 s[10:11], 0
	s_cbranch_scc0 .LBB7_1501
; %bb.1423:
	s_waitcnt vmcnt(0)
	v_and_b32_e32 v6, -3, v0
	v_mov_b32_e32 v7, v1
	v_mov_b32_e32 v3, 0
	;; [unrolled: 1-line block ×4, first 2 shown]
	s_mov_b64 s[16:17], 13
	s_branch .LBB7_1425
.LBB7_1424:                             ;   in Loop: Header=BB7_1425 Depth=1
	s_or_b32 exec_lo, exec_lo, s5
	s_sub_u32 s16, s16, s18
	s_subb_u32 s17, s17, s19
	s_add_u32 s10, s10, s18
	s_addc_u32 s11, s11, s19
	s_cmp_lg_u64 s[16:17], 0
	s_cbranch_scc0 .LBB7_1500
.LBB7_1425:                             ; =>This Loop Header: Depth=1
                                        ;     Child Loop BB7_1434 Depth 2
                                        ;     Child Loop BB7_1430 Depth 2
	;; [unrolled: 1-line block ×11, first 2 shown]
	v_cmp_lt_u64_e64 s4, s[16:17], 56
	v_cmp_gt_u64_e64 s5, s[16:17], 7
                                        ; implicit-def: $sgpr15
	s_and_b32 s4, s4, exec_lo
	s_cselect_b32 s19, s17, 0
	s_cselect_b32 s18, s16, 56
	s_and_b32 vcc_lo, exec_lo, s5
	s_mov_b32 s4, -1
	s_cbranch_vccz .LBB7_1432
; %bb.1426:                             ;   in Loop: Header=BB7_1425 Depth=1
	s_andn2_b32 vcc_lo, exec_lo, s4
	s_mov_b64 s[4:5], s[10:11]
	s_cbranch_vccz .LBB7_1436
.LBB7_1427:                             ;   in Loop: Header=BB7_1425 Depth=1
	s_cmp_gt_u32 s15, 7
	s_cbranch_scc1 .LBB7_1437
.LBB7_1428:                             ;   in Loop: Header=BB7_1425 Depth=1
	v_mov_b32_e32 v10, 0
	v_mov_b32_e32 v11, 0
	s_cmp_eq_u32 s15, 0
	s_cbranch_scc1 .LBB7_1431
; %bb.1429:                             ;   in Loop: Header=BB7_1425 Depth=1
	s_mov_b64 s[20:21], 0
	s_mov_b64 s[22:23], 0
.LBB7_1430:                             ;   Parent Loop BB7_1425 Depth=1
                                        ; =>  This Inner Loop Header: Depth=2
	s_add_u32 s24, s4, s22
	s_addc_u32 s25, s5, s23
	s_add_u32 s22, s22, 1
	global_load_ubyte v2, v3, s[24:25]
	s_addc_u32 s23, s23, 0
	s_waitcnt vmcnt(0)
	v_and_b32_e32 v2, 0xffff, v2
	v_lshlrev_b64 v[12:13], s20, v[2:3]
	s_add_u32 s20, s20, 8
	s_addc_u32 s21, s21, 0
	s_cmp_lg_u32 s15, s22
	v_or_b32_e32 v10, v12, v10
	v_or_b32_e32 v11, v13, v11
	s_cbranch_scc1 .LBB7_1430
.LBB7_1431:                             ;   in Loop: Header=BB7_1425 Depth=1
	s_mov_b32 s24, 0
	s_cbranch_execz .LBB7_1438
	s_branch .LBB7_1439
.LBB7_1432:                             ;   in Loop: Header=BB7_1425 Depth=1
	s_waitcnt vmcnt(0)
	v_mov_b32_e32 v8, 0
	v_mov_b32_e32 v9, 0
	s_cmp_eq_u64 s[16:17], 0
	s_mov_b64 s[4:5], 0
	s_cbranch_scc1 .LBB7_1435
; %bb.1433:                             ;   in Loop: Header=BB7_1425 Depth=1
	v_mov_b32_e32 v8, 0
	v_mov_b32_e32 v9, 0
	s_lshl_b64 s[20:21], s[18:19], 3
	s_mov_b64 s[22:23], s[10:11]
.LBB7_1434:                             ;   Parent Loop BB7_1425 Depth=1
                                        ; =>  This Inner Loop Header: Depth=2
	global_load_ubyte v2, v3, s[22:23]
	s_waitcnt vmcnt(0)
	v_and_b32_e32 v2, 0xffff, v2
	v_lshlrev_b64 v[10:11], s4, v[2:3]
	s_add_u32 s4, s4, 8
	s_addc_u32 s5, s5, 0
	s_add_u32 s22, s22, 1
	s_addc_u32 s23, s23, 0
	s_cmp_lg_u32 s20, s4
	v_or_b32_e32 v8, v10, v8
	v_or_b32_e32 v9, v11, v9
	s_cbranch_scc1 .LBB7_1434
.LBB7_1435:                             ;   in Loop: Header=BB7_1425 Depth=1
	s_mov_b32 s15, 0
	s_mov_b64 s[4:5], s[10:11]
	s_cbranch_execnz .LBB7_1427
.LBB7_1436:                             ;   in Loop: Header=BB7_1425 Depth=1
	global_load_dwordx2 v[8:9], v3, s[10:11]
	s_add_i32 s15, s18, -8
	s_add_u32 s4, s10, 8
	s_addc_u32 s5, s11, 0
	s_cmp_gt_u32 s15, 7
	s_cbranch_scc0 .LBB7_1428
.LBB7_1437:                             ;   in Loop: Header=BB7_1425 Depth=1
                                        ; implicit-def: $vgpr10_vgpr11
                                        ; implicit-def: $sgpr24
.LBB7_1438:                             ;   in Loop: Header=BB7_1425 Depth=1
	global_load_dwordx2 v[10:11], v3, s[4:5]
	s_add_i32 s24, s15, -8
	s_add_u32 s4, s4, 8
	s_addc_u32 s5, s5, 0
.LBB7_1439:                             ;   in Loop: Header=BB7_1425 Depth=1
	s_cmp_gt_u32 s24, 7
	s_cbranch_scc1 .LBB7_1444
; %bb.1440:                             ;   in Loop: Header=BB7_1425 Depth=1
	v_mov_b32_e32 v12, 0
	v_mov_b32_e32 v13, 0
	s_cmp_eq_u32 s24, 0
	s_cbranch_scc1 .LBB7_1443
; %bb.1441:                             ;   in Loop: Header=BB7_1425 Depth=1
	s_mov_b64 s[20:21], 0
	s_mov_b64 s[22:23], 0
.LBB7_1442:                             ;   Parent Loop BB7_1425 Depth=1
                                        ; =>  This Inner Loop Header: Depth=2
	s_add_u32 s26, s4, s22
	s_addc_u32 s27, s5, s23
	s_add_u32 s22, s22, 1
	global_load_ubyte v2, v3, s[26:27]
	s_addc_u32 s23, s23, 0
	s_waitcnt vmcnt(0)
	v_and_b32_e32 v2, 0xffff, v2
	v_lshlrev_b64 v[14:15], s20, v[2:3]
	s_add_u32 s20, s20, 8
	s_addc_u32 s21, s21, 0
	s_cmp_lg_u32 s24, s22
	v_or_b32_e32 v12, v14, v12
	v_or_b32_e32 v13, v15, v13
	s_cbranch_scc1 .LBB7_1442
.LBB7_1443:                             ;   in Loop: Header=BB7_1425 Depth=1
	s_mov_b32 s15, 0
	s_cbranch_execz .LBB7_1445
	s_branch .LBB7_1446
.LBB7_1444:                             ;   in Loop: Header=BB7_1425 Depth=1
                                        ; implicit-def: $sgpr15
.LBB7_1445:                             ;   in Loop: Header=BB7_1425 Depth=1
	global_load_dwordx2 v[12:13], v3, s[4:5]
	s_add_i32 s15, s24, -8
	s_add_u32 s4, s4, 8
	s_addc_u32 s5, s5, 0
.LBB7_1446:                             ;   in Loop: Header=BB7_1425 Depth=1
	s_cmp_gt_u32 s15, 7
	s_cbranch_scc1 .LBB7_1451
; %bb.1447:                             ;   in Loop: Header=BB7_1425 Depth=1
	v_mov_b32_e32 v14, 0
	v_mov_b32_e32 v15, 0
	s_cmp_eq_u32 s15, 0
	s_cbranch_scc1 .LBB7_1450
; %bb.1448:                             ;   in Loop: Header=BB7_1425 Depth=1
	s_mov_b64 s[20:21], 0
	s_mov_b64 s[22:23], 0
.LBB7_1449:                             ;   Parent Loop BB7_1425 Depth=1
                                        ; =>  This Inner Loop Header: Depth=2
	s_add_u32 s24, s4, s22
	s_addc_u32 s25, s5, s23
	s_add_u32 s22, s22, 1
	global_load_ubyte v2, v3, s[24:25]
	s_addc_u32 s23, s23, 0
	s_waitcnt vmcnt(0)
	v_and_b32_e32 v2, 0xffff, v2
	v_lshlrev_b64 v[16:17], s20, v[2:3]
	s_add_u32 s20, s20, 8
	s_addc_u32 s21, s21, 0
	s_cmp_lg_u32 s15, s22
	v_or_b32_e32 v14, v16, v14
	v_or_b32_e32 v15, v17, v15
	s_cbranch_scc1 .LBB7_1449
.LBB7_1450:                             ;   in Loop: Header=BB7_1425 Depth=1
	s_mov_b32 s24, 0
	s_cbranch_execz .LBB7_1452
	s_branch .LBB7_1453
.LBB7_1451:                             ;   in Loop: Header=BB7_1425 Depth=1
                                        ; implicit-def: $vgpr14_vgpr15
                                        ; implicit-def: $sgpr24
.LBB7_1452:                             ;   in Loop: Header=BB7_1425 Depth=1
	global_load_dwordx2 v[14:15], v3, s[4:5]
	s_add_i32 s24, s15, -8
	s_add_u32 s4, s4, 8
	s_addc_u32 s5, s5, 0
.LBB7_1453:                             ;   in Loop: Header=BB7_1425 Depth=1
	s_cmp_gt_u32 s24, 7
	s_cbranch_scc1 .LBB7_1458
; %bb.1454:                             ;   in Loop: Header=BB7_1425 Depth=1
	v_mov_b32_e32 v16, 0
	v_mov_b32_e32 v17, 0
	s_cmp_eq_u32 s24, 0
	s_cbranch_scc1 .LBB7_1457
; %bb.1455:                             ;   in Loop: Header=BB7_1425 Depth=1
	s_mov_b64 s[20:21], 0
	s_mov_b64 s[22:23], 0
.LBB7_1456:                             ;   Parent Loop BB7_1425 Depth=1
                                        ; =>  This Inner Loop Header: Depth=2
	s_add_u32 s26, s4, s22
	s_addc_u32 s27, s5, s23
	s_add_u32 s22, s22, 1
	global_load_ubyte v2, v3, s[26:27]
	s_addc_u32 s23, s23, 0
	s_waitcnt vmcnt(0)
	v_and_b32_e32 v2, 0xffff, v2
	v_lshlrev_b64 v[18:19], s20, v[2:3]
	s_add_u32 s20, s20, 8
	s_addc_u32 s21, s21, 0
	s_cmp_lg_u32 s24, s22
	v_or_b32_e32 v16, v18, v16
	v_or_b32_e32 v17, v19, v17
	s_cbranch_scc1 .LBB7_1456
.LBB7_1457:                             ;   in Loop: Header=BB7_1425 Depth=1
	s_mov_b32 s15, 0
	s_cbranch_execz .LBB7_1459
	s_branch .LBB7_1460
.LBB7_1458:                             ;   in Loop: Header=BB7_1425 Depth=1
                                        ; implicit-def: $sgpr15
.LBB7_1459:                             ;   in Loop: Header=BB7_1425 Depth=1
	global_load_dwordx2 v[16:17], v3, s[4:5]
	s_add_i32 s15, s24, -8
	s_add_u32 s4, s4, 8
	s_addc_u32 s5, s5, 0
.LBB7_1460:                             ;   in Loop: Header=BB7_1425 Depth=1
	s_cmp_gt_u32 s15, 7
	s_cbranch_scc1 .LBB7_1465
; %bb.1461:                             ;   in Loop: Header=BB7_1425 Depth=1
	v_mov_b32_e32 v18, 0
	v_mov_b32_e32 v19, 0
	s_cmp_eq_u32 s15, 0
	s_cbranch_scc1 .LBB7_1464
; %bb.1462:                             ;   in Loop: Header=BB7_1425 Depth=1
	s_mov_b64 s[20:21], 0
	s_mov_b64 s[22:23], 0
.LBB7_1463:                             ;   Parent Loop BB7_1425 Depth=1
                                        ; =>  This Inner Loop Header: Depth=2
	s_add_u32 s24, s4, s22
	s_addc_u32 s25, s5, s23
	s_add_u32 s22, s22, 1
	global_load_ubyte v2, v3, s[24:25]
	s_addc_u32 s23, s23, 0
	s_waitcnt vmcnt(0)
	v_and_b32_e32 v2, 0xffff, v2
	v_lshlrev_b64 v[20:21], s20, v[2:3]
	s_add_u32 s20, s20, 8
	s_addc_u32 s21, s21, 0
	s_cmp_lg_u32 s15, s22
	v_or_b32_e32 v18, v20, v18
	v_or_b32_e32 v19, v21, v19
	s_cbranch_scc1 .LBB7_1463
.LBB7_1464:                             ;   in Loop: Header=BB7_1425 Depth=1
	s_mov_b32 s24, 0
	s_cbranch_execz .LBB7_1466
	s_branch .LBB7_1467
.LBB7_1465:                             ;   in Loop: Header=BB7_1425 Depth=1
                                        ; implicit-def: $vgpr18_vgpr19
                                        ; implicit-def: $sgpr24
.LBB7_1466:                             ;   in Loop: Header=BB7_1425 Depth=1
	global_load_dwordx2 v[18:19], v3, s[4:5]
	s_add_i32 s24, s15, -8
	s_add_u32 s4, s4, 8
	s_addc_u32 s5, s5, 0
.LBB7_1467:                             ;   in Loop: Header=BB7_1425 Depth=1
	s_cmp_gt_u32 s24, 7
	s_cbranch_scc1 .LBB7_1472
; %bb.1468:                             ;   in Loop: Header=BB7_1425 Depth=1
	v_mov_b32_e32 v20, 0
	v_mov_b32_e32 v21, 0
	s_cmp_eq_u32 s24, 0
	s_cbranch_scc1 .LBB7_1471
; %bb.1469:                             ;   in Loop: Header=BB7_1425 Depth=1
	s_mov_b64 s[20:21], 0
	s_mov_b64 s[22:23], s[4:5]
.LBB7_1470:                             ;   Parent Loop BB7_1425 Depth=1
                                        ; =>  This Inner Loop Header: Depth=2
	global_load_ubyte v2, v3, s[22:23]
	s_add_i32 s24, s24, -1
	s_waitcnt vmcnt(0)
	v_and_b32_e32 v2, 0xffff, v2
	v_lshlrev_b64 v[22:23], s20, v[2:3]
	s_add_u32 s20, s20, 8
	s_addc_u32 s21, s21, 0
	s_add_u32 s22, s22, 1
	s_addc_u32 s23, s23, 0
	s_cmp_lg_u32 s24, 0
	v_or_b32_e32 v20, v22, v20
	v_or_b32_e32 v21, v23, v21
	s_cbranch_scc1 .LBB7_1470
.LBB7_1471:                             ;   in Loop: Header=BB7_1425 Depth=1
	s_cbranch_execz .LBB7_1473
	s_branch .LBB7_1474
.LBB7_1472:                             ;   in Loop: Header=BB7_1425 Depth=1
.LBB7_1473:                             ;   in Loop: Header=BB7_1425 Depth=1
	global_load_dwordx2 v[20:21], v3, s[4:5]
.LBB7_1474:                             ;   in Loop: Header=BB7_1425 Depth=1
	v_readfirstlane_b32 s4, v32
	v_mov_b32_e32 v26, 0
	v_mov_b32_e32 v27, 0
	v_cmp_eq_u32_e64 s4, s4, v32
	s_and_saveexec_b32 s5, s4
	s_cbranch_execz .LBB7_1480
; %bb.1475:                             ;   in Loop: Header=BB7_1425 Depth=1
	global_load_dwordx2 v[24:25], v3, s[6:7] offset:24 glc dlc
	s_waitcnt vmcnt(0)
	buffer_gl1_inv
	buffer_gl0_inv
	s_clause 0x1
	global_load_dwordx2 v[22:23], v3, s[6:7] offset:40
	global_load_dwordx2 v[26:27], v3, s[6:7]
	s_mov_b32 s15, exec_lo
	s_waitcnt vmcnt(1)
	v_and_b32_e32 v2, v23, v25
	v_and_b32_e32 v22, v22, v24
	v_mul_lo_u32 v2, v2, 24
	v_mul_hi_u32 v23, v22, 24
	v_mul_lo_u32 v22, v22, 24
	v_add_nc_u32_e32 v2, v23, v2
	s_waitcnt vmcnt(0)
	v_add_co_u32 v22, vcc_lo, v26, v22
	v_add_co_ci_u32_e32 v23, vcc_lo, v27, v2, vcc_lo
	global_load_dwordx2 v[22:23], v[22:23], off glc dlc
	s_waitcnt vmcnt(0)
	global_atomic_cmpswap_x2 v[26:27], v3, v[22:25], s[6:7] offset:24 glc
	s_waitcnt vmcnt(0)
	buffer_gl1_inv
	buffer_gl0_inv
	v_cmpx_ne_u64_e64 v[26:27], v[24:25]
	s_cbranch_execz .LBB7_1479
; %bb.1476:                             ;   in Loop: Header=BB7_1425 Depth=1
	s_mov_b32 s20, 0
	.p2align	6
.LBB7_1477:                             ;   Parent Loop BB7_1425 Depth=1
                                        ; =>  This Inner Loop Header: Depth=2
	s_sleep 1
	s_clause 0x1
	global_load_dwordx2 v[22:23], v3, s[6:7] offset:40
	global_load_dwordx2 v[28:29], v3, s[6:7]
	v_mov_b32_e32 v24, v26
	v_mov_b32_e32 v25, v27
	s_waitcnt vmcnt(1)
	v_and_b32_e32 v2, v22, v24
	v_and_b32_e32 v22, v23, v25
	s_waitcnt vmcnt(0)
	v_mad_u64_u32 v[26:27], null, v2, 24, v[28:29]
	v_mov_b32_e32 v2, v27
	v_mad_u64_u32 v[22:23], null, v22, 24, v[2:3]
	v_mov_b32_e32 v27, v22
	global_load_dwordx2 v[22:23], v[26:27], off glc dlc
	s_waitcnt vmcnt(0)
	global_atomic_cmpswap_x2 v[26:27], v3, v[22:25], s[6:7] offset:24 glc
	s_waitcnt vmcnt(0)
	buffer_gl1_inv
	buffer_gl0_inv
	v_cmp_eq_u64_e32 vcc_lo, v[26:27], v[24:25]
	s_or_b32 s20, vcc_lo, s20
	s_andn2_b32 exec_lo, exec_lo, s20
	s_cbranch_execnz .LBB7_1477
; %bb.1478:                             ;   in Loop: Header=BB7_1425 Depth=1
	s_or_b32 exec_lo, exec_lo, s20
.LBB7_1479:                             ;   in Loop: Header=BB7_1425 Depth=1
	s_or_b32 exec_lo, exec_lo, s15
.LBB7_1480:                             ;   in Loop: Header=BB7_1425 Depth=1
	s_or_b32 exec_lo, exec_lo, s5
	s_clause 0x1
	global_load_dwordx2 v[28:29], v3, s[6:7] offset:40
	global_load_dwordx4 v[22:25], v3, s[6:7]
	v_readfirstlane_b32 s20, v26
	v_readfirstlane_b32 s21, v27
	s_mov_b32 s5, exec_lo
	s_waitcnt vmcnt(1)
	v_readfirstlane_b32 s22, v28
	v_readfirstlane_b32 s23, v29
	s_and_b64 s[22:23], s[20:21], s[22:23]
	s_mul_i32 s15, s23, 24
	s_mul_hi_u32 s24, s22, 24
	s_mul_i32 s25, s22, 24
	s_add_i32 s24, s24, s15
	s_waitcnt vmcnt(0)
	v_add_co_u32 v26, vcc_lo, v22, s25
	v_add_co_ci_u32_e32 v27, vcc_lo, s24, v23, vcc_lo
	s_and_saveexec_b32 s15, s4
	s_cbranch_execz .LBB7_1482
; %bb.1481:                             ;   in Loop: Header=BB7_1425 Depth=1
	v_mov_b32_e32 v2, s5
	global_store_dwordx4 v[26:27], v[2:5], off offset:8
.LBB7_1482:                             ;   in Loop: Header=BB7_1425 Depth=1
	s_or_b32 exec_lo, exec_lo, s15
	s_lshl_b64 s[22:23], s[22:23], 12
	v_or_b32_e32 v2, 2, v6
	v_add_co_u32 v24, vcc_lo, v24, s22
	v_add_co_ci_u32_e32 v25, vcc_lo, s23, v25, vcc_lo
	v_cmp_gt_u64_e64 vcc_lo, s[16:17], 56
	s_lshl_b32 s5, s18, 2
	v_readfirstlane_b32 s22, v24
	s_add_i32 s5, s5, 28
	v_readfirstlane_b32 s23, v25
	s_and_b32 s5, s5, 0x1e0
	v_cndmask_b32_e32 v2, v2, v6, vcc_lo
	v_and_or_b32 v6, 0xffffff1f, v2, s5
	global_store_dwordx4 v31, v[10:13], s[22:23] offset:16
	global_store_dwordx4 v31, v[6:9], s[22:23]
	global_store_dwordx4 v31, v[14:17], s[22:23] offset:32
	global_store_dwordx4 v31, v[18:21], s[22:23] offset:48
	s_and_saveexec_b32 s5, s4
	s_cbranch_execz .LBB7_1490
; %bb.1483:                             ;   in Loop: Header=BB7_1425 Depth=1
	s_clause 0x1
	global_load_dwordx2 v[14:15], v3, s[6:7] offset:32 glc dlc
	global_load_dwordx2 v[6:7], v3, s[6:7] offset:40
	v_mov_b32_e32 v12, s20
	v_mov_b32_e32 v13, s21
	s_waitcnt vmcnt(0)
	v_readfirstlane_b32 s22, v6
	v_readfirstlane_b32 s23, v7
	s_and_b64 s[22:23], s[22:23], s[20:21]
	s_mul_i32 s15, s23, 24
	s_mul_hi_u32 s23, s22, 24
	s_mul_i32 s22, s22, 24
	s_add_i32 s23, s23, s15
	v_add_co_u32 v10, vcc_lo, v22, s22
	v_add_co_ci_u32_e32 v11, vcc_lo, s23, v23, vcc_lo
	s_mov_b32 s15, exec_lo
	global_store_dwordx2 v[10:11], v[14:15], off
	s_waitcnt_vscnt null, 0x0
	global_atomic_cmpswap_x2 v[8:9], v3, v[12:15], s[6:7] offset:32 glc
	s_waitcnt vmcnt(0)
	v_cmpx_ne_u64_e64 v[8:9], v[14:15]
	s_cbranch_execz .LBB7_1486
; %bb.1484:                             ;   in Loop: Header=BB7_1425 Depth=1
	s_mov_b32 s22, 0
.LBB7_1485:                             ;   Parent Loop BB7_1425 Depth=1
                                        ; =>  This Inner Loop Header: Depth=2
	v_mov_b32_e32 v6, s20
	v_mov_b32_e32 v7, s21
	s_sleep 1
	global_store_dwordx2 v[10:11], v[8:9], off
	s_waitcnt_vscnt null, 0x0
	global_atomic_cmpswap_x2 v[6:7], v3, v[6:9], s[6:7] offset:32 glc
	s_waitcnt vmcnt(0)
	v_cmp_eq_u64_e32 vcc_lo, v[6:7], v[8:9]
	v_mov_b32_e32 v9, v7
	v_mov_b32_e32 v8, v6
	s_or_b32 s22, vcc_lo, s22
	s_andn2_b32 exec_lo, exec_lo, s22
	s_cbranch_execnz .LBB7_1485
.LBB7_1486:                             ;   in Loop: Header=BB7_1425 Depth=1
	s_or_b32 exec_lo, exec_lo, s15
	global_load_dwordx2 v[6:7], v3, s[6:7] offset:16
	s_mov_b32 s22, exec_lo
	s_mov_b32 s15, exec_lo
	v_mbcnt_lo_u32_b32 v2, s22, 0
	v_cmpx_eq_u32_e32 0, v2
	s_cbranch_execz .LBB7_1488
; %bb.1487:                             ;   in Loop: Header=BB7_1425 Depth=1
	s_bcnt1_i32_b32 s22, s22
	v_mov_b32_e32 v2, s22
	s_waitcnt vmcnt(0)
	global_atomic_add_x2 v[6:7], v[2:3], off offset:8
.LBB7_1488:                             ;   in Loop: Header=BB7_1425 Depth=1
	s_or_b32 exec_lo, exec_lo, s15
	s_waitcnt vmcnt(0)
	global_load_dwordx2 v[8:9], v[6:7], off offset:16
	s_waitcnt vmcnt(0)
	v_cmp_eq_u64_e32 vcc_lo, 0, v[8:9]
	s_cbranch_vccnz .LBB7_1490
; %bb.1489:                             ;   in Loop: Header=BB7_1425 Depth=1
	global_load_dword v2, v[6:7], off offset:24
	s_waitcnt vmcnt(0)
	v_and_b32_e32 v6, 0x7fffff, v2
	s_waitcnt_vscnt null, 0x0
	global_store_dwordx2 v[8:9], v[2:3], off
	v_readfirstlane_b32 m0, v6
	s_sendmsg sendmsg(MSG_INTERRUPT)
.LBB7_1490:                             ;   in Loop: Header=BB7_1425 Depth=1
	s_or_b32 exec_lo, exec_lo, s5
	v_add_co_u32 v6, vcc_lo, v24, v31
	v_add_co_ci_u32_e32 v7, vcc_lo, 0, v25, vcc_lo
	s_branch .LBB7_1494
	.p2align	6
.LBB7_1491:                             ;   in Loop: Header=BB7_1494 Depth=2
	s_or_b32 exec_lo, exec_lo, s5
	v_readfirstlane_b32 s5, v2
	s_cmp_eq_u32 s5, 0
	s_cbranch_scc1 .LBB7_1493
; %bb.1492:                             ;   in Loop: Header=BB7_1494 Depth=2
	s_sleep 1
	s_cbranch_execnz .LBB7_1494
	s_branch .LBB7_1496
	.p2align	6
.LBB7_1493:                             ;   in Loop: Header=BB7_1425 Depth=1
	s_branch .LBB7_1496
.LBB7_1494:                             ;   Parent Loop BB7_1425 Depth=1
                                        ; =>  This Inner Loop Header: Depth=2
	v_mov_b32_e32 v2, 1
	s_and_saveexec_b32 s5, s4
	s_cbranch_execz .LBB7_1491
; %bb.1495:                             ;   in Loop: Header=BB7_1494 Depth=2
	global_load_dword v2, v[26:27], off offset:20 glc dlc
	s_waitcnt vmcnt(0)
	buffer_gl1_inv
	buffer_gl0_inv
	v_and_b32_e32 v2, 1, v2
	s_branch .LBB7_1491
.LBB7_1496:                             ;   in Loop: Header=BB7_1425 Depth=1
	global_load_dwordx4 v[6:9], v[6:7], off
	s_and_saveexec_b32 s5, s4
	s_cbranch_execz .LBB7_1424
; %bb.1497:                             ;   in Loop: Header=BB7_1425 Depth=1
	s_clause 0x2
	global_load_dwordx2 v[10:11], v3, s[6:7] offset:40
	global_load_dwordx2 v[14:15], v3, s[6:7] offset:24 glc dlc
	global_load_dwordx2 v[12:13], v3, s[6:7]
	s_waitcnt vmcnt(2)
	v_add_co_u32 v2, vcc_lo, v10, 1
	v_add_co_ci_u32_e32 v16, vcc_lo, 0, v11, vcc_lo
	v_add_co_u32 v8, vcc_lo, v2, s20
	v_add_co_ci_u32_e32 v9, vcc_lo, s21, v16, vcc_lo
	v_cmp_eq_u64_e32 vcc_lo, 0, v[8:9]
	v_cndmask_b32_e32 v9, v9, v16, vcc_lo
	v_cndmask_b32_e32 v8, v8, v2, vcc_lo
	v_and_b32_e32 v2, v9, v11
	v_and_b32_e32 v10, v8, v10
	v_mul_lo_u32 v2, v2, 24
	v_mul_hi_u32 v11, v10, 24
	v_mul_lo_u32 v10, v10, 24
	v_add_nc_u32_e32 v2, v11, v2
	s_waitcnt vmcnt(0)
	v_add_co_u32 v12, vcc_lo, v12, v10
	v_mov_b32_e32 v10, v14
	v_mov_b32_e32 v11, v15
	v_add_co_ci_u32_e32 v13, vcc_lo, v13, v2, vcc_lo
	global_store_dwordx2 v[12:13], v[14:15], off
	s_waitcnt_vscnt null, 0x0
	global_atomic_cmpswap_x2 v[10:11], v3, v[8:11], s[6:7] offset:24 glc
	s_waitcnt vmcnt(0)
	v_cmp_ne_u64_e32 vcc_lo, v[10:11], v[14:15]
	s_and_b32 exec_lo, exec_lo, vcc_lo
	s_cbranch_execz .LBB7_1424
; %bb.1498:                             ;   in Loop: Header=BB7_1425 Depth=1
	s_mov_b32 s4, 0
.LBB7_1499:                             ;   Parent Loop BB7_1425 Depth=1
                                        ; =>  This Inner Loop Header: Depth=2
	s_sleep 1
	global_store_dwordx2 v[12:13], v[10:11], off
	s_waitcnt_vscnt null, 0x0
	global_atomic_cmpswap_x2 v[14:15], v3, v[8:11], s[6:7] offset:24 glc
	s_waitcnt vmcnt(0)
	v_cmp_eq_u64_e32 vcc_lo, v[14:15], v[10:11]
	v_mov_b32_e32 v10, v14
	v_mov_b32_e32 v11, v15
	s_or_b32 s4, vcc_lo, s4
	s_andn2_b32 exec_lo, exec_lo, s4
	s_cbranch_execnz .LBB7_1499
	s_branch .LBB7_1424
.LBB7_1500:
	s_mov_b32 s4, 0
	s_branch .LBB7_1502
.LBB7_1501:
	s_mov_b32 s4, -1
.LBB7_1502:
	s_mov_b32 s41, s12
	s_mov_b32 s42, s13
	;; [unrolled: 1-line block ×3, first 2 shown]
	s_and_b32 vcc_lo, exec_lo, s4
	s_cbranch_vccz .LBB7_1530
; %bb.1503:
	v_readfirstlane_b32 s4, v32
	s_waitcnt vmcnt(0)
	v_mov_b32_e32 v8, 0
	v_mov_b32_e32 v9, 0
	v_cmp_eq_u32_e64 s4, s4, v32
	s_and_saveexec_b32 s5, s4
	s_cbranch_execz .LBB7_1509
; %bb.1504:
	v_mov_b32_e32 v2, 0
	s_mov_b32 s10, exec_lo
	global_load_dwordx2 v[5:6], v2, s[6:7] offset:24 glc dlc
	s_waitcnt vmcnt(0)
	buffer_gl1_inv
	buffer_gl0_inv
	s_clause 0x1
	global_load_dwordx2 v[3:4], v2, s[6:7] offset:40
	global_load_dwordx2 v[7:8], v2, s[6:7]
	s_waitcnt vmcnt(1)
	v_and_b32_e32 v4, v4, v6
	v_and_b32_e32 v3, v3, v5
	v_mul_lo_u32 v4, v4, 24
	v_mul_hi_u32 v9, v3, 24
	v_mul_lo_u32 v3, v3, 24
	v_add_nc_u32_e32 v4, v9, v4
	s_waitcnt vmcnt(0)
	v_add_co_u32 v3, vcc_lo, v7, v3
	v_add_co_ci_u32_e32 v4, vcc_lo, v8, v4, vcc_lo
	global_load_dwordx2 v[3:4], v[3:4], off glc dlc
	s_waitcnt vmcnt(0)
	global_atomic_cmpswap_x2 v[8:9], v2, v[3:6], s[6:7] offset:24 glc
	s_waitcnt vmcnt(0)
	buffer_gl1_inv
	buffer_gl0_inv
	v_cmpx_ne_u64_e64 v[8:9], v[5:6]
	s_cbranch_execz .LBB7_1508
; %bb.1505:
	s_mov_b32 s11, 0
	.p2align	6
.LBB7_1506:                             ; =>This Inner Loop Header: Depth=1
	s_sleep 1
	s_clause 0x1
	global_load_dwordx2 v[3:4], v2, s[6:7] offset:40
	global_load_dwordx2 v[10:11], v2, s[6:7]
	v_mov_b32_e32 v5, v8
	v_mov_b32_e32 v6, v9
	s_waitcnt vmcnt(1)
	v_and_b32_e32 v3, v3, v5
	v_and_b32_e32 v4, v4, v6
	s_waitcnt vmcnt(0)
	v_mad_u64_u32 v[7:8], null, v3, 24, v[10:11]
	v_mov_b32_e32 v3, v8
	v_mad_u64_u32 v[3:4], null, v4, 24, v[3:4]
	v_mov_b32_e32 v8, v3
	global_load_dwordx2 v[3:4], v[7:8], off glc dlc
	s_waitcnt vmcnt(0)
	global_atomic_cmpswap_x2 v[8:9], v2, v[3:6], s[6:7] offset:24 glc
	s_waitcnt vmcnt(0)
	buffer_gl1_inv
	buffer_gl0_inv
	v_cmp_eq_u64_e32 vcc_lo, v[8:9], v[5:6]
	s_or_b32 s11, vcc_lo, s11
	s_andn2_b32 exec_lo, exec_lo, s11
	s_cbranch_execnz .LBB7_1506
; %bb.1507:
	s_or_b32 exec_lo, exec_lo, s11
.LBB7_1508:
	s_or_b32 exec_lo, exec_lo, s10
.LBB7_1509:
	s_or_b32 exec_lo, exec_lo, s5
	v_mov_b32_e32 v2, 0
	v_readfirstlane_b32 s10, v8
	v_readfirstlane_b32 s11, v9
	s_mov_b32 s5, exec_lo
	s_clause 0x1
	global_load_dwordx2 v[10:11], v2, s[6:7] offset:40
	global_load_dwordx4 v[4:7], v2, s[6:7]
	s_waitcnt vmcnt(1)
	v_readfirstlane_b32 s12, v10
	v_readfirstlane_b32 s13, v11
	s_and_b64 s[12:13], s[10:11], s[12:13]
	s_mul_i32 s14, s13, 24
	s_mul_hi_u32 s15, s12, 24
	s_mul_i32 s16, s12, 24
	s_add_i32 s15, s15, s14
	s_waitcnt vmcnt(0)
	v_add_co_u32 v8, vcc_lo, v4, s16
	v_add_co_ci_u32_e32 v9, vcc_lo, s15, v5, vcc_lo
	s_and_saveexec_b32 s14, s4
	s_cbranch_execz .LBB7_1511
; %bb.1510:
	v_mov_b32_e32 v10, s5
	v_mov_b32_e32 v11, v2
	;; [unrolled: 1-line block ×4, first 2 shown]
	global_store_dwordx4 v[8:9], v[10:13], off offset:8
.LBB7_1511:
	s_or_b32 exec_lo, exec_lo, s14
	s_lshl_b64 s[12:13], s[12:13], 12
	v_and_or_b32 v0, 0xffffff1d, v0, 34
	v_add_co_u32 v6, vcc_lo, v6, s12
	v_add_co_ci_u32_e32 v7, vcc_lo, s13, v7, vcc_lo
	s_mov_b32 s12, 0
	v_mov_b32_e32 v3, v2
	s_mov_b32 s13, s12
	s_mov_b32 s14, s12
	s_mov_b32 s15, s12
	v_readfirstlane_b32 s16, v6
	v_readfirstlane_b32 s17, v7
	v_mov_b32_e32 v10, s12
	v_mov_b32_e32 v11, s13
	v_mov_b32_e32 v12, s14
	v_mov_b32_e32 v13, s15
	global_store_dwordx4 v31, v[0:3], s[16:17]
	global_store_dwordx4 v31, v[10:13], s[16:17] offset:16
	global_store_dwordx4 v31, v[10:13], s[16:17] offset:32
	;; [unrolled: 1-line block ×3, first 2 shown]
	s_and_saveexec_b32 s5, s4
	s_cbranch_execz .LBB7_1519
; %bb.1512:
	v_mov_b32_e32 v6, 0
	v_mov_b32_e32 v10, s10
	;; [unrolled: 1-line block ×3, first 2 shown]
	s_clause 0x1
	global_load_dwordx2 v[12:13], v6, s[6:7] offset:32 glc dlc
	global_load_dwordx2 v[0:1], v6, s[6:7] offset:40
	s_waitcnt vmcnt(0)
	v_readfirstlane_b32 s12, v0
	v_readfirstlane_b32 s13, v1
	s_and_b64 s[12:13], s[12:13], s[10:11]
	s_mul_i32 s13, s13, 24
	s_mul_hi_u32 s14, s12, 24
	s_mul_i32 s12, s12, 24
	s_add_i32 s14, s14, s13
	v_add_co_u32 v4, vcc_lo, v4, s12
	v_add_co_ci_u32_e32 v5, vcc_lo, s14, v5, vcc_lo
	s_mov_b32 s12, exec_lo
	global_store_dwordx2 v[4:5], v[12:13], off
	s_waitcnt_vscnt null, 0x0
	global_atomic_cmpswap_x2 v[2:3], v6, v[10:13], s[6:7] offset:32 glc
	s_waitcnt vmcnt(0)
	v_cmpx_ne_u64_e64 v[2:3], v[12:13]
	s_cbranch_execz .LBB7_1515
; %bb.1513:
	s_mov_b32 s13, 0
.LBB7_1514:                             ; =>This Inner Loop Header: Depth=1
	v_mov_b32_e32 v0, s10
	v_mov_b32_e32 v1, s11
	s_sleep 1
	global_store_dwordx2 v[4:5], v[2:3], off
	s_waitcnt_vscnt null, 0x0
	global_atomic_cmpswap_x2 v[0:1], v6, v[0:3], s[6:7] offset:32 glc
	s_waitcnt vmcnt(0)
	v_cmp_eq_u64_e32 vcc_lo, v[0:1], v[2:3]
	v_mov_b32_e32 v3, v1
	v_mov_b32_e32 v2, v0
	s_or_b32 s13, vcc_lo, s13
	s_andn2_b32 exec_lo, exec_lo, s13
	s_cbranch_execnz .LBB7_1514
.LBB7_1515:
	s_or_b32 exec_lo, exec_lo, s12
	v_mov_b32_e32 v3, 0
	s_mov_b32 s13, exec_lo
	s_mov_b32 s12, exec_lo
	v_mbcnt_lo_u32_b32 v2, s13, 0
	global_load_dwordx2 v[0:1], v3, s[6:7] offset:16
	v_cmpx_eq_u32_e32 0, v2
	s_cbranch_execz .LBB7_1517
; %bb.1516:
	s_bcnt1_i32_b32 s13, s13
	v_mov_b32_e32 v2, s13
	s_waitcnt vmcnt(0)
	global_atomic_add_x2 v[0:1], v[2:3], off offset:8
.LBB7_1517:
	s_or_b32 exec_lo, exec_lo, s12
	s_waitcnt vmcnt(0)
	global_load_dwordx2 v[2:3], v[0:1], off offset:16
	s_waitcnt vmcnt(0)
	v_cmp_eq_u64_e32 vcc_lo, 0, v[2:3]
	s_cbranch_vccnz .LBB7_1519
; %bb.1518:
	global_load_dword v0, v[0:1], off offset:24
	v_mov_b32_e32 v1, 0
	s_waitcnt vmcnt(0)
	v_and_b32_e32 v4, 0x7fffff, v0
	s_waitcnt_vscnt null, 0x0
	global_store_dwordx2 v[2:3], v[0:1], off
	v_readfirstlane_b32 m0, v4
	s_sendmsg sendmsg(MSG_INTERRUPT)
.LBB7_1519:
	s_or_b32 exec_lo, exec_lo, s5
	s_branch .LBB7_1523
	.p2align	6
.LBB7_1520:                             ;   in Loop: Header=BB7_1523 Depth=1
	s_or_b32 exec_lo, exec_lo, s5
	v_readfirstlane_b32 s5, v0
	s_cmp_eq_u32 s5, 0
	s_cbranch_scc1 .LBB7_1522
; %bb.1521:                             ;   in Loop: Header=BB7_1523 Depth=1
	s_sleep 1
	s_cbranch_execnz .LBB7_1523
	s_branch .LBB7_1525
	.p2align	6
.LBB7_1522:
	s_branch .LBB7_1525
.LBB7_1523:                             ; =>This Inner Loop Header: Depth=1
	v_mov_b32_e32 v0, 1
	s_and_saveexec_b32 s5, s4
	s_cbranch_execz .LBB7_1520
; %bb.1524:                             ;   in Loop: Header=BB7_1523 Depth=1
	global_load_dword v0, v[8:9], off offset:20 glc dlc
	s_waitcnt vmcnt(0)
	buffer_gl1_inv
	buffer_gl0_inv
	v_and_b32_e32 v0, 1, v0
	s_branch .LBB7_1520
.LBB7_1525:
	s_and_saveexec_b32 s5, s4
	s_cbranch_execz .LBB7_1529
; %bb.1526:
	v_mov_b32_e32 v6, 0
	s_clause 0x2
	global_load_dwordx2 v[2:3], v6, s[6:7] offset:40
	global_load_dwordx2 v[7:8], v6, s[6:7] offset:24 glc dlc
	global_load_dwordx2 v[4:5], v6, s[6:7]
	s_waitcnt vmcnt(2)
	v_add_co_u32 v9, vcc_lo, v2, 1
	v_add_co_ci_u32_e32 v10, vcc_lo, 0, v3, vcc_lo
	v_add_co_u32 v0, vcc_lo, v9, s10
	v_add_co_ci_u32_e32 v1, vcc_lo, s11, v10, vcc_lo
	v_cmp_eq_u64_e32 vcc_lo, 0, v[0:1]
	v_cndmask_b32_e32 v1, v1, v10, vcc_lo
	v_cndmask_b32_e32 v0, v0, v9, vcc_lo
	v_and_b32_e32 v3, v1, v3
	v_and_b32_e32 v2, v0, v2
	v_mul_lo_u32 v3, v3, 24
	v_mul_hi_u32 v9, v2, 24
	v_mul_lo_u32 v2, v2, 24
	v_add_nc_u32_e32 v3, v9, v3
	s_waitcnt vmcnt(0)
	v_add_co_u32 v4, vcc_lo, v4, v2
	v_mov_b32_e32 v2, v7
	v_add_co_ci_u32_e32 v5, vcc_lo, v5, v3, vcc_lo
	v_mov_b32_e32 v3, v8
	global_store_dwordx2 v[4:5], v[7:8], off
	s_waitcnt_vscnt null, 0x0
	global_atomic_cmpswap_x2 v[2:3], v6, v[0:3], s[6:7] offset:24 glc
	s_waitcnt vmcnt(0)
	v_cmp_ne_u64_e32 vcc_lo, v[2:3], v[7:8]
	s_and_b32 exec_lo, exec_lo, vcc_lo
	s_cbranch_execz .LBB7_1529
; %bb.1527:
	s_mov_b32 s4, 0
.LBB7_1528:                             ; =>This Inner Loop Header: Depth=1
	s_sleep 1
	global_store_dwordx2 v[4:5], v[2:3], off
	s_waitcnt_vscnt null, 0x0
	global_atomic_cmpswap_x2 v[7:8], v6, v[0:3], s[6:7] offset:24 glc
	s_waitcnt vmcnt(0)
	v_cmp_eq_u64_e32 vcc_lo, v[7:8], v[2:3]
	v_mov_b32_e32 v2, v7
	v_mov_b32_e32 v3, v8
	s_or_b32 s4, vcc_lo, s4
	s_andn2_b32 exec_lo, exec_lo, s4
	s_cbranch_execnz .LBB7_1528
.LBB7_1529:
	s_or_b32 exec_lo, exec_lo, s5
.LBB7_1530:
	s_getpc_b64 s[4:5]
	s_add_u32 s4, s4, .str@rel32@lo+4
	s_addc_u32 s5, s5, .str@rel32@hi+12
	s_waitcnt vmcnt(0)
	v_mov_b32_e32 v0, s4
	v_mov_b32_e32 v1, s5
	s_mov_b64 s[22:23], src_private_base
	s_getpc_b64 s[44:45]
	s_add_u32 s44, s44, _ZNK8migraphx13basic_printerIZNS_4coutEvEUlT_E_ElsEPKc@rel32@lo+4
	s_addc_u32 s45, s45, _ZNK8migraphx13basic_printerIZNS_4coutEvEUlT_E_ElsEPKc@rel32@hi+12
	s_mov_b64 s[38:39], s[8:9]
	s_swappc_b64 s[30:31], s[44:45]
	s_getpc_b64 s[4:5]
	s_add_u32 s4, s4, .str.3@rel32@lo+4
	s_addc_u32 s5, s5, .str.3@rel32@hi+12
	v_mov_b32_e32 v0, s4
	v_mov_b32_e32 v1, s5
	s_mov_b64 s[8:9], s[38:39]
	s_swappc_b64 s[30:31], s[44:45]
	v_lshrrev_b32_e64 v0, 5, s33
	v_mov_b32_e32 v1, s23
	s_mov_b64 s[8:9], s[38:39]
	s_getpc_b64 s[4:5]
	s_add_u32 s4, s4, _ZN8migraphx4testlsIKNS_13basic_printerIZNS_4coutEvEUlT_E_EEEERS3_S7_RKNS0_10expressionINS0_14lhs_expressionIRNS_5arrayIiLj8EEENS0_3nopEEESC_NS0_5equalEEE@rel32@lo+4
	s_addc_u32 s5, s5, _ZN8migraphx4testlsIKNS_13basic_printerIZNS_4coutEvEUlT_E_EEEERS3_S7_RKNS0_10expressionINS0_14lhs_expressionIRNS_5arrayIiLj8EEENS0_3nopEEESC_NS0_5equalEEE@rel32@hi+12
	v_add_nc_u32_e32 v0, 0x60, v0
	s_swappc_b64 s[30:31], s[4:5]
	s_getpc_b64 s[4:5]
	s_add_u32 s4, s4, .str.4@rel32@lo+4
	s_addc_u32 s5, s5, .str.4@rel32@hi+12
	v_mov_b32_e32 v0, s4
	v_mov_b32_e32 v1, s5
	s_mov_b64 s[8:9], s[38:39]
	s_swappc_b64 s[30:31], s[44:45]
	v_mov_b32_e32 v0, 10
	s_mov_b64 s[8:9], s[38:39]
	s_getpc_b64 s[4:5]
	s_add_u32 s4, s4, _ZNK8migraphx13basic_printerIZNS_4coutEvEUlT_E_ElsEc@rel32@lo+4
	s_addc_u32 s5, s5, _ZNK8migraphx13basic_printerIZNS_4coutEvEUlT_E_ElsEc@rel32@hi+12
	s_swappc_b64 s[30:31], s[4:5]
	flat_load_dwordx2 v[0:1], v[66:67]
	s_mov_b64 s[8:9], s[38:39]
	s_mov_b32 s14, s43
	s_mov_b32 s13, s42
	s_mov_b32 s12, s41
	s_waitcnt vmcnt(0) lgkmcnt(0)
	flat_load_dword v2, v[0:1]
	s_waitcnt vmcnt(0) lgkmcnt(0)
	v_add_nc_u32_e32 v2, 1, v2
	flat_store_dword v[0:1], v2
.LBB7_1531:
	s_or_b32 exec_lo, exec_lo, s40
	s_getpc_b64 s[4:5]
	s_add_u32 s4, s4, _ZN8migraphx4test4failEv@rel32@lo+4
	s_addc_u32 s5, s5, _ZN8migraphx4test4failEv@rel32@hi+12
	s_swappc_b64 s[30:31], s[4:5]
	; divergent unreachable
.LBB7_1532:
	s_andn2_saveexec_b32 s4, s37
	s_or_b32 exec_lo, exec_lo, s4
	v_readlane_b32 s30, v41, 0
	v_readlane_b32 s31, v41, 1
	;; [unrolled: 1-line block ×3, first 2 shown]
	s_or_saveexec_b32 s5, -1
	buffer_load_dword v41, off, s[0:3], s33 offset:112 ; 4-byte Folded Reload
	s_mov_b32 exec_lo, s5
	s_addk_i32 s32, 0xf000
	s_mov_b32 s33, s4
	s_waitcnt vmcnt(0)
	s_setpc_b64 s[30:31]
.Lfunc_end7:
	.size	_ZL21merge_many_duplicatesRN8migraphx4test12test_managerE, .Lfunc_end7-_ZL21merge_many_duplicatesRN8migraphx4test12test_managerE
                                        ; -- End function
	.section	.AMDGPU.csdata,"",@progbits
; Function info:
; codeLenInByte = 55584
; NumSgprs: 48
; NumVgprs: 68
; ScratchSize: 144
; MemoryBound: 0
	.text
	.p2align	2                               ; -- Begin function _ZN8migraphx4testlsIKNS_13basic_printerIZNS_4coutEvEUlT_E_EEEERS3_S7_RKNS0_10expressionINS0_14lhs_expressionIRNS_5arrayIiLj5EEENS0_3nopEEESC_NS0_5equalEEE
	.type	_ZN8migraphx4testlsIKNS_13basic_printerIZNS_4coutEvEUlT_E_EEEERS3_S7_RKNS0_10expressionINS0_14lhs_expressionIRNS_5arrayIiLj5EEENS0_3nopEEESC_NS0_5equalEEE,@function
_ZN8migraphx4testlsIKNS_13basic_printerIZNS_4coutEvEUlT_E_EEEERS3_S7_RKNS0_10expressionINS0_14lhs_expressionIRNS_5arrayIiLj5EEENS0_3nopEEESC_NS0_5equalEEE: ; @_ZN8migraphx4testlsIKNS_13basic_printerIZNS_4coutEvEUlT_E_EEEERS3_S7_RKNS0_10expressionINS0_14lhs_expressionIRNS_5arrayIiLj5EEENS0_3nopEEESC_NS0_5equalEEE
; %bb.0:
	s_waitcnt vmcnt(0) expcnt(0) lgkmcnt(0)
	s_mov_b32 s4, s33
	s_mov_b32 s33, s32
	s_or_saveexec_b32 s5, -1
	buffer_store_dword v40, off, s[0:3], s33 ; 4-byte Folded Spill
	s_mov_b32 exec_lo, s5
	v_writelane_b32 v40, s4, 2
	v_writelane_b32 v40, s30, 0
	s_addk_i32 s32, 0x200
	v_writelane_b32 v40, s31, 1
	v_mov_b32_e32 v37, v1
	v_mov_b32_e32 v36, v0
	v_mbcnt_lo_u32_b32 v64, -1, 0
	v_mov_b32_e32 v49, 0
	s_getpc_b64 s[4:5]
	s_add_u32 s4, s4, .str.7@rel32@lo+4
	s_addc_u32 s5, s5, .str.7@rel32@hi+12
	v_mov_b32_e32 v50, 2
	flat_load_dwordx2 v[38:39], v[36:37]
	v_mov_b32_e32 v51, 1
	v_lshlrev_b32_e32 v65, 6, v64
	v_mov_b32_e32 v52, 33
	v_mov_b32_e32 v53, v49
	v_mov_b32_e32 v54, v49
	v_mov_b32_e32 v55, v49
	s_cmp_lg_u64 s[4:5], 0
	s_mov_b32 s35, 0
	s_mov_b64 s[22:23], s[8:9]
	s_cselect_b32 s36, -1, 0
	s_mov_b32 s24, s35
	s_mov_b32 s25, s35
	;; [unrolled: 1-line block ×5, first 2 shown]
	s_branch .LBB8_2
.LBB8_1:                                ;   in Loop: Header=BB8_2 Depth=1
	s_or_b32 exec_lo, exec_lo, s5
	s_add_i32 s34, s34, 1
	s_cmp_lg_u32 s34, 5
	s_cbranch_scc0 .LBB8_163
.LBB8_2:                                ; =>This Loop Header: Depth=1
                                        ;     Child Loop BB8_7 Depth 2
                                        ;     Child Loop BB8_15 Depth 2
	;; [unrolled: 1-line block ×9, first 2 shown]
                                        ;       Child Loop BB8_36 Depth 3
                                        ;       Child Loop BB8_43 Depth 3
	;; [unrolled: 1-line block ×11, first 2 shown]
                                        ;     Child Loop BB8_140 Depth 2
                                        ;     Child Loop BB8_148 Depth 2
	;; [unrolled: 1-line block ×4, first 2 shown]
	s_cmp_eq_u32 s34, 0
	s_cbranch_scc1 .LBB8_4
; %bb.3:                                ;   in Loop: Header=BB8_2 Depth=1
	s_getpc_b64 s[4:5]
	s_add_u32 s4, s4, .str.11@rel32@lo+4
	s_addc_u32 s5, s5, .str.11@rel32@hi+12
	v_mov_b32_e32 v0, s4
	v_mov_b32_e32 v1, s5
	s_mov_b64 s[8:9], s[22:23]
	s_getpc_b64 s[6:7]
	s_add_u32 s6, s6, _ZNK8migraphx13basic_printerIZNS_4coutEvEUlT_E_ElsEPKc@rel32@lo+4
	s_addc_u32 s7, s7, _ZNK8migraphx13basic_printerIZNS_4coutEvEUlT_E_ElsEPKc@rel32@hi+12
	s_swappc_b64 s[30:31], s[6:7]
.LBB8_4:                                ;   in Loop: Header=BB8_2 Depth=1
	s_lshl_b64 s[4:5], s[34:35], 2
	s_load_dwordx2 s[28:29], s[22:23], 0x50
	s_waitcnt vmcnt(0) lgkmcnt(0)
	v_add_co_u32 v0, vcc_lo, v38, s4
	v_add_co_ci_u32_e32 v1, vcc_lo, s5, v39, vcc_lo
	v_readfirstlane_b32 s4, v64
	v_mov_b32_e32 v4, 0
	v_mov_b32_e32 v5, 0
	flat_load_dword v24, v[0:1]
	v_cmp_eq_u32_e64 s4, s4, v64
	s_and_saveexec_b32 s5, s4
	s_cbranch_execz .LBB8_10
; %bb.5:                                ;   in Loop: Header=BB8_2 Depth=1
	global_load_dwordx2 v[2:3], v49, s[28:29] offset:24 glc dlc
	s_waitcnt vmcnt(0)
	buffer_gl1_inv
	buffer_gl0_inv
	s_clause 0x1
	global_load_dwordx2 v[0:1], v49, s[28:29] offset:40
	global_load_dwordx2 v[4:5], v49, s[28:29]
	s_mov_b32 s6, exec_lo
	s_waitcnt vmcnt(1)
	v_and_b32_e32 v1, v1, v3
	v_and_b32_e32 v0, v0, v2
	v_mul_lo_u32 v1, v1, 24
	v_mul_hi_u32 v6, v0, 24
	v_mul_lo_u32 v0, v0, 24
	v_add_nc_u32_e32 v1, v6, v1
	s_waitcnt vmcnt(0)
	v_add_co_u32 v0, vcc_lo, v4, v0
	v_add_co_ci_u32_e32 v1, vcc_lo, v5, v1, vcc_lo
	global_load_dwordx2 v[0:1], v[0:1], off glc dlc
	s_waitcnt vmcnt(0)
	global_atomic_cmpswap_x2 v[4:5], v49, v[0:3], s[28:29] offset:24 glc
	s_waitcnt vmcnt(0)
	buffer_gl1_inv
	buffer_gl0_inv
	v_cmpx_ne_u64_e64 v[4:5], v[2:3]
	s_cbranch_execz .LBB8_9
; %bb.6:                                ;   in Loop: Header=BB8_2 Depth=1
	s_mov_b32 s7, 0
	.p2align	6
.LBB8_7:                                ;   Parent Loop BB8_2 Depth=1
                                        ; =>  This Inner Loop Header: Depth=2
	s_sleep 1
	s_clause 0x1
	global_load_dwordx2 v[0:1], v49, s[28:29] offset:40
	global_load_dwordx2 v[6:7], v49, s[28:29]
	v_mov_b32_e32 v2, v4
	v_mov_b32_e32 v3, v5
	s_waitcnt vmcnt(1)
	v_and_b32_e32 v0, v0, v2
	v_and_b32_e32 v1, v1, v3
	s_waitcnt vmcnt(0)
	v_mad_u64_u32 v[4:5], null, v0, 24, v[6:7]
	v_mov_b32_e32 v0, v5
	v_mad_u64_u32 v[0:1], null, v1, 24, v[0:1]
	v_mov_b32_e32 v5, v0
	global_load_dwordx2 v[0:1], v[4:5], off glc dlc
	s_waitcnt vmcnt(0)
	global_atomic_cmpswap_x2 v[4:5], v49, v[0:3], s[28:29] offset:24 glc
	s_waitcnt vmcnt(0)
	buffer_gl1_inv
	buffer_gl0_inv
	v_cmp_eq_u64_e32 vcc_lo, v[4:5], v[2:3]
	s_or_b32 s7, vcc_lo, s7
	s_andn2_b32 exec_lo, exec_lo, s7
	s_cbranch_execnz .LBB8_7
; %bb.8:                                ;   in Loop: Header=BB8_2 Depth=1
	s_or_b32 exec_lo, exec_lo, s7
.LBB8_9:                                ;   in Loop: Header=BB8_2 Depth=1
	s_or_b32 exec_lo, exec_lo, s6
.LBB8_10:                               ;   in Loop: Header=BB8_2 Depth=1
	s_or_b32 exec_lo, exec_lo, s5
	s_clause 0x1
	global_load_dwordx2 v[6:7], v49, s[28:29] offset:40
	global_load_dwordx4 v[0:3], v49, s[28:29]
	v_readfirstlane_b32 s6, v4
	v_readfirstlane_b32 s7, v5
	s_mov_b32 s5, exec_lo
	s_waitcnt vmcnt(1)
	v_readfirstlane_b32 s8, v6
	v_readfirstlane_b32 s9, v7
	s_and_b64 s[8:9], s[6:7], s[8:9]
	s_mul_i32 s10, s9, 24
	s_mul_hi_u32 s11, s8, 24
	s_mul_i32 s12, s8, 24
	s_add_i32 s11, s11, s10
	s_waitcnt vmcnt(0)
	v_add_co_u32 v4, vcc_lo, v0, s12
	v_add_co_ci_u32_e32 v5, vcc_lo, s11, v1, vcc_lo
	s_and_saveexec_b32 s10, s4
	s_cbranch_execz .LBB8_12
; %bb.11:                               ;   in Loop: Header=BB8_2 Depth=1
	v_mov_b32_e32 v48, s5
	global_store_dwordx4 v[4:5], v[48:51], off offset:8
.LBB8_12:                               ;   in Loop: Header=BB8_2 Depth=1
	s_or_b32 exec_lo, exec_lo, s10
	s_lshl_b64 s[8:9], s[8:9], 12
	v_mov_b32_e32 v10, s24
	v_add_co_u32 v8, vcc_lo, v2, s8
	v_add_co_ci_u32_e32 v9, vcc_lo, s9, v3, vcc_lo
	v_mov_b32_e32 v11, s25
	v_readfirstlane_b32 s8, v8
	v_mov_b32_e32 v12, s26
	v_readfirstlane_b32 s9, v9
	v_mov_b32_e32 v13, s27
	global_store_dwordx4 v65, v[52:55], s[8:9]
	global_store_dwordx4 v65, v[10:13], s[8:9] offset:16
	global_store_dwordx4 v65, v[10:13], s[8:9] offset:32
	;; [unrolled: 1-line block ×3, first 2 shown]
	s_and_saveexec_b32 s5, s4
	s_cbranch_execz .LBB8_20
; %bb.13:                               ;   in Loop: Header=BB8_2 Depth=1
	s_clause 0x1
	global_load_dwordx2 v[12:13], v49, s[28:29] offset:32 glc dlc
	global_load_dwordx2 v[2:3], v49, s[28:29] offset:40
	v_mov_b32_e32 v10, s6
	v_mov_b32_e32 v11, s7
	s_mov_b32 s8, exec_lo
	s_waitcnt vmcnt(0)
	v_and_b32_e32 v3, s7, v3
	v_and_b32_e32 v2, s6, v2
	v_mul_lo_u32 v3, v3, 24
	v_mul_hi_u32 v6, v2, 24
	v_mul_lo_u32 v2, v2, 24
	v_add_nc_u32_e32 v3, v6, v3
	v_add_co_u32 v6, vcc_lo, v0, v2
	v_add_co_ci_u32_e32 v7, vcc_lo, v1, v3, vcc_lo
	global_store_dwordx2 v[6:7], v[12:13], off
	s_waitcnt_vscnt null, 0x0
	global_atomic_cmpswap_x2 v[2:3], v49, v[10:13], s[28:29] offset:32 glc
	s_waitcnt vmcnt(0)
	v_cmpx_ne_u64_e64 v[2:3], v[12:13]
	s_cbranch_execz .LBB8_16
; %bb.14:                               ;   in Loop: Header=BB8_2 Depth=1
	s_mov_b32 s9, 0
.LBB8_15:                               ;   Parent Loop BB8_2 Depth=1
                                        ; =>  This Inner Loop Header: Depth=2
	v_mov_b32_e32 v0, s6
	v_mov_b32_e32 v1, s7
	s_sleep 1
	global_store_dwordx2 v[6:7], v[2:3], off
	s_waitcnt_vscnt null, 0x0
	global_atomic_cmpswap_x2 v[0:1], v49, v[0:3], s[28:29] offset:32 glc
	s_waitcnt vmcnt(0)
	v_cmp_eq_u64_e32 vcc_lo, v[0:1], v[2:3]
	v_mov_b32_e32 v3, v1
	v_mov_b32_e32 v2, v0
	s_or_b32 s9, vcc_lo, s9
	s_andn2_b32 exec_lo, exec_lo, s9
	s_cbranch_execnz .LBB8_15
.LBB8_16:                               ;   in Loop: Header=BB8_2 Depth=1
	s_or_b32 exec_lo, exec_lo, s8
	global_load_dwordx2 v[0:1], v49, s[28:29] offset:16
	s_mov_b32 s9, exec_lo
	s_mov_b32 s8, exec_lo
	v_mbcnt_lo_u32_b32 v2, s9, 0
	v_cmpx_eq_u32_e32 0, v2
	s_cbranch_execz .LBB8_18
; %bb.17:                               ;   in Loop: Header=BB8_2 Depth=1
	s_bcnt1_i32_b32 s9, s9
	v_mov_b32_e32 v48, s9
	s_waitcnt vmcnt(0)
	global_atomic_add_x2 v[0:1], v[48:49], off offset:8
.LBB8_18:                               ;   in Loop: Header=BB8_2 Depth=1
	s_or_b32 exec_lo, exec_lo, s8
	s_waitcnt vmcnt(0)
	global_load_dwordx2 v[2:3], v[0:1], off offset:16
	s_waitcnt vmcnt(0)
	v_cmp_eq_u64_e32 vcc_lo, 0, v[2:3]
	s_cbranch_vccnz .LBB8_20
; %bb.19:                               ;   in Loop: Header=BB8_2 Depth=1
	global_load_dword v48, v[0:1], off offset:24
	s_waitcnt vmcnt(0)
	v_and_b32_e32 v0, 0x7fffff, v48
	s_waitcnt_vscnt null, 0x0
	global_store_dwordx2 v[2:3], v[48:49], off
	v_readfirstlane_b32 m0, v0
	s_sendmsg sendmsg(MSG_INTERRUPT)
.LBB8_20:                               ;   in Loop: Header=BB8_2 Depth=1
	s_or_b32 exec_lo, exec_lo, s5
	v_add_co_u32 v0, vcc_lo, v8, v65
	v_add_co_ci_u32_e32 v1, vcc_lo, 0, v9, vcc_lo
	s_branch .LBB8_24
	.p2align	6
.LBB8_21:                               ;   in Loop: Header=BB8_24 Depth=2
	s_or_b32 exec_lo, exec_lo, s5
	v_readfirstlane_b32 s5, v2
	s_cmp_eq_u32 s5, 0
	s_cbranch_scc1 .LBB8_23
; %bb.22:                               ;   in Loop: Header=BB8_24 Depth=2
	s_sleep 1
	s_cbranch_execnz .LBB8_24
	s_branch .LBB8_26
	.p2align	6
.LBB8_23:                               ;   in Loop: Header=BB8_2 Depth=1
	s_branch .LBB8_26
.LBB8_24:                               ;   Parent Loop BB8_2 Depth=1
                                        ; =>  This Inner Loop Header: Depth=2
	v_mov_b32_e32 v2, 1
	s_and_saveexec_b32 s5, s4
	s_cbranch_execz .LBB8_21
; %bb.25:                               ;   in Loop: Header=BB8_24 Depth=2
	global_load_dword v2, v[4:5], off offset:20 glc dlc
	s_waitcnt vmcnt(0)
	buffer_gl1_inv
	buffer_gl0_inv
	v_and_b32_e32 v2, 1, v2
	s_branch .LBB8_21
.LBB8_26:                               ;   in Loop: Header=BB8_2 Depth=1
	global_load_dwordx2 v[0:1], v[0:1], off
	s_and_saveexec_b32 s5, s4
	s_cbranch_execz .LBB8_30
; %bb.27:                               ;   in Loop: Header=BB8_2 Depth=1
	s_clause 0x2
	global_load_dwordx2 v[4:5], v49, s[28:29] offset:40
	global_load_dwordx2 v[8:9], v49, s[28:29] offset:24 glc dlc
	global_load_dwordx2 v[6:7], v49, s[28:29]
	s_waitcnt vmcnt(2)
	v_add_co_u32 v10, vcc_lo, v4, 1
	v_add_co_ci_u32_e32 v11, vcc_lo, 0, v5, vcc_lo
	v_add_co_u32 v2, vcc_lo, v10, s6
	v_add_co_ci_u32_e32 v3, vcc_lo, s7, v11, vcc_lo
	v_cmp_eq_u64_e32 vcc_lo, 0, v[2:3]
	v_cndmask_b32_e32 v3, v3, v11, vcc_lo
	v_cndmask_b32_e32 v2, v2, v10, vcc_lo
	v_and_b32_e32 v5, v3, v5
	v_and_b32_e32 v4, v2, v4
	v_mul_lo_u32 v5, v5, 24
	v_mul_hi_u32 v10, v4, 24
	v_mul_lo_u32 v4, v4, 24
	v_add_nc_u32_e32 v5, v10, v5
	s_waitcnt vmcnt(0)
	v_add_co_u32 v6, vcc_lo, v6, v4
	v_mov_b32_e32 v4, v8
	v_add_co_ci_u32_e32 v7, vcc_lo, v7, v5, vcc_lo
	v_mov_b32_e32 v5, v9
	global_store_dwordx2 v[6:7], v[8:9], off
	s_waitcnt_vscnt null, 0x0
	global_atomic_cmpswap_x2 v[4:5], v49, v[2:5], s[28:29] offset:24 glc
	s_waitcnt vmcnt(0)
	v_cmp_ne_u64_e32 vcc_lo, v[4:5], v[8:9]
	s_and_b32 exec_lo, exec_lo, vcc_lo
	s_cbranch_execz .LBB8_30
; %bb.28:                               ;   in Loop: Header=BB8_2 Depth=1
	s_mov_b32 s4, 0
.LBB8_29:                               ;   Parent Loop BB8_2 Depth=1
                                        ; =>  This Inner Loop Header: Depth=2
	s_sleep 1
	global_store_dwordx2 v[6:7], v[4:5], off
	s_waitcnt_vscnt null, 0x0
	global_atomic_cmpswap_x2 v[8:9], v49, v[2:5], s[28:29] offset:24 glc
	s_waitcnt vmcnt(0)
	v_cmp_eq_u64_e32 vcc_lo, v[8:9], v[4:5]
	v_mov_b32_e32 v4, v8
	v_mov_b32_e32 v5, v9
	s_or_b32 s4, vcc_lo, s4
	s_andn2_b32 exec_lo, exec_lo, s4
	s_cbranch_execnz .LBB8_29
.LBB8_30:                               ;   in Loop: Header=BB8_2 Depth=1
	s_or_b32 exec_lo, exec_lo, s5
	s_and_b32 vcc_lo, exec_lo, s36
	s_cbranch_vccz .LBB8_109
; %bb.31:                               ;   in Loop: Header=BB8_2 Depth=1
	s_waitcnt vmcnt(0)
	v_and_b32_e32 v25, 2, v0
	v_and_b32_e32 v2, -3, v0
	v_mov_b32_e32 v3, v1
	s_mov_b64 s[8:9], 4
	s_getpc_b64 s[6:7]
	s_add_u32 s6, s6, .str.7@rel32@lo+4
	s_addc_u32 s7, s7, .str.7@rel32@hi+12
	s_branch .LBB8_33
.LBB8_32:                               ;   in Loop: Header=BB8_33 Depth=2
	s_or_b32 exec_lo, exec_lo, s5
	s_sub_u32 s8, s8, s10
	s_subb_u32 s9, s9, s11
	s_add_u32 s6, s6, s10
	s_addc_u32 s7, s7, s11
	s_cmp_lg_u64 s[8:9], 0
	s_cbranch_scc0 .LBB8_108
.LBB8_33:                               ;   Parent Loop BB8_2 Depth=1
                                        ; =>  This Loop Header: Depth=2
                                        ;       Child Loop BB8_36 Depth 3
                                        ;       Child Loop BB8_43 Depth 3
	;; [unrolled: 1-line block ×11, first 2 shown]
	v_cmp_lt_u64_e64 s4, s[8:9], 56
	v_cmp_gt_u64_e64 s5, s[8:9], 7
	s_and_b32 s4, s4, exec_lo
	s_cselect_b32 s11, s9, 0
	s_cselect_b32 s10, s8, 56
	s_and_b32 vcc_lo, exec_lo, s5
	s_cbranch_vccnz .LBB8_38
; %bb.34:                               ;   in Loop: Header=BB8_33 Depth=2
	s_waitcnt vmcnt(0)
	v_mov_b32_e32 v4, 0
	v_mov_b32_e32 v5, 0
	s_cmp_eq_u64 s[8:9], 0
	s_mov_b64 s[4:5], 0
	s_cbranch_scc1 .LBB8_37
; %bb.35:                               ;   in Loop: Header=BB8_33 Depth=2
	v_mov_b32_e32 v4, 0
	v_mov_b32_e32 v5, 0
	s_lshl_b64 s[12:13], s[10:11], 3
	s_mov_b64 s[14:15], s[6:7]
.LBB8_36:                               ;   Parent Loop BB8_2 Depth=1
                                        ;     Parent Loop BB8_33 Depth=2
                                        ; =>    This Inner Loop Header: Depth=3
	global_load_ubyte v6, v49, s[14:15]
	s_waitcnt vmcnt(0)
	v_and_b32_e32 v48, 0xffff, v6
	v_lshlrev_b64 v[6:7], s4, v[48:49]
	s_add_u32 s4, s4, 8
	s_addc_u32 s5, s5, 0
	s_add_u32 s14, s14, 1
	s_addc_u32 s15, s15, 0
	s_cmp_lg_u32 s12, s4
	v_or_b32_e32 v4, v6, v4
	v_or_b32_e32 v5, v7, v5
	s_cbranch_scc1 .LBB8_36
.LBB8_37:                               ;   in Loop: Header=BB8_33 Depth=2
	s_mov_b32 s16, 0
	s_mov_b64 s[4:5], s[6:7]
	s_cbranch_execz .LBB8_39
	s_branch .LBB8_40
.LBB8_38:                               ;   in Loop: Header=BB8_33 Depth=2
                                        ; implicit-def: $vgpr4_vgpr5
                                        ; implicit-def: $sgpr16
	s_mov_b64 s[4:5], s[6:7]
.LBB8_39:                               ;   in Loop: Header=BB8_33 Depth=2
	global_load_dwordx2 v[4:5], v49, s[6:7]
	s_add_i32 s16, s10, -8
	s_add_u32 s4, s6, 8
	s_addc_u32 s5, s7, 0
.LBB8_40:                               ;   in Loop: Header=BB8_33 Depth=2
	s_cmp_gt_u32 s16, 7
	s_cbranch_scc1 .LBB8_45
; %bb.41:                               ;   in Loop: Header=BB8_33 Depth=2
	v_mov_b32_e32 v6, 0
	v_mov_b32_e32 v7, 0
	s_cmp_eq_u32 s16, 0
	s_cbranch_scc1 .LBB8_44
; %bb.42:                               ;   in Loop: Header=BB8_33 Depth=2
	s_mov_b64 s[12:13], 0
	s_mov_b64 s[14:15], 0
.LBB8_43:                               ;   Parent Loop BB8_2 Depth=1
                                        ;     Parent Loop BB8_33 Depth=2
                                        ; =>    This Inner Loop Header: Depth=3
	s_add_u32 s18, s4, s14
	s_addc_u32 s19, s5, s15
	s_add_u32 s14, s14, 1
	global_load_ubyte v8, v49, s[18:19]
	s_addc_u32 s15, s15, 0
	s_waitcnt vmcnt(0)
	v_and_b32_e32 v48, 0xffff, v8
	v_lshlrev_b64 v[8:9], s12, v[48:49]
	s_add_u32 s12, s12, 8
	s_addc_u32 s13, s13, 0
	s_cmp_lg_u32 s16, s14
	v_or_b32_e32 v6, v8, v6
	v_or_b32_e32 v7, v9, v7
	s_cbranch_scc1 .LBB8_43
.LBB8_44:                               ;   in Loop: Header=BB8_33 Depth=2
	s_mov_b32 s17, 0
	s_cbranch_execz .LBB8_46
	s_branch .LBB8_47
.LBB8_45:                               ;   in Loop: Header=BB8_33 Depth=2
                                        ; implicit-def: $vgpr6_vgpr7
                                        ; implicit-def: $sgpr17
.LBB8_46:                               ;   in Loop: Header=BB8_33 Depth=2
	global_load_dwordx2 v[6:7], v49, s[4:5]
	s_add_i32 s17, s16, -8
	s_add_u32 s4, s4, 8
	s_addc_u32 s5, s5, 0
.LBB8_47:                               ;   in Loop: Header=BB8_33 Depth=2
	s_cmp_gt_u32 s17, 7
	s_cbranch_scc1 .LBB8_52
; %bb.48:                               ;   in Loop: Header=BB8_33 Depth=2
	v_mov_b32_e32 v8, 0
	v_mov_b32_e32 v9, 0
	s_cmp_eq_u32 s17, 0
	s_cbranch_scc1 .LBB8_51
; %bb.49:                               ;   in Loop: Header=BB8_33 Depth=2
	s_mov_b64 s[12:13], 0
	s_mov_b64 s[14:15], 0
.LBB8_50:                               ;   Parent Loop BB8_2 Depth=1
                                        ;     Parent Loop BB8_33 Depth=2
                                        ; =>    This Inner Loop Header: Depth=3
	s_add_u32 s18, s4, s14
	s_addc_u32 s19, s5, s15
	s_add_u32 s14, s14, 1
	global_load_ubyte v10, v49, s[18:19]
	s_addc_u32 s15, s15, 0
	s_waitcnt vmcnt(0)
	v_and_b32_e32 v48, 0xffff, v10
	v_lshlrev_b64 v[10:11], s12, v[48:49]
	s_add_u32 s12, s12, 8
	s_addc_u32 s13, s13, 0
	s_cmp_lg_u32 s17, s14
	v_or_b32_e32 v8, v10, v8
	v_or_b32_e32 v9, v11, v9
	s_cbranch_scc1 .LBB8_50
.LBB8_51:                               ;   in Loop: Header=BB8_33 Depth=2
	s_mov_b32 s16, 0
	s_cbranch_execz .LBB8_53
	s_branch .LBB8_54
.LBB8_52:                               ;   in Loop: Header=BB8_33 Depth=2
                                        ; implicit-def: $sgpr16
.LBB8_53:                               ;   in Loop: Header=BB8_33 Depth=2
	global_load_dwordx2 v[8:9], v49, s[4:5]
	s_add_i32 s16, s17, -8
	s_add_u32 s4, s4, 8
	s_addc_u32 s5, s5, 0
.LBB8_54:                               ;   in Loop: Header=BB8_33 Depth=2
	s_cmp_gt_u32 s16, 7
	s_cbranch_scc1 .LBB8_59
; %bb.55:                               ;   in Loop: Header=BB8_33 Depth=2
	v_mov_b32_e32 v10, 0
	v_mov_b32_e32 v11, 0
	s_cmp_eq_u32 s16, 0
	s_cbranch_scc1 .LBB8_58
; %bb.56:                               ;   in Loop: Header=BB8_33 Depth=2
	s_mov_b64 s[12:13], 0
	s_mov_b64 s[14:15], 0
.LBB8_57:                               ;   Parent Loop BB8_2 Depth=1
                                        ;     Parent Loop BB8_33 Depth=2
                                        ; =>    This Inner Loop Header: Depth=3
	s_add_u32 s18, s4, s14
	s_addc_u32 s19, s5, s15
	s_add_u32 s14, s14, 1
	global_load_ubyte v12, v49, s[18:19]
	s_addc_u32 s15, s15, 0
	s_waitcnt vmcnt(0)
	v_and_b32_e32 v48, 0xffff, v12
	v_lshlrev_b64 v[12:13], s12, v[48:49]
	s_add_u32 s12, s12, 8
	s_addc_u32 s13, s13, 0
	s_cmp_lg_u32 s16, s14
	v_or_b32_e32 v10, v12, v10
	v_or_b32_e32 v11, v13, v11
	s_cbranch_scc1 .LBB8_57
.LBB8_58:                               ;   in Loop: Header=BB8_33 Depth=2
	s_mov_b32 s17, 0
	s_cbranch_execz .LBB8_60
	s_branch .LBB8_61
.LBB8_59:                               ;   in Loop: Header=BB8_33 Depth=2
                                        ; implicit-def: $vgpr10_vgpr11
                                        ; implicit-def: $sgpr17
.LBB8_60:                               ;   in Loop: Header=BB8_33 Depth=2
	global_load_dwordx2 v[10:11], v49, s[4:5]
	s_add_i32 s17, s16, -8
	s_add_u32 s4, s4, 8
	s_addc_u32 s5, s5, 0
.LBB8_61:                               ;   in Loop: Header=BB8_33 Depth=2
	s_cmp_gt_u32 s17, 7
	s_cbranch_scc1 .LBB8_66
; %bb.62:                               ;   in Loop: Header=BB8_33 Depth=2
	v_mov_b32_e32 v12, 0
	v_mov_b32_e32 v13, 0
	s_cmp_eq_u32 s17, 0
	s_cbranch_scc1 .LBB8_65
; %bb.63:                               ;   in Loop: Header=BB8_33 Depth=2
	s_mov_b64 s[12:13], 0
	s_mov_b64 s[14:15], 0
.LBB8_64:                               ;   Parent Loop BB8_2 Depth=1
                                        ;     Parent Loop BB8_33 Depth=2
                                        ; =>    This Inner Loop Header: Depth=3
	s_add_u32 s18, s4, s14
	s_addc_u32 s19, s5, s15
	s_add_u32 s14, s14, 1
	global_load_ubyte v14, v49, s[18:19]
	s_addc_u32 s15, s15, 0
	s_waitcnt vmcnt(0)
	v_and_b32_e32 v48, 0xffff, v14
	v_lshlrev_b64 v[14:15], s12, v[48:49]
	s_add_u32 s12, s12, 8
	s_addc_u32 s13, s13, 0
	s_cmp_lg_u32 s17, s14
	v_or_b32_e32 v12, v14, v12
	v_or_b32_e32 v13, v15, v13
	s_cbranch_scc1 .LBB8_64
.LBB8_65:                               ;   in Loop: Header=BB8_33 Depth=2
	s_mov_b32 s16, 0
	s_cbranch_execz .LBB8_67
	s_branch .LBB8_68
.LBB8_66:                               ;   in Loop: Header=BB8_33 Depth=2
                                        ; implicit-def: $sgpr16
.LBB8_67:                               ;   in Loop: Header=BB8_33 Depth=2
	global_load_dwordx2 v[12:13], v49, s[4:5]
	s_add_i32 s16, s17, -8
	s_add_u32 s4, s4, 8
	s_addc_u32 s5, s5, 0
.LBB8_68:                               ;   in Loop: Header=BB8_33 Depth=2
	s_cmp_gt_u32 s16, 7
	s_cbranch_scc1 .LBB8_73
; %bb.69:                               ;   in Loop: Header=BB8_33 Depth=2
	v_mov_b32_e32 v14, 0
	v_mov_b32_e32 v15, 0
	s_cmp_eq_u32 s16, 0
	s_cbranch_scc1 .LBB8_72
; %bb.70:                               ;   in Loop: Header=BB8_33 Depth=2
	s_mov_b64 s[12:13], 0
	s_mov_b64 s[14:15], 0
.LBB8_71:                               ;   Parent Loop BB8_2 Depth=1
                                        ;     Parent Loop BB8_33 Depth=2
                                        ; =>    This Inner Loop Header: Depth=3
	s_add_u32 s18, s4, s14
	s_addc_u32 s19, s5, s15
	s_add_u32 s14, s14, 1
	global_load_ubyte v16, v49, s[18:19]
	s_addc_u32 s15, s15, 0
	s_waitcnt vmcnt(0)
	v_and_b32_e32 v48, 0xffff, v16
	v_lshlrev_b64 v[16:17], s12, v[48:49]
	s_add_u32 s12, s12, 8
	s_addc_u32 s13, s13, 0
	s_cmp_lg_u32 s16, s14
	v_or_b32_e32 v14, v16, v14
	v_or_b32_e32 v15, v17, v15
	s_cbranch_scc1 .LBB8_71
.LBB8_72:                               ;   in Loop: Header=BB8_33 Depth=2
	s_mov_b32 s17, 0
	s_cbranch_execz .LBB8_74
	s_branch .LBB8_75
.LBB8_73:                               ;   in Loop: Header=BB8_33 Depth=2
                                        ; implicit-def: $vgpr14_vgpr15
                                        ; implicit-def: $sgpr17
.LBB8_74:                               ;   in Loop: Header=BB8_33 Depth=2
	global_load_dwordx2 v[14:15], v49, s[4:5]
	s_add_i32 s17, s16, -8
	s_add_u32 s4, s4, 8
	s_addc_u32 s5, s5, 0
.LBB8_75:                               ;   in Loop: Header=BB8_33 Depth=2
	s_cmp_gt_u32 s17, 7
	s_cbranch_scc1 .LBB8_80
; %bb.76:                               ;   in Loop: Header=BB8_33 Depth=2
	v_mov_b32_e32 v16, 0
	v_mov_b32_e32 v17, 0
	s_cmp_eq_u32 s17, 0
	s_cbranch_scc1 .LBB8_79
; %bb.77:                               ;   in Loop: Header=BB8_33 Depth=2
	s_mov_b64 s[12:13], 0
	s_mov_b64 s[14:15], s[4:5]
.LBB8_78:                               ;   Parent Loop BB8_2 Depth=1
                                        ;     Parent Loop BB8_33 Depth=2
                                        ; =>    This Inner Loop Header: Depth=3
	global_load_ubyte v18, v49, s[14:15]
	s_add_i32 s17, s17, -1
	s_waitcnt vmcnt(0)
	v_and_b32_e32 v48, 0xffff, v18
	v_lshlrev_b64 v[18:19], s12, v[48:49]
	s_add_u32 s12, s12, 8
	s_addc_u32 s13, s13, 0
	s_add_u32 s14, s14, 1
	s_addc_u32 s15, s15, 0
	s_cmp_lg_u32 s17, 0
	v_or_b32_e32 v16, v18, v16
	v_or_b32_e32 v17, v19, v17
	s_cbranch_scc1 .LBB8_78
.LBB8_79:                               ;   in Loop: Header=BB8_33 Depth=2
	s_cbranch_execz .LBB8_81
	s_branch .LBB8_82
.LBB8_80:                               ;   in Loop: Header=BB8_33 Depth=2
.LBB8_81:                               ;   in Loop: Header=BB8_33 Depth=2
	global_load_dwordx2 v[16:17], v49, s[4:5]
.LBB8_82:                               ;   in Loop: Header=BB8_33 Depth=2
	v_readfirstlane_b32 s4, v64
	v_mov_b32_e32 v22, 0
	v_mov_b32_e32 v23, 0
	v_cmp_eq_u32_e64 s4, s4, v64
	s_and_saveexec_b32 s5, s4
	s_cbranch_execz .LBB8_88
; %bb.83:                               ;   in Loop: Header=BB8_33 Depth=2
	global_load_dwordx2 v[20:21], v49, s[28:29] offset:24 glc dlc
	s_waitcnt vmcnt(0)
	buffer_gl1_inv
	buffer_gl0_inv
	s_clause 0x1
	global_load_dwordx2 v[18:19], v49, s[28:29] offset:40
	global_load_dwordx2 v[22:23], v49, s[28:29]
	s_mov_b32 s12, exec_lo
	s_waitcnt vmcnt(1)
	v_and_b32_e32 v19, v19, v21
	v_and_b32_e32 v18, v18, v20
	v_mul_lo_u32 v19, v19, 24
	v_mul_hi_u32 v26, v18, 24
	v_mul_lo_u32 v18, v18, 24
	v_add_nc_u32_e32 v19, v26, v19
	s_waitcnt vmcnt(0)
	v_add_co_u32 v18, vcc_lo, v22, v18
	v_add_co_ci_u32_e32 v19, vcc_lo, v23, v19, vcc_lo
	global_load_dwordx2 v[18:19], v[18:19], off glc dlc
	s_waitcnt vmcnt(0)
	global_atomic_cmpswap_x2 v[22:23], v49, v[18:21], s[28:29] offset:24 glc
	s_waitcnt vmcnt(0)
	buffer_gl1_inv
	buffer_gl0_inv
	v_cmpx_ne_u64_e64 v[22:23], v[20:21]
	s_cbranch_execz .LBB8_87
; %bb.84:                               ;   in Loop: Header=BB8_33 Depth=2
	s_mov_b32 s13, 0
	.p2align	6
.LBB8_85:                               ;   Parent Loop BB8_2 Depth=1
                                        ;     Parent Loop BB8_33 Depth=2
                                        ; =>    This Inner Loop Header: Depth=3
	s_sleep 1
	s_clause 0x1
	global_load_dwordx2 v[18:19], v49, s[28:29] offset:40
	global_load_dwordx2 v[26:27], v49, s[28:29]
	v_mov_b32_e32 v20, v22
	v_mov_b32_e32 v21, v23
	s_waitcnt vmcnt(1)
	v_and_b32_e32 v18, v18, v20
	v_and_b32_e32 v19, v19, v21
	s_waitcnt vmcnt(0)
	v_mad_u64_u32 v[22:23], null, v18, 24, v[26:27]
	v_mov_b32_e32 v18, v23
	v_mad_u64_u32 v[18:19], null, v19, 24, v[18:19]
	v_mov_b32_e32 v23, v18
	global_load_dwordx2 v[18:19], v[22:23], off glc dlc
	s_waitcnt vmcnt(0)
	global_atomic_cmpswap_x2 v[22:23], v49, v[18:21], s[28:29] offset:24 glc
	s_waitcnt vmcnt(0)
	buffer_gl1_inv
	buffer_gl0_inv
	v_cmp_eq_u64_e32 vcc_lo, v[22:23], v[20:21]
	s_or_b32 s13, vcc_lo, s13
	s_andn2_b32 exec_lo, exec_lo, s13
	s_cbranch_execnz .LBB8_85
; %bb.86:                               ;   in Loop: Header=BB8_33 Depth=2
	s_or_b32 exec_lo, exec_lo, s13
.LBB8_87:                               ;   in Loop: Header=BB8_33 Depth=2
	s_or_b32 exec_lo, exec_lo, s12
.LBB8_88:                               ;   in Loop: Header=BB8_33 Depth=2
	s_or_b32 exec_lo, exec_lo, s5
	s_clause 0x1
	global_load_dwordx2 v[26:27], v49, s[28:29] offset:40
	global_load_dwordx4 v[18:21], v49, s[28:29]
	v_readfirstlane_b32 s12, v22
	v_readfirstlane_b32 s13, v23
	s_mov_b32 s5, exec_lo
	s_waitcnt vmcnt(1)
	v_readfirstlane_b32 s14, v26
	v_readfirstlane_b32 s15, v27
	s_and_b64 s[14:15], s[12:13], s[14:15]
	s_mul_i32 s16, s15, 24
	s_mul_hi_u32 s17, s14, 24
	s_mul_i32 s18, s14, 24
	s_add_i32 s17, s17, s16
	s_waitcnt vmcnt(0)
	v_add_co_u32 v22, vcc_lo, v18, s18
	v_add_co_ci_u32_e32 v23, vcc_lo, s17, v19, vcc_lo
	s_and_saveexec_b32 s16, s4
	s_cbranch_execz .LBB8_90
; %bb.89:                               ;   in Loop: Header=BB8_33 Depth=2
	v_mov_b32_e32 v48, s5
	global_store_dwordx4 v[22:23], v[48:51], off offset:8
.LBB8_90:                               ;   in Loop: Header=BB8_33 Depth=2
	s_or_b32 exec_lo, exec_lo, s16
	v_cmp_gt_u64_e64 vcc_lo, s[8:9], 56
	v_or_b32_e32 v26, 0, v3
	v_or_b32_e32 v27, v2, v25
	s_lshl_b64 s[14:15], s[14:15], 12
	s_lshl_b32 s5, s10, 2
	s_add_i32 s5, s5, 28
	v_cndmask_b32_e32 v3, v26, v3, vcc_lo
	v_cndmask_b32_e32 v2, v27, v2, vcc_lo
	v_add_co_u32 v20, vcc_lo, v20, s14
	v_add_co_ci_u32_e32 v21, vcc_lo, s15, v21, vcc_lo
	s_and_b32 s5, s5, 0x1e0
	v_lshlrev_b32_e32 v26, 6, v64
	v_and_or_b32 v2, 0xffffff1f, v2, s5
	v_readfirstlane_b32 s14, v20
	v_readfirstlane_b32 s15, v21
	global_store_dwordx4 v26, v[2:5], s[14:15]
	global_store_dwordx4 v26, v[6:9], s[14:15] offset:16
	global_store_dwordx4 v26, v[10:13], s[14:15] offset:32
	;; [unrolled: 1-line block ×3, first 2 shown]
	s_and_saveexec_b32 s5, s4
	s_cbranch_execz .LBB8_98
; %bb.91:                               ;   in Loop: Header=BB8_33 Depth=2
	s_clause 0x1
	global_load_dwordx2 v[10:11], v49, s[28:29] offset:32 glc dlc
	global_load_dwordx2 v[2:3], v49, s[28:29] offset:40
	v_mov_b32_e32 v8, s12
	v_mov_b32_e32 v9, s13
	s_waitcnt vmcnt(0)
	v_readfirstlane_b32 s14, v2
	v_readfirstlane_b32 s15, v3
	s_and_b64 s[14:15], s[14:15], s[12:13]
	s_mul_i32 s15, s15, 24
	s_mul_hi_u32 s16, s14, 24
	s_mul_i32 s14, s14, 24
	s_add_i32 s16, s16, s15
	v_add_co_u32 v6, vcc_lo, v18, s14
	v_add_co_ci_u32_e32 v7, vcc_lo, s16, v19, vcc_lo
	s_mov_b32 s14, exec_lo
	global_store_dwordx2 v[6:7], v[10:11], off
	s_waitcnt_vscnt null, 0x0
	global_atomic_cmpswap_x2 v[4:5], v49, v[8:11], s[28:29] offset:32 glc
	s_waitcnt vmcnt(0)
	v_cmpx_ne_u64_e64 v[4:5], v[10:11]
	s_cbranch_execz .LBB8_94
; %bb.92:                               ;   in Loop: Header=BB8_33 Depth=2
	s_mov_b32 s15, 0
.LBB8_93:                               ;   Parent Loop BB8_2 Depth=1
                                        ;     Parent Loop BB8_33 Depth=2
                                        ; =>    This Inner Loop Header: Depth=3
	v_mov_b32_e32 v2, s12
	v_mov_b32_e32 v3, s13
	s_sleep 1
	global_store_dwordx2 v[6:7], v[4:5], off
	s_waitcnt_vscnt null, 0x0
	global_atomic_cmpswap_x2 v[2:3], v49, v[2:5], s[28:29] offset:32 glc
	s_waitcnt vmcnt(0)
	v_cmp_eq_u64_e32 vcc_lo, v[2:3], v[4:5]
	v_mov_b32_e32 v5, v3
	v_mov_b32_e32 v4, v2
	s_or_b32 s15, vcc_lo, s15
	s_andn2_b32 exec_lo, exec_lo, s15
	s_cbranch_execnz .LBB8_93
.LBB8_94:                               ;   in Loop: Header=BB8_33 Depth=2
	s_or_b32 exec_lo, exec_lo, s14
	global_load_dwordx2 v[2:3], v49, s[28:29] offset:16
	s_mov_b32 s15, exec_lo
	s_mov_b32 s14, exec_lo
	v_mbcnt_lo_u32_b32 v4, s15, 0
	v_cmpx_eq_u32_e32 0, v4
	s_cbranch_execz .LBB8_96
; %bb.95:                               ;   in Loop: Header=BB8_33 Depth=2
	s_bcnt1_i32_b32 s15, s15
	v_mov_b32_e32 v48, s15
	s_waitcnt vmcnt(0)
	global_atomic_add_x2 v[2:3], v[48:49], off offset:8
.LBB8_96:                               ;   in Loop: Header=BB8_33 Depth=2
	s_or_b32 exec_lo, exec_lo, s14
	s_waitcnt vmcnt(0)
	global_load_dwordx2 v[4:5], v[2:3], off offset:16
	s_waitcnt vmcnt(0)
	v_cmp_eq_u64_e32 vcc_lo, 0, v[4:5]
	s_cbranch_vccnz .LBB8_98
; %bb.97:                               ;   in Loop: Header=BB8_33 Depth=2
	global_load_dword v48, v[2:3], off offset:24
	s_waitcnt vmcnt(0)
	v_and_b32_e32 v2, 0x7fffff, v48
	s_waitcnt_vscnt null, 0x0
	global_store_dwordx2 v[4:5], v[48:49], off
	v_readfirstlane_b32 m0, v2
	s_sendmsg sendmsg(MSG_INTERRUPT)
.LBB8_98:                               ;   in Loop: Header=BB8_33 Depth=2
	s_or_b32 exec_lo, exec_lo, s5
	v_add_co_u32 v2, vcc_lo, v20, v26
	v_add_co_ci_u32_e32 v3, vcc_lo, 0, v21, vcc_lo
	s_branch .LBB8_102
	.p2align	6
.LBB8_99:                               ;   in Loop: Header=BB8_102 Depth=3
	s_or_b32 exec_lo, exec_lo, s5
	v_readfirstlane_b32 s5, v4
	s_cmp_eq_u32 s5, 0
	s_cbranch_scc1 .LBB8_101
; %bb.100:                              ;   in Loop: Header=BB8_102 Depth=3
	s_sleep 1
	s_cbranch_execnz .LBB8_102
	s_branch .LBB8_104
	.p2align	6
.LBB8_101:                              ;   in Loop: Header=BB8_33 Depth=2
	s_branch .LBB8_104
.LBB8_102:                              ;   Parent Loop BB8_2 Depth=1
                                        ;     Parent Loop BB8_33 Depth=2
                                        ; =>    This Inner Loop Header: Depth=3
	v_mov_b32_e32 v4, 1
	s_and_saveexec_b32 s5, s4
	s_cbranch_execz .LBB8_99
; %bb.103:                              ;   in Loop: Header=BB8_102 Depth=3
	global_load_dword v4, v[22:23], off offset:20 glc dlc
	s_waitcnt vmcnt(0)
	buffer_gl1_inv
	buffer_gl0_inv
	v_and_b32_e32 v4, 1, v4
	s_branch .LBB8_99
.LBB8_104:                              ;   in Loop: Header=BB8_33 Depth=2
	global_load_dwordx4 v[2:5], v[2:3], off
	s_and_saveexec_b32 s5, s4
	s_cbranch_execz .LBB8_32
; %bb.105:                              ;   in Loop: Header=BB8_33 Depth=2
	s_clause 0x2
	global_load_dwordx2 v[6:7], v49, s[28:29] offset:40
	global_load_dwordx2 v[10:11], v49, s[28:29] offset:24 glc dlc
	global_load_dwordx2 v[8:9], v49, s[28:29]
	s_waitcnt vmcnt(2)
	v_add_co_u32 v12, vcc_lo, v6, 1
	v_add_co_ci_u32_e32 v13, vcc_lo, 0, v7, vcc_lo
	v_add_co_u32 v4, vcc_lo, v12, s12
	v_add_co_ci_u32_e32 v5, vcc_lo, s13, v13, vcc_lo
	v_cmp_eq_u64_e32 vcc_lo, 0, v[4:5]
	v_cndmask_b32_e32 v5, v5, v13, vcc_lo
	v_cndmask_b32_e32 v4, v4, v12, vcc_lo
	v_and_b32_e32 v7, v5, v7
	v_and_b32_e32 v6, v4, v6
	v_mul_lo_u32 v7, v7, 24
	v_mul_hi_u32 v12, v6, 24
	v_mul_lo_u32 v6, v6, 24
	v_add_nc_u32_e32 v7, v12, v7
	s_waitcnt vmcnt(0)
	v_add_co_u32 v8, vcc_lo, v8, v6
	v_mov_b32_e32 v6, v10
	v_add_co_ci_u32_e32 v9, vcc_lo, v9, v7, vcc_lo
	v_mov_b32_e32 v7, v11
	global_store_dwordx2 v[8:9], v[10:11], off
	s_waitcnt_vscnt null, 0x0
	global_atomic_cmpswap_x2 v[6:7], v49, v[4:7], s[28:29] offset:24 glc
	s_waitcnt vmcnt(0)
	v_cmp_ne_u64_e32 vcc_lo, v[6:7], v[10:11]
	s_and_b32 exec_lo, exec_lo, vcc_lo
	s_cbranch_execz .LBB8_32
; %bb.106:                              ;   in Loop: Header=BB8_33 Depth=2
	s_mov_b32 s4, 0
.LBB8_107:                              ;   Parent Loop BB8_2 Depth=1
                                        ;     Parent Loop BB8_33 Depth=2
                                        ; =>    This Inner Loop Header: Depth=3
	s_sleep 1
	global_store_dwordx2 v[8:9], v[6:7], off
	s_waitcnt_vscnt null, 0x0
	global_atomic_cmpswap_x2 v[10:11], v49, v[4:7], s[28:29] offset:24 glc
	s_waitcnt vmcnt(0)
	v_cmp_eq_u64_e32 vcc_lo, v[10:11], v[6:7]
	v_mov_b32_e32 v6, v10
	v_mov_b32_e32 v7, v11
	s_or_b32 s4, vcc_lo, s4
	s_andn2_b32 exec_lo, exec_lo, s4
	s_cbranch_execnz .LBB8_107
	s_branch .LBB8_32
.LBB8_108:                              ;   in Loop: Header=BB8_2 Depth=1
	s_branch .LBB8_137
.LBB8_109:                              ;   in Loop: Header=BB8_2 Depth=1
                                        ; implicit-def: $vgpr2_vgpr3
	s_cbranch_execz .LBB8_137
; %bb.110:                              ;   in Loop: Header=BB8_2 Depth=1
	v_readfirstlane_b32 s4, v64
	s_waitcnt vmcnt(0)
	v_mov_b32_e32 v2, 0
	v_mov_b32_e32 v3, 0
	v_cmp_eq_u32_e64 s4, s4, v64
	s_and_saveexec_b32 s5, s4
	s_cbranch_execz .LBB8_116
; %bb.111:                              ;   in Loop: Header=BB8_2 Depth=1
	global_load_dwordx2 v[4:5], v49, s[28:29] offset:24 glc dlc
	s_waitcnt vmcnt(0)
	buffer_gl1_inv
	buffer_gl0_inv
	s_clause 0x1
	global_load_dwordx2 v[2:3], v49, s[28:29] offset:40
	global_load_dwordx2 v[6:7], v49, s[28:29]
	s_mov_b32 s6, exec_lo
	s_waitcnt vmcnt(1)
	v_and_b32_e32 v3, v3, v5
	v_and_b32_e32 v2, v2, v4
	v_mul_lo_u32 v3, v3, 24
	v_mul_hi_u32 v8, v2, 24
	v_mul_lo_u32 v2, v2, 24
	v_add_nc_u32_e32 v3, v8, v3
	s_waitcnt vmcnt(0)
	v_add_co_u32 v2, vcc_lo, v6, v2
	v_add_co_ci_u32_e32 v3, vcc_lo, v7, v3, vcc_lo
	global_load_dwordx2 v[2:3], v[2:3], off glc dlc
	s_waitcnt vmcnt(0)
	global_atomic_cmpswap_x2 v[2:3], v49, v[2:5], s[28:29] offset:24 glc
	s_waitcnt vmcnt(0)
	buffer_gl1_inv
	buffer_gl0_inv
	v_cmpx_ne_u64_e64 v[2:3], v[4:5]
	s_cbranch_execz .LBB8_115
; %bb.112:                              ;   in Loop: Header=BB8_2 Depth=1
	s_mov_b32 s7, 0
	.p2align	6
.LBB8_113:                              ;   Parent Loop BB8_2 Depth=1
                                        ; =>  This Inner Loop Header: Depth=2
	s_sleep 1
	s_clause 0x1
	global_load_dwordx2 v[6:7], v49, s[28:29] offset:40
	global_load_dwordx2 v[8:9], v49, s[28:29]
	v_mov_b32_e32 v5, v3
	v_mov_b32_e32 v4, v2
	s_waitcnt vmcnt(1)
	v_and_b32_e32 v2, v6, v4
	v_and_b32_e32 v6, v7, v5
	s_waitcnt vmcnt(0)
	v_mad_u64_u32 v[2:3], null, v2, 24, v[8:9]
	v_mad_u64_u32 v[6:7], null, v6, 24, v[3:4]
	v_mov_b32_e32 v3, v6
	global_load_dwordx2 v[2:3], v[2:3], off glc dlc
	s_waitcnt vmcnt(0)
	global_atomic_cmpswap_x2 v[2:3], v49, v[2:5], s[28:29] offset:24 glc
	s_waitcnt vmcnt(0)
	buffer_gl1_inv
	buffer_gl0_inv
	v_cmp_eq_u64_e32 vcc_lo, v[2:3], v[4:5]
	s_or_b32 s7, vcc_lo, s7
	s_andn2_b32 exec_lo, exec_lo, s7
	s_cbranch_execnz .LBB8_113
; %bb.114:                              ;   in Loop: Header=BB8_2 Depth=1
	s_or_b32 exec_lo, exec_lo, s7
.LBB8_115:                              ;   in Loop: Header=BB8_2 Depth=1
	s_or_b32 exec_lo, exec_lo, s6
.LBB8_116:                              ;   in Loop: Header=BB8_2 Depth=1
	s_or_b32 exec_lo, exec_lo, s5
	s_clause 0x1
	global_load_dwordx2 v[8:9], v49, s[28:29] offset:40
	global_load_dwordx4 v[4:7], v49, s[28:29]
	v_readfirstlane_b32 s6, v2
	v_readfirstlane_b32 s7, v3
	s_mov_b32 s5, exec_lo
	s_waitcnt vmcnt(1)
	v_readfirstlane_b32 s8, v8
	v_readfirstlane_b32 s9, v9
	s_and_b64 s[8:9], s[6:7], s[8:9]
	s_mul_i32 s10, s9, 24
	s_mul_hi_u32 s11, s8, 24
	s_mul_i32 s12, s8, 24
	s_add_i32 s11, s11, s10
	s_waitcnt vmcnt(0)
	v_add_co_u32 v8, vcc_lo, v4, s12
	v_add_co_ci_u32_e32 v9, vcc_lo, s11, v5, vcc_lo
	s_and_saveexec_b32 s10, s4
	s_cbranch_execz .LBB8_118
; %bb.117:                              ;   in Loop: Header=BB8_2 Depth=1
	v_mov_b32_e32 v48, s5
	global_store_dwordx4 v[8:9], v[48:51], off offset:8
.LBB8_118:                              ;   in Loop: Header=BB8_2 Depth=1
	s_or_b32 exec_lo, exec_lo, s10
	s_lshl_b64 s[8:9], s[8:9], 12
	v_and_or_b32 v0, 0xffffff1f, v0, 32
	v_add_co_u32 v6, vcc_lo, v6, s8
	v_add_co_ci_u32_e32 v7, vcc_lo, s9, v7, vcc_lo
	v_lshlrev_b32_e32 v10, 6, v64
	v_mov_b32_e32 v2, v49
	v_mov_b32_e32 v3, v49
	v_readfirstlane_b32 s8, v6
	v_readfirstlane_b32 s9, v7
	v_mov_b32_e32 v11, s24
	v_mov_b32_e32 v12, s25
	;; [unrolled: 1-line block ×4, first 2 shown]
	global_store_dwordx4 v10, v[0:3], s[8:9]
	global_store_dwordx4 v10, v[11:14], s[8:9] offset:16
	global_store_dwordx4 v10, v[11:14], s[8:9] offset:32
	;; [unrolled: 1-line block ×3, first 2 shown]
	s_and_saveexec_b32 s5, s4
	s_cbranch_execz .LBB8_126
; %bb.119:                              ;   in Loop: Header=BB8_2 Depth=1
	s_clause 0x1
	global_load_dwordx2 v[13:14], v49, s[28:29] offset:32 glc dlc
	global_load_dwordx2 v[0:1], v49, s[28:29] offset:40
	v_mov_b32_e32 v11, s6
	v_mov_b32_e32 v12, s7
	s_waitcnt vmcnt(0)
	v_readfirstlane_b32 s8, v0
	v_readfirstlane_b32 s9, v1
	s_and_b64 s[8:9], s[8:9], s[6:7]
	s_mul_i32 s9, s9, 24
	s_mul_hi_u32 s10, s8, 24
	s_mul_i32 s8, s8, 24
	s_add_i32 s10, s10, s9
	v_add_co_u32 v4, vcc_lo, v4, s8
	v_add_co_ci_u32_e32 v5, vcc_lo, s10, v5, vcc_lo
	s_mov_b32 s8, exec_lo
	global_store_dwordx2 v[4:5], v[13:14], off
	s_waitcnt_vscnt null, 0x0
	global_atomic_cmpswap_x2 v[2:3], v49, v[11:14], s[28:29] offset:32 glc
	s_waitcnt vmcnt(0)
	v_cmpx_ne_u64_e64 v[2:3], v[13:14]
	s_cbranch_execz .LBB8_122
; %bb.120:                              ;   in Loop: Header=BB8_2 Depth=1
	s_mov_b32 s9, 0
.LBB8_121:                              ;   Parent Loop BB8_2 Depth=1
                                        ; =>  This Inner Loop Header: Depth=2
	v_mov_b32_e32 v0, s6
	v_mov_b32_e32 v1, s7
	s_sleep 1
	global_store_dwordx2 v[4:5], v[2:3], off
	s_waitcnt_vscnt null, 0x0
	global_atomic_cmpswap_x2 v[0:1], v49, v[0:3], s[28:29] offset:32 glc
	s_waitcnt vmcnt(0)
	v_cmp_eq_u64_e32 vcc_lo, v[0:1], v[2:3]
	v_mov_b32_e32 v3, v1
	v_mov_b32_e32 v2, v0
	s_or_b32 s9, vcc_lo, s9
	s_andn2_b32 exec_lo, exec_lo, s9
	s_cbranch_execnz .LBB8_121
.LBB8_122:                              ;   in Loop: Header=BB8_2 Depth=1
	s_or_b32 exec_lo, exec_lo, s8
	global_load_dwordx2 v[0:1], v49, s[28:29] offset:16
	s_mov_b32 s9, exec_lo
	s_mov_b32 s8, exec_lo
	v_mbcnt_lo_u32_b32 v2, s9, 0
	v_cmpx_eq_u32_e32 0, v2
	s_cbranch_execz .LBB8_124
; %bb.123:                              ;   in Loop: Header=BB8_2 Depth=1
	s_bcnt1_i32_b32 s9, s9
	v_mov_b32_e32 v48, s9
	s_waitcnt vmcnt(0)
	global_atomic_add_x2 v[0:1], v[48:49], off offset:8
.LBB8_124:                              ;   in Loop: Header=BB8_2 Depth=1
	s_or_b32 exec_lo, exec_lo, s8
	s_waitcnt vmcnt(0)
	global_load_dwordx2 v[2:3], v[0:1], off offset:16
	s_waitcnt vmcnt(0)
	v_cmp_eq_u64_e32 vcc_lo, 0, v[2:3]
	s_cbranch_vccnz .LBB8_126
; %bb.125:                              ;   in Loop: Header=BB8_2 Depth=1
	global_load_dword v48, v[0:1], off offset:24
	s_waitcnt vmcnt(0)
	v_and_b32_e32 v0, 0x7fffff, v48
	s_waitcnt_vscnt null, 0x0
	global_store_dwordx2 v[2:3], v[48:49], off
	v_readfirstlane_b32 m0, v0
	s_sendmsg sendmsg(MSG_INTERRUPT)
.LBB8_126:                              ;   in Loop: Header=BB8_2 Depth=1
	s_or_b32 exec_lo, exec_lo, s5
	v_add_co_u32 v0, vcc_lo, v6, v10
	v_add_co_ci_u32_e32 v1, vcc_lo, 0, v7, vcc_lo
	s_branch .LBB8_130
	.p2align	6
.LBB8_127:                              ;   in Loop: Header=BB8_130 Depth=2
	s_or_b32 exec_lo, exec_lo, s5
	v_readfirstlane_b32 s5, v2
	s_cmp_eq_u32 s5, 0
	s_cbranch_scc1 .LBB8_129
; %bb.128:                              ;   in Loop: Header=BB8_130 Depth=2
	s_sleep 1
	s_cbranch_execnz .LBB8_130
	s_branch .LBB8_132
	.p2align	6
.LBB8_129:                              ;   in Loop: Header=BB8_2 Depth=1
	s_branch .LBB8_132
.LBB8_130:                              ;   Parent Loop BB8_2 Depth=1
                                        ; =>  This Inner Loop Header: Depth=2
	v_mov_b32_e32 v2, 1
	s_and_saveexec_b32 s5, s4
	s_cbranch_execz .LBB8_127
; %bb.131:                              ;   in Loop: Header=BB8_130 Depth=2
	global_load_dword v2, v[8:9], off offset:20 glc dlc
	s_waitcnt vmcnt(0)
	buffer_gl1_inv
	buffer_gl0_inv
	v_and_b32_e32 v2, 1, v2
	s_branch .LBB8_127
.LBB8_132:                              ;   in Loop: Header=BB8_2 Depth=1
	global_load_dwordx2 v[2:3], v[0:1], off
	s_and_saveexec_b32 s5, s4
	s_cbranch_execz .LBB8_136
; %bb.133:                              ;   in Loop: Header=BB8_2 Depth=1
	s_clause 0x2
	global_load_dwordx2 v[0:1], v49, s[28:29] offset:40
	global_load_dwordx2 v[8:9], v49, s[28:29] offset:24 glc dlc
	global_load_dwordx2 v[6:7], v49, s[28:29]
	s_waitcnt vmcnt(2)
	v_add_co_u32 v10, vcc_lo, v0, 1
	v_add_co_ci_u32_e32 v11, vcc_lo, 0, v1, vcc_lo
	v_add_co_u32 v4, vcc_lo, v10, s6
	v_add_co_ci_u32_e32 v5, vcc_lo, s7, v11, vcc_lo
	v_cmp_eq_u64_e32 vcc_lo, 0, v[4:5]
	v_cndmask_b32_e32 v5, v5, v11, vcc_lo
	v_cndmask_b32_e32 v4, v4, v10, vcc_lo
	v_and_b32_e32 v1, v5, v1
	v_and_b32_e32 v0, v4, v0
	v_mul_lo_u32 v1, v1, 24
	v_mul_hi_u32 v10, v0, 24
	v_mul_lo_u32 v0, v0, 24
	v_add_nc_u32_e32 v1, v10, v1
	s_waitcnt vmcnt(0)
	v_add_co_u32 v0, vcc_lo, v6, v0
	v_mov_b32_e32 v6, v8
	v_add_co_ci_u32_e32 v1, vcc_lo, v7, v1, vcc_lo
	v_mov_b32_e32 v7, v9
	global_store_dwordx2 v[0:1], v[8:9], off
	s_waitcnt_vscnt null, 0x0
	global_atomic_cmpswap_x2 v[6:7], v49, v[4:7], s[28:29] offset:24 glc
	s_waitcnt vmcnt(0)
	v_cmp_ne_u64_e32 vcc_lo, v[6:7], v[8:9]
	s_and_b32 exec_lo, exec_lo, vcc_lo
	s_cbranch_execz .LBB8_136
; %bb.134:                              ;   in Loop: Header=BB8_2 Depth=1
	s_mov_b32 s4, 0
.LBB8_135:                              ;   Parent Loop BB8_2 Depth=1
                                        ; =>  This Inner Loop Header: Depth=2
	s_sleep 1
	global_store_dwordx2 v[0:1], v[6:7], off
	s_waitcnt_vscnt null, 0x0
	global_atomic_cmpswap_x2 v[8:9], v49, v[4:7], s[28:29] offset:24 glc
	s_waitcnt vmcnt(0)
	v_cmp_eq_u64_e32 vcc_lo, v[8:9], v[6:7]
	v_mov_b32_e32 v6, v8
	v_mov_b32_e32 v7, v9
	s_or_b32 s4, vcc_lo, s4
	s_andn2_b32 exec_lo, exec_lo, s4
	s_cbranch_execnz .LBB8_135
.LBB8_136:                              ;   in Loop: Header=BB8_2 Depth=1
	s_or_b32 exec_lo, exec_lo, s5
.LBB8_137:                              ;   in Loop: Header=BB8_2 Depth=1
	v_readfirstlane_b32 s4, v64
	s_waitcnt vmcnt(0)
	v_mov_b32_e32 v0, 0
	v_mov_b32_e32 v1, 0
	v_cmp_eq_u32_e64 s4, s4, v64
	s_and_saveexec_b32 s5, s4
	s_cbranch_execz .LBB8_143
; %bb.138:                              ;   in Loop: Header=BB8_2 Depth=1
	global_load_dwordx2 v[6:7], v49, s[28:29] offset:24 glc dlc
	s_waitcnt vmcnt(0)
	buffer_gl1_inv
	buffer_gl0_inv
	s_clause 0x1
	global_load_dwordx2 v[0:1], v49, s[28:29] offset:40
	global_load_dwordx2 v[4:5], v49, s[28:29]
	s_mov_b32 s6, exec_lo
	s_waitcnt vmcnt(1)
	v_and_b32_e32 v1, v1, v7
	v_and_b32_e32 v0, v0, v6
	v_mul_lo_u32 v1, v1, 24
	v_mul_hi_u32 v8, v0, 24
	v_mul_lo_u32 v0, v0, 24
	v_add_nc_u32_e32 v1, v8, v1
	s_waitcnt vmcnt(0)
	v_add_co_u32 v0, vcc_lo, v4, v0
	v_add_co_ci_u32_e32 v1, vcc_lo, v5, v1, vcc_lo
	global_load_dwordx2 v[4:5], v[0:1], off glc dlc
	s_waitcnt vmcnt(0)
	global_atomic_cmpswap_x2 v[0:1], v49, v[4:7], s[28:29] offset:24 glc
	s_waitcnt vmcnt(0)
	buffer_gl1_inv
	buffer_gl0_inv
	v_cmpx_ne_u64_e64 v[0:1], v[6:7]
	s_cbranch_execz .LBB8_142
; %bb.139:                              ;   in Loop: Header=BB8_2 Depth=1
	s_mov_b32 s7, 0
	.p2align	6
.LBB8_140:                              ;   Parent Loop BB8_2 Depth=1
                                        ; =>  This Inner Loop Header: Depth=2
	s_sleep 1
	s_clause 0x1
	global_load_dwordx2 v[4:5], v49, s[28:29] offset:40
	global_load_dwordx2 v[8:9], v49, s[28:29]
	v_mov_b32_e32 v7, v1
	v_mov_b32_e32 v6, v0
	s_waitcnt vmcnt(1)
	v_and_b32_e32 v0, v4, v6
	v_and_b32_e32 v4, v5, v7
	s_waitcnt vmcnt(0)
	v_mad_u64_u32 v[0:1], null, v0, 24, v[8:9]
	v_mad_u64_u32 v[4:5], null, v4, 24, v[1:2]
	v_mov_b32_e32 v1, v4
	global_load_dwordx2 v[4:5], v[0:1], off glc dlc
	s_waitcnt vmcnt(0)
	global_atomic_cmpswap_x2 v[0:1], v49, v[4:7], s[28:29] offset:24 glc
	s_waitcnt vmcnt(0)
	buffer_gl1_inv
	buffer_gl0_inv
	v_cmp_eq_u64_e32 vcc_lo, v[0:1], v[6:7]
	s_or_b32 s7, vcc_lo, s7
	s_andn2_b32 exec_lo, exec_lo, s7
	s_cbranch_execnz .LBB8_140
; %bb.141:                              ;   in Loop: Header=BB8_2 Depth=1
	s_or_b32 exec_lo, exec_lo, s7
.LBB8_142:                              ;   in Loop: Header=BB8_2 Depth=1
	s_or_b32 exec_lo, exec_lo, s6
.LBB8_143:                              ;   in Loop: Header=BB8_2 Depth=1
	s_or_b32 exec_lo, exec_lo, s5
	s_clause 0x1
	global_load_dwordx2 v[4:5], v49, s[28:29] offset:40
	global_load_dwordx4 v[6:9], v49, s[28:29]
	v_readfirstlane_b32 s6, v0
	v_readfirstlane_b32 s7, v1
	s_mov_b32 s5, exec_lo
	s_waitcnt vmcnt(1)
	v_readfirstlane_b32 s8, v4
	v_readfirstlane_b32 s9, v5
	s_and_b64 s[8:9], s[6:7], s[8:9]
	s_mul_i32 s10, s9, 24
	s_mul_hi_u32 s11, s8, 24
	s_mul_i32 s12, s8, 24
	s_add_i32 s11, s11, s10
	s_waitcnt vmcnt(0)
	v_add_co_u32 v10, vcc_lo, v6, s12
	v_add_co_ci_u32_e32 v11, vcc_lo, s11, v7, vcc_lo
	s_and_saveexec_b32 s10, s4
	s_cbranch_execz .LBB8_145
; %bb.144:                              ;   in Loop: Header=BB8_2 Depth=1
	v_mov_b32_e32 v48, s5
	global_store_dwordx4 v[10:11], v[48:51], off offset:8
.LBB8_145:                              ;   in Loop: Header=BB8_2 Depth=1
	s_or_b32 exec_lo, exec_lo, s10
	s_lshl_b64 s[8:9], s[8:9], 12
	v_and_or_b32 v2, 0xffffff1d, v2, 34
	v_add_co_u32 v0, vcc_lo, v8, s8
	v_add_co_ci_u32_e32 v1, vcc_lo, s9, v9, vcc_lo
	s_waitcnt lgkmcnt(0)
	v_ashrrev_i32_e32 v5, 31, v24
	v_lshlrev_b32_e32 v8, 6, v64
	v_mov_b32_e32 v4, v24
	v_readfirstlane_b32 s8, v0
	v_readfirstlane_b32 s9, v1
	v_mov_b32_e32 v12, s24
	v_mov_b32_e32 v13, s25
	;; [unrolled: 1-line block ×4, first 2 shown]
	global_store_dwordx4 v8, v[2:5], s[8:9]
	global_store_dwordx4 v8, v[12:15], s[8:9] offset:16
	global_store_dwordx4 v8, v[12:15], s[8:9] offset:32
	;; [unrolled: 1-line block ×3, first 2 shown]
	s_and_saveexec_b32 s5, s4
	s_cbranch_execz .LBB8_153
; %bb.146:                              ;   in Loop: Header=BB8_2 Depth=1
	s_clause 0x1
	global_load_dwordx2 v[8:9], v49, s[28:29] offset:32 glc dlc
	global_load_dwordx2 v[0:1], v49, s[28:29] offset:40
	s_waitcnt vmcnt(0)
	v_readfirstlane_b32 s8, v0
	v_readfirstlane_b32 s9, v1
	s_and_b64 s[8:9], s[8:9], s[6:7]
	s_mul_i32 s9, s9, 24
	s_mul_hi_u32 s10, s8, 24
	s_mul_i32 s8, s8, 24
	s_add_i32 s10, s10, s9
	v_add_co_u32 v4, vcc_lo, v6, s8
	v_add_co_ci_u32_e32 v5, vcc_lo, s10, v7, vcc_lo
	v_mov_b32_e32 v6, s6
	v_mov_b32_e32 v7, s7
	s_mov_b32 s8, exec_lo
	global_store_dwordx2 v[4:5], v[8:9], off
	s_waitcnt_vscnt null, 0x0
	global_atomic_cmpswap_x2 v[2:3], v49, v[6:9], s[28:29] offset:32 glc
	s_waitcnt vmcnt(0)
	v_cmpx_ne_u64_e64 v[2:3], v[8:9]
	s_cbranch_execz .LBB8_149
; %bb.147:                              ;   in Loop: Header=BB8_2 Depth=1
	s_mov_b32 s9, 0
.LBB8_148:                              ;   Parent Loop BB8_2 Depth=1
                                        ; =>  This Inner Loop Header: Depth=2
	v_mov_b32_e32 v0, s6
	v_mov_b32_e32 v1, s7
	s_sleep 1
	global_store_dwordx2 v[4:5], v[2:3], off
	s_waitcnt_vscnt null, 0x0
	global_atomic_cmpswap_x2 v[0:1], v49, v[0:3], s[28:29] offset:32 glc
	s_waitcnt vmcnt(0)
	v_cmp_eq_u64_e32 vcc_lo, v[0:1], v[2:3]
	v_mov_b32_e32 v3, v1
	v_mov_b32_e32 v2, v0
	s_or_b32 s9, vcc_lo, s9
	s_andn2_b32 exec_lo, exec_lo, s9
	s_cbranch_execnz .LBB8_148
.LBB8_149:                              ;   in Loop: Header=BB8_2 Depth=1
	s_or_b32 exec_lo, exec_lo, s8
	global_load_dwordx2 v[0:1], v49, s[28:29] offset:16
	s_mov_b32 s9, exec_lo
	s_mov_b32 s8, exec_lo
	v_mbcnt_lo_u32_b32 v2, s9, 0
	v_cmpx_eq_u32_e32 0, v2
	s_cbranch_execz .LBB8_151
; %bb.150:                              ;   in Loop: Header=BB8_2 Depth=1
	s_bcnt1_i32_b32 s9, s9
	v_mov_b32_e32 v48, s9
	s_waitcnt vmcnt(0)
	global_atomic_add_x2 v[0:1], v[48:49], off offset:8
.LBB8_151:                              ;   in Loop: Header=BB8_2 Depth=1
	s_or_b32 exec_lo, exec_lo, s8
	s_waitcnt vmcnt(0)
	global_load_dwordx2 v[2:3], v[0:1], off offset:16
	s_waitcnt vmcnt(0)
	v_cmp_eq_u64_e32 vcc_lo, 0, v[2:3]
	s_cbranch_vccnz .LBB8_153
; %bb.152:                              ;   in Loop: Header=BB8_2 Depth=1
	global_load_dword v48, v[0:1], off offset:24
	s_waitcnt vmcnt(0)
	v_and_b32_e32 v0, 0x7fffff, v48
	s_waitcnt_vscnt null, 0x0
	global_store_dwordx2 v[2:3], v[48:49], off
	v_readfirstlane_b32 m0, v0
	s_sendmsg sendmsg(MSG_INTERRUPT)
.LBB8_153:                              ;   in Loop: Header=BB8_2 Depth=1
	s_or_b32 exec_lo, exec_lo, s5
	s_branch .LBB8_157
	.p2align	6
.LBB8_154:                              ;   in Loop: Header=BB8_157 Depth=2
	s_or_b32 exec_lo, exec_lo, s5
	v_readfirstlane_b32 s5, v0
	s_cmp_eq_u32 s5, 0
	s_cbranch_scc1 .LBB8_156
; %bb.155:                              ;   in Loop: Header=BB8_157 Depth=2
	s_sleep 1
	s_cbranch_execnz .LBB8_157
	s_branch .LBB8_159
	.p2align	6
.LBB8_156:                              ;   in Loop: Header=BB8_2 Depth=1
	s_branch .LBB8_159
.LBB8_157:                              ;   Parent Loop BB8_2 Depth=1
                                        ; =>  This Inner Loop Header: Depth=2
	v_mov_b32_e32 v0, 1
	s_and_saveexec_b32 s5, s4
	s_cbranch_execz .LBB8_154
; %bb.158:                              ;   in Loop: Header=BB8_157 Depth=2
	global_load_dword v0, v[10:11], off offset:20 glc dlc
	s_waitcnt vmcnt(0)
	buffer_gl1_inv
	buffer_gl0_inv
	v_and_b32_e32 v0, 1, v0
	s_branch .LBB8_154
.LBB8_159:                              ;   in Loop: Header=BB8_2 Depth=1
	s_and_saveexec_b32 s5, s4
	s_cbranch_execz .LBB8_1
; %bb.160:                              ;   in Loop: Header=BB8_2 Depth=1
	s_clause 0x2
	global_load_dwordx2 v[2:3], v49, s[28:29] offset:40
	global_load_dwordx2 v[6:7], v49, s[28:29] offset:24 glc dlc
	global_load_dwordx2 v[4:5], v49, s[28:29]
	s_waitcnt vmcnt(2)
	v_add_co_u32 v8, vcc_lo, v2, 1
	v_add_co_ci_u32_e32 v9, vcc_lo, 0, v3, vcc_lo
	v_add_co_u32 v0, vcc_lo, v8, s6
	v_add_co_ci_u32_e32 v1, vcc_lo, s7, v9, vcc_lo
	v_cmp_eq_u64_e32 vcc_lo, 0, v[0:1]
	v_cndmask_b32_e32 v1, v1, v9, vcc_lo
	v_cndmask_b32_e32 v0, v0, v8, vcc_lo
	v_and_b32_e32 v3, v1, v3
	v_and_b32_e32 v2, v0, v2
	v_mul_lo_u32 v3, v3, 24
	v_mul_hi_u32 v8, v2, 24
	v_mul_lo_u32 v2, v2, 24
	v_add_nc_u32_e32 v3, v8, v3
	s_waitcnt vmcnt(0)
	v_add_co_u32 v4, vcc_lo, v4, v2
	v_mov_b32_e32 v2, v6
	v_add_co_ci_u32_e32 v5, vcc_lo, v5, v3, vcc_lo
	v_mov_b32_e32 v3, v7
	global_store_dwordx2 v[4:5], v[6:7], off
	s_waitcnt_vscnt null, 0x0
	global_atomic_cmpswap_x2 v[2:3], v49, v[0:3], s[28:29] offset:24 glc
	s_waitcnt vmcnt(0)
	v_cmp_ne_u64_e32 vcc_lo, v[2:3], v[6:7]
	s_and_b32 exec_lo, exec_lo, vcc_lo
	s_cbranch_execz .LBB8_1
; %bb.161:                              ;   in Loop: Header=BB8_2 Depth=1
	s_mov_b32 s4, 0
.LBB8_162:                              ;   Parent Loop BB8_2 Depth=1
                                        ; =>  This Inner Loop Header: Depth=2
	s_sleep 1
	global_store_dwordx2 v[4:5], v[2:3], off
	s_waitcnt_vscnt null, 0x0
	global_atomic_cmpswap_x2 v[6:7], v49, v[0:3], s[28:29] offset:24 glc
	s_waitcnt vmcnt(0)
	v_cmp_eq_u64_e32 vcc_lo, v[6:7], v[2:3]
	v_mov_b32_e32 v2, v6
	v_mov_b32_e32 v3, v7
	s_or_b32 s4, vcc_lo, s4
	s_andn2_b32 exec_lo, exec_lo, s4
	s_cbranch_execnz .LBB8_162
	s_branch .LBB8_1
.LBB8_163:
	s_getpc_b64 s[24:25]
	s_add_u32 s24, s24, .str.8@rel32@lo+4
	s_addc_u32 s25, s25, .str.8@rel32@hi+12
	v_mov_b32_e32 v0, s24
	v_mov_b32_e32 v1, s25
	s_mov_b64 s[8:9], s[22:23]
	s_getpc_b64 s[26:27]
	s_add_u32 s26, s26, _ZNK8migraphx13basic_printerIZNS_4coutEvEUlT_E_ElsEPKc@rel32@lo+4
	s_addc_u32 s27, s27, _ZNK8migraphx13basic_printerIZNS_4coutEvEUlT_E_ElsEPKc@rel32@hi+12
	s_swappc_b64 s[30:31], s[26:27]
	s_getpc_b64 s[4:5]
	s_add_u32 s4, s4, .str.10@rel32@lo+4
	s_addc_u32 s5, s5, .str.10@rel32@hi+12
	v_mov_b32_e32 v0, s4
	v_mov_b32_e32 v1, s5
	s_mov_b64 s[8:9], s[22:23]
	s_swappc_b64 s[30:31], s[26:27]
	v_mov_b32_e32 v0, s24
	v_mov_b32_e32 v1, s25
	s_mov_b64 s[8:9], s[22:23]
	s_swappc_b64 s[30:31], s[26:27]
	flat_load_dwordx2 v[52:53], v[36:37] offset:8
	v_mov_b32_e32 v37, 0
	v_mov_b32_e32 v38, 2
	;; [unrolled: 1-line block ×4, first 2 shown]
	s_mov_b32 s35, 0
	v_mov_b32_e32 v49, v37
	v_mov_b32_e32 v50, v37
	;; [unrolled: 1-line block ×3, first 2 shown]
	s_mov_b32 s24, s35
	s_mov_b32 s25, s35
	;; [unrolled: 1-line block ×5, first 2 shown]
	s_branch .LBB8_165
.LBB8_164:                              ;   in Loop: Header=BB8_165 Depth=1
	s_or_b32 exec_lo, exec_lo, s5
	s_add_i32 s34, s34, 1
	s_cmp_lg_u32 s34, 5
	s_cbranch_scc0 .LBB8_326
.LBB8_165:                              ; =>This Loop Header: Depth=1
                                        ;     Child Loop BB8_170 Depth 2
                                        ;     Child Loop BB8_178 Depth 2
	;; [unrolled: 1-line block ×9, first 2 shown]
                                        ;       Child Loop BB8_199 Depth 3
                                        ;       Child Loop BB8_206 Depth 3
	;; [unrolled: 1-line block ×11, first 2 shown]
                                        ;     Child Loop BB8_303 Depth 2
                                        ;     Child Loop BB8_311 Depth 2
	;; [unrolled: 1-line block ×4, first 2 shown]
	s_cmp_eq_u32 s34, 0
	s_cbranch_scc1 .LBB8_167
; %bb.166:                              ;   in Loop: Header=BB8_165 Depth=1
	s_getpc_b64 s[4:5]
	s_add_u32 s4, s4, .str.11@rel32@lo+4
	s_addc_u32 s5, s5, .str.11@rel32@hi+12
	v_mov_b32_e32 v0, s4
	v_mov_b32_e32 v1, s5
	s_mov_b64 s[8:9], s[22:23]
	s_getpc_b64 s[6:7]
	s_add_u32 s6, s6, _ZNK8migraphx13basic_printerIZNS_4coutEvEUlT_E_ElsEPKc@rel32@lo+4
	s_addc_u32 s7, s7, _ZNK8migraphx13basic_printerIZNS_4coutEvEUlT_E_ElsEPKc@rel32@hi+12
	s_swappc_b64 s[30:31], s[6:7]
.LBB8_167:                              ;   in Loop: Header=BB8_165 Depth=1
	s_lshl_b64 s[4:5], s[34:35], 2
	v_mov_b32_e32 v4, 0
	s_waitcnt vmcnt(0) lgkmcnt(0)
	v_add_co_u32 v0, vcc_lo, v52, s4
	v_add_co_ci_u32_e32 v1, vcc_lo, s5, v53, vcc_lo
	v_readfirstlane_b32 s4, v64
	v_mov_b32_e32 v5, 0
	flat_load_dword v24, v[0:1]
	v_cmp_eq_u32_e64 s4, s4, v64
	s_and_saveexec_b32 s5, s4
	s_cbranch_execz .LBB8_173
; %bb.168:                              ;   in Loop: Header=BB8_165 Depth=1
	global_load_dwordx2 v[2:3], v37, s[28:29] offset:24 glc dlc
	s_waitcnt vmcnt(0)
	buffer_gl1_inv
	buffer_gl0_inv
	s_clause 0x1
	global_load_dwordx2 v[0:1], v37, s[28:29] offset:40
	global_load_dwordx2 v[4:5], v37, s[28:29]
	s_mov_b32 s6, exec_lo
	s_waitcnt vmcnt(1)
	v_and_b32_e32 v1, v1, v3
	v_and_b32_e32 v0, v0, v2
	v_mul_lo_u32 v1, v1, 24
	v_mul_hi_u32 v6, v0, 24
	v_mul_lo_u32 v0, v0, 24
	v_add_nc_u32_e32 v1, v6, v1
	s_waitcnt vmcnt(0)
	v_add_co_u32 v0, vcc_lo, v4, v0
	v_add_co_ci_u32_e32 v1, vcc_lo, v5, v1, vcc_lo
	global_load_dwordx2 v[0:1], v[0:1], off glc dlc
	s_waitcnt vmcnt(0)
	global_atomic_cmpswap_x2 v[4:5], v37, v[0:3], s[28:29] offset:24 glc
	s_waitcnt vmcnt(0)
	buffer_gl1_inv
	buffer_gl0_inv
	v_cmpx_ne_u64_e64 v[4:5], v[2:3]
	s_cbranch_execz .LBB8_172
; %bb.169:                              ;   in Loop: Header=BB8_165 Depth=1
	s_mov_b32 s7, 0
	.p2align	6
.LBB8_170:                              ;   Parent Loop BB8_165 Depth=1
                                        ; =>  This Inner Loop Header: Depth=2
	s_sleep 1
	s_clause 0x1
	global_load_dwordx2 v[0:1], v37, s[28:29] offset:40
	global_load_dwordx2 v[6:7], v37, s[28:29]
	v_mov_b32_e32 v2, v4
	v_mov_b32_e32 v3, v5
	s_waitcnt vmcnt(1)
	v_and_b32_e32 v0, v0, v2
	v_and_b32_e32 v1, v1, v3
	s_waitcnt vmcnt(0)
	v_mad_u64_u32 v[4:5], null, v0, 24, v[6:7]
	v_mov_b32_e32 v0, v5
	v_mad_u64_u32 v[0:1], null, v1, 24, v[0:1]
	v_mov_b32_e32 v5, v0
	global_load_dwordx2 v[0:1], v[4:5], off glc dlc
	s_waitcnt vmcnt(0)
	global_atomic_cmpswap_x2 v[4:5], v37, v[0:3], s[28:29] offset:24 glc
	s_waitcnt vmcnt(0)
	buffer_gl1_inv
	buffer_gl0_inv
	v_cmp_eq_u64_e32 vcc_lo, v[4:5], v[2:3]
	s_or_b32 s7, vcc_lo, s7
	s_andn2_b32 exec_lo, exec_lo, s7
	s_cbranch_execnz .LBB8_170
; %bb.171:                              ;   in Loop: Header=BB8_165 Depth=1
	s_or_b32 exec_lo, exec_lo, s7
.LBB8_172:                              ;   in Loop: Header=BB8_165 Depth=1
	s_or_b32 exec_lo, exec_lo, s6
.LBB8_173:                              ;   in Loop: Header=BB8_165 Depth=1
	s_or_b32 exec_lo, exec_lo, s5
	s_clause 0x1
	global_load_dwordx2 v[6:7], v37, s[28:29] offset:40
	global_load_dwordx4 v[0:3], v37, s[28:29]
	v_readfirstlane_b32 s6, v4
	v_readfirstlane_b32 s7, v5
	s_mov_b32 s5, exec_lo
	s_waitcnt vmcnt(1)
	v_readfirstlane_b32 s8, v6
	v_readfirstlane_b32 s9, v7
	s_and_b64 s[8:9], s[6:7], s[8:9]
	s_mul_i32 s10, s9, 24
	s_mul_hi_u32 s11, s8, 24
	s_mul_i32 s12, s8, 24
	s_add_i32 s11, s11, s10
	s_waitcnt vmcnt(0)
	v_add_co_u32 v4, vcc_lo, v0, s12
	v_add_co_ci_u32_e32 v5, vcc_lo, s11, v1, vcc_lo
	s_and_saveexec_b32 s10, s4
	s_cbranch_execz .LBB8_175
; %bb.174:                              ;   in Loop: Header=BB8_165 Depth=1
	v_mov_b32_e32 v36, s5
	global_store_dwordx4 v[4:5], v[36:39], off offset:8
.LBB8_175:                              ;   in Loop: Header=BB8_165 Depth=1
	s_or_b32 exec_lo, exec_lo, s10
	s_lshl_b64 s[8:9], s[8:9], 12
	v_mov_b32_e32 v10, s24
	v_add_co_u32 v8, vcc_lo, v2, s8
	v_add_co_ci_u32_e32 v9, vcc_lo, s9, v3, vcc_lo
	v_mov_b32_e32 v11, s25
	v_readfirstlane_b32 s8, v8
	v_mov_b32_e32 v12, s26
	v_readfirstlane_b32 s9, v9
	v_mov_b32_e32 v13, s27
	global_store_dwordx4 v65, v[48:51], s[8:9]
	global_store_dwordx4 v65, v[10:13], s[8:9] offset:16
	global_store_dwordx4 v65, v[10:13], s[8:9] offset:32
	;; [unrolled: 1-line block ×3, first 2 shown]
	s_and_saveexec_b32 s5, s4
	s_cbranch_execz .LBB8_183
; %bb.176:                              ;   in Loop: Header=BB8_165 Depth=1
	s_clause 0x1
	global_load_dwordx2 v[12:13], v37, s[28:29] offset:32 glc dlc
	global_load_dwordx2 v[2:3], v37, s[28:29] offset:40
	v_mov_b32_e32 v10, s6
	v_mov_b32_e32 v11, s7
	s_waitcnt vmcnt(0)
	v_readfirstlane_b32 s8, v2
	v_readfirstlane_b32 s9, v3
	s_and_b64 s[8:9], s[8:9], s[6:7]
	s_mul_i32 s9, s9, 24
	s_mul_hi_u32 s10, s8, 24
	s_mul_i32 s8, s8, 24
	s_add_i32 s10, s10, s9
	v_add_co_u32 v6, vcc_lo, v0, s8
	v_add_co_ci_u32_e32 v7, vcc_lo, s10, v1, vcc_lo
	s_mov_b32 s8, exec_lo
	global_store_dwordx2 v[6:7], v[12:13], off
	s_waitcnt_vscnt null, 0x0
	global_atomic_cmpswap_x2 v[2:3], v37, v[10:13], s[28:29] offset:32 glc
	s_waitcnt vmcnt(0)
	v_cmpx_ne_u64_e64 v[2:3], v[12:13]
	s_cbranch_execz .LBB8_179
; %bb.177:                              ;   in Loop: Header=BB8_165 Depth=1
	s_mov_b32 s9, 0
.LBB8_178:                              ;   Parent Loop BB8_165 Depth=1
                                        ; =>  This Inner Loop Header: Depth=2
	v_mov_b32_e32 v0, s6
	v_mov_b32_e32 v1, s7
	s_sleep 1
	global_store_dwordx2 v[6:7], v[2:3], off
	s_waitcnt_vscnt null, 0x0
	global_atomic_cmpswap_x2 v[0:1], v37, v[0:3], s[28:29] offset:32 glc
	s_waitcnt vmcnt(0)
	v_cmp_eq_u64_e32 vcc_lo, v[0:1], v[2:3]
	v_mov_b32_e32 v3, v1
	v_mov_b32_e32 v2, v0
	s_or_b32 s9, vcc_lo, s9
	s_andn2_b32 exec_lo, exec_lo, s9
	s_cbranch_execnz .LBB8_178
.LBB8_179:                              ;   in Loop: Header=BB8_165 Depth=1
	s_or_b32 exec_lo, exec_lo, s8
	global_load_dwordx2 v[0:1], v37, s[28:29] offset:16
	s_mov_b32 s9, exec_lo
	s_mov_b32 s8, exec_lo
	v_mbcnt_lo_u32_b32 v2, s9, 0
	v_cmpx_eq_u32_e32 0, v2
	s_cbranch_execz .LBB8_181
; %bb.180:                              ;   in Loop: Header=BB8_165 Depth=1
	s_bcnt1_i32_b32 s9, s9
	v_mov_b32_e32 v36, s9
	s_waitcnt vmcnt(0)
	global_atomic_add_x2 v[0:1], v[36:37], off offset:8
.LBB8_181:                              ;   in Loop: Header=BB8_165 Depth=1
	s_or_b32 exec_lo, exec_lo, s8
	s_waitcnt vmcnt(0)
	global_load_dwordx2 v[2:3], v[0:1], off offset:16
	s_waitcnt vmcnt(0)
	v_cmp_eq_u64_e32 vcc_lo, 0, v[2:3]
	s_cbranch_vccnz .LBB8_183
; %bb.182:                              ;   in Loop: Header=BB8_165 Depth=1
	global_load_dword v36, v[0:1], off offset:24
	s_waitcnt vmcnt(0)
	v_and_b32_e32 v0, 0x7fffff, v36
	s_waitcnt_vscnt null, 0x0
	global_store_dwordx2 v[2:3], v[36:37], off
	v_readfirstlane_b32 m0, v0
	s_sendmsg sendmsg(MSG_INTERRUPT)
.LBB8_183:                              ;   in Loop: Header=BB8_165 Depth=1
	s_or_b32 exec_lo, exec_lo, s5
	v_add_co_u32 v0, vcc_lo, v8, v65
	v_add_co_ci_u32_e32 v1, vcc_lo, 0, v9, vcc_lo
	s_branch .LBB8_187
	.p2align	6
.LBB8_184:                              ;   in Loop: Header=BB8_187 Depth=2
	s_or_b32 exec_lo, exec_lo, s5
	v_readfirstlane_b32 s5, v2
	s_cmp_eq_u32 s5, 0
	s_cbranch_scc1 .LBB8_186
; %bb.185:                              ;   in Loop: Header=BB8_187 Depth=2
	s_sleep 1
	s_cbranch_execnz .LBB8_187
	s_branch .LBB8_189
	.p2align	6
.LBB8_186:                              ;   in Loop: Header=BB8_165 Depth=1
	s_branch .LBB8_189
.LBB8_187:                              ;   Parent Loop BB8_165 Depth=1
                                        ; =>  This Inner Loop Header: Depth=2
	v_mov_b32_e32 v2, 1
	s_and_saveexec_b32 s5, s4
	s_cbranch_execz .LBB8_184
; %bb.188:                              ;   in Loop: Header=BB8_187 Depth=2
	global_load_dword v2, v[4:5], off offset:20 glc dlc
	s_waitcnt vmcnt(0)
	buffer_gl1_inv
	buffer_gl0_inv
	v_and_b32_e32 v2, 1, v2
	s_branch .LBB8_184
.LBB8_189:                              ;   in Loop: Header=BB8_165 Depth=1
	global_load_dwordx2 v[0:1], v[0:1], off
	s_and_saveexec_b32 s5, s4
	s_cbranch_execz .LBB8_193
; %bb.190:                              ;   in Loop: Header=BB8_165 Depth=1
	s_clause 0x2
	global_load_dwordx2 v[4:5], v37, s[28:29] offset:40
	global_load_dwordx2 v[8:9], v37, s[28:29] offset:24 glc dlc
	global_load_dwordx2 v[6:7], v37, s[28:29]
	s_waitcnt vmcnt(2)
	v_add_co_u32 v10, vcc_lo, v4, 1
	v_add_co_ci_u32_e32 v11, vcc_lo, 0, v5, vcc_lo
	v_add_co_u32 v2, vcc_lo, v10, s6
	v_add_co_ci_u32_e32 v3, vcc_lo, s7, v11, vcc_lo
	v_cmp_eq_u64_e32 vcc_lo, 0, v[2:3]
	v_cndmask_b32_e32 v3, v3, v11, vcc_lo
	v_cndmask_b32_e32 v2, v2, v10, vcc_lo
	v_and_b32_e32 v5, v3, v5
	v_and_b32_e32 v4, v2, v4
	v_mul_lo_u32 v5, v5, 24
	v_mul_hi_u32 v10, v4, 24
	v_mul_lo_u32 v4, v4, 24
	v_add_nc_u32_e32 v5, v10, v5
	s_waitcnt vmcnt(0)
	v_add_co_u32 v6, vcc_lo, v6, v4
	v_mov_b32_e32 v4, v8
	v_add_co_ci_u32_e32 v7, vcc_lo, v7, v5, vcc_lo
	v_mov_b32_e32 v5, v9
	global_store_dwordx2 v[6:7], v[8:9], off
	s_waitcnt_vscnt null, 0x0
	global_atomic_cmpswap_x2 v[4:5], v37, v[2:5], s[28:29] offset:24 glc
	s_waitcnt vmcnt(0)
	v_cmp_ne_u64_e32 vcc_lo, v[4:5], v[8:9]
	s_and_b32 exec_lo, exec_lo, vcc_lo
	s_cbranch_execz .LBB8_193
; %bb.191:                              ;   in Loop: Header=BB8_165 Depth=1
	s_mov_b32 s4, 0
.LBB8_192:                              ;   Parent Loop BB8_165 Depth=1
                                        ; =>  This Inner Loop Header: Depth=2
	s_sleep 1
	global_store_dwordx2 v[6:7], v[4:5], off
	s_waitcnt_vscnt null, 0x0
	global_atomic_cmpswap_x2 v[8:9], v37, v[2:5], s[28:29] offset:24 glc
	s_waitcnt vmcnt(0)
	v_cmp_eq_u64_e32 vcc_lo, v[8:9], v[4:5]
	v_mov_b32_e32 v4, v8
	v_mov_b32_e32 v5, v9
	s_or_b32 s4, vcc_lo, s4
	s_andn2_b32 exec_lo, exec_lo, s4
	s_cbranch_execnz .LBB8_192
.LBB8_193:                              ;   in Loop: Header=BB8_165 Depth=1
	s_or_b32 exec_lo, exec_lo, s5
	s_and_b32 vcc_lo, exec_lo, s36
	s_cbranch_vccz .LBB8_272
; %bb.194:                              ;   in Loop: Header=BB8_165 Depth=1
	s_waitcnt vmcnt(0)
	v_and_b32_e32 v25, 2, v0
	v_and_b32_e32 v2, -3, v0
	v_mov_b32_e32 v3, v1
	s_mov_b64 s[8:9], 4
	s_getpc_b64 s[6:7]
	s_add_u32 s6, s6, .str.7@rel32@lo+4
	s_addc_u32 s7, s7, .str.7@rel32@hi+12
	s_branch .LBB8_196
.LBB8_195:                              ;   in Loop: Header=BB8_196 Depth=2
	s_or_b32 exec_lo, exec_lo, s5
	s_sub_u32 s8, s8, s10
	s_subb_u32 s9, s9, s11
	s_add_u32 s6, s6, s10
	s_addc_u32 s7, s7, s11
	s_cmp_lg_u64 s[8:9], 0
	s_cbranch_scc0 .LBB8_271
.LBB8_196:                              ;   Parent Loop BB8_165 Depth=1
                                        ; =>  This Loop Header: Depth=2
                                        ;       Child Loop BB8_199 Depth 3
                                        ;       Child Loop BB8_206 Depth 3
                                        ;       Child Loop BB8_213 Depth 3
                                        ;       Child Loop BB8_220 Depth 3
                                        ;       Child Loop BB8_227 Depth 3
                                        ;       Child Loop BB8_234 Depth 3
                                        ;       Child Loop BB8_241 Depth 3
                                        ;       Child Loop BB8_248 Depth 3
                                        ;       Child Loop BB8_256 Depth 3
                                        ;       Child Loop BB8_265 Depth 3
                                        ;       Child Loop BB8_270 Depth 3
	v_cmp_lt_u64_e64 s4, s[8:9], 56
	v_cmp_gt_u64_e64 s5, s[8:9], 7
	s_and_b32 s4, s4, exec_lo
	s_cselect_b32 s11, s9, 0
	s_cselect_b32 s10, s8, 56
	s_and_b32 vcc_lo, exec_lo, s5
	s_cbranch_vccnz .LBB8_201
; %bb.197:                              ;   in Loop: Header=BB8_196 Depth=2
	s_waitcnt vmcnt(0)
	v_mov_b32_e32 v4, 0
	v_mov_b32_e32 v5, 0
	s_cmp_eq_u64 s[8:9], 0
	s_mov_b64 s[4:5], 0
	s_cbranch_scc1 .LBB8_200
; %bb.198:                              ;   in Loop: Header=BB8_196 Depth=2
	v_mov_b32_e32 v4, 0
	v_mov_b32_e32 v5, 0
	s_lshl_b64 s[12:13], s[10:11], 3
	s_mov_b64 s[14:15], s[6:7]
.LBB8_199:                              ;   Parent Loop BB8_165 Depth=1
                                        ;     Parent Loop BB8_196 Depth=2
                                        ; =>    This Inner Loop Header: Depth=3
	global_load_ubyte v6, v37, s[14:15]
	s_waitcnt vmcnt(0)
	v_and_b32_e32 v36, 0xffff, v6
	v_lshlrev_b64 v[6:7], s4, v[36:37]
	s_add_u32 s4, s4, 8
	s_addc_u32 s5, s5, 0
	s_add_u32 s14, s14, 1
	s_addc_u32 s15, s15, 0
	s_cmp_lg_u32 s12, s4
	v_or_b32_e32 v4, v6, v4
	v_or_b32_e32 v5, v7, v5
	s_cbranch_scc1 .LBB8_199
.LBB8_200:                              ;   in Loop: Header=BB8_196 Depth=2
	s_mov_b32 s16, 0
	s_mov_b64 s[4:5], s[6:7]
	s_cbranch_execz .LBB8_202
	s_branch .LBB8_203
.LBB8_201:                              ;   in Loop: Header=BB8_196 Depth=2
                                        ; implicit-def: $vgpr4_vgpr5
                                        ; implicit-def: $sgpr16
	s_mov_b64 s[4:5], s[6:7]
.LBB8_202:                              ;   in Loop: Header=BB8_196 Depth=2
	global_load_dwordx2 v[4:5], v37, s[6:7]
	s_add_i32 s16, s10, -8
	s_add_u32 s4, s6, 8
	s_addc_u32 s5, s7, 0
.LBB8_203:                              ;   in Loop: Header=BB8_196 Depth=2
	s_cmp_gt_u32 s16, 7
	s_cbranch_scc1 .LBB8_208
; %bb.204:                              ;   in Loop: Header=BB8_196 Depth=2
	v_mov_b32_e32 v6, 0
	v_mov_b32_e32 v7, 0
	s_cmp_eq_u32 s16, 0
	s_cbranch_scc1 .LBB8_207
; %bb.205:                              ;   in Loop: Header=BB8_196 Depth=2
	s_mov_b64 s[12:13], 0
	s_mov_b64 s[14:15], 0
.LBB8_206:                              ;   Parent Loop BB8_165 Depth=1
                                        ;     Parent Loop BB8_196 Depth=2
                                        ; =>    This Inner Loop Header: Depth=3
	s_add_u32 s18, s4, s14
	s_addc_u32 s19, s5, s15
	s_add_u32 s14, s14, 1
	global_load_ubyte v8, v37, s[18:19]
	s_addc_u32 s15, s15, 0
	s_waitcnt vmcnt(0)
	v_and_b32_e32 v36, 0xffff, v8
	v_lshlrev_b64 v[8:9], s12, v[36:37]
	s_add_u32 s12, s12, 8
	s_addc_u32 s13, s13, 0
	s_cmp_lg_u32 s16, s14
	v_or_b32_e32 v6, v8, v6
	v_or_b32_e32 v7, v9, v7
	s_cbranch_scc1 .LBB8_206
.LBB8_207:                              ;   in Loop: Header=BB8_196 Depth=2
	s_mov_b32 s17, 0
	s_cbranch_execz .LBB8_209
	s_branch .LBB8_210
.LBB8_208:                              ;   in Loop: Header=BB8_196 Depth=2
                                        ; implicit-def: $vgpr6_vgpr7
                                        ; implicit-def: $sgpr17
.LBB8_209:                              ;   in Loop: Header=BB8_196 Depth=2
	global_load_dwordx2 v[6:7], v37, s[4:5]
	s_add_i32 s17, s16, -8
	s_add_u32 s4, s4, 8
	s_addc_u32 s5, s5, 0
.LBB8_210:                              ;   in Loop: Header=BB8_196 Depth=2
	s_cmp_gt_u32 s17, 7
	s_cbranch_scc1 .LBB8_215
; %bb.211:                              ;   in Loop: Header=BB8_196 Depth=2
	v_mov_b32_e32 v8, 0
	v_mov_b32_e32 v9, 0
	s_cmp_eq_u32 s17, 0
	s_cbranch_scc1 .LBB8_214
; %bb.212:                              ;   in Loop: Header=BB8_196 Depth=2
	s_mov_b64 s[12:13], 0
	s_mov_b64 s[14:15], 0
.LBB8_213:                              ;   Parent Loop BB8_165 Depth=1
                                        ;     Parent Loop BB8_196 Depth=2
                                        ; =>    This Inner Loop Header: Depth=3
	s_add_u32 s18, s4, s14
	s_addc_u32 s19, s5, s15
	s_add_u32 s14, s14, 1
	global_load_ubyte v10, v37, s[18:19]
	s_addc_u32 s15, s15, 0
	s_waitcnt vmcnt(0)
	v_and_b32_e32 v36, 0xffff, v10
	v_lshlrev_b64 v[10:11], s12, v[36:37]
	s_add_u32 s12, s12, 8
	s_addc_u32 s13, s13, 0
	s_cmp_lg_u32 s17, s14
	v_or_b32_e32 v8, v10, v8
	v_or_b32_e32 v9, v11, v9
	s_cbranch_scc1 .LBB8_213
.LBB8_214:                              ;   in Loop: Header=BB8_196 Depth=2
	s_mov_b32 s16, 0
	s_cbranch_execz .LBB8_216
	s_branch .LBB8_217
.LBB8_215:                              ;   in Loop: Header=BB8_196 Depth=2
                                        ; implicit-def: $sgpr16
.LBB8_216:                              ;   in Loop: Header=BB8_196 Depth=2
	global_load_dwordx2 v[8:9], v37, s[4:5]
	s_add_i32 s16, s17, -8
	s_add_u32 s4, s4, 8
	s_addc_u32 s5, s5, 0
.LBB8_217:                              ;   in Loop: Header=BB8_196 Depth=2
	s_cmp_gt_u32 s16, 7
	s_cbranch_scc1 .LBB8_222
; %bb.218:                              ;   in Loop: Header=BB8_196 Depth=2
	v_mov_b32_e32 v10, 0
	v_mov_b32_e32 v11, 0
	s_cmp_eq_u32 s16, 0
	s_cbranch_scc1 .LBB8_221
; %bb.219:                              ;   in Loop: Header=BB8_196 Depth=2
	s_mov_b64 s[12:13], 0
	s_mov_b64 s[14:15], 0
.LBB8_220:                              ;   Parent Loop BB8_165 Depth=1
                                        ;     Parent Loop BB8_196 Depth=2
                                        ; =>    This Inner Loop Header: Depth=3
	s_add_u32 s18, s4, s14
	s_addc_u32 s19, s5, s15
	s_add_u32 s14, s14, 1
	global_load_ubyte v12, v37, s[18:19]
	s_addc_u32 s15, s15, 0
	s_waitcnt vmcnt(0)
	v_and_b32_e32 v36, 0xffff, v12
	v_lshlrev_b64 v[12:13], s12, v[36:37]
	s_add_u32 s12, s12, 8
	s_addc_u32 s13, s13, 0
	s_cmp_lg_u32 s16, s14
	v_or_b32_e32 v10, v12, v10
	v_or_b32_e32 v11, v13, v11
	s_cbranch_scc1 .LBB8_220
.LBB8_221:                              ;   in Loop: Header=BB8_196 Depth=2
	s_mov_b32 s17, 0
	s_cbranch_execz .LBB8_223
	s_branch .LBB8_224
.LBB8_222:                              ;   in Loop: Header=BB8_196 Depth=2
                                        ; implicit-def: $vgpr10_vgpr11
                                        ; implicit-def: $sgpr17
.LBB8_223:                              ;   in Loop: Header=BB8_196 Depth=2
	global_load_dwordx2 v[10:11], v37, s[4:5]
	s_add_i32 s17, s16, -8
	s_add_u32 s4, s4, 8
	s_addc_u32 s5, s5, 0
.LBB8_224:                              ;   in Loop: Header=BB8_196 Depth=2
	s_cmp_gt_u32 s17, 7
	s_cbranch_scc1 .LBB8_229
; %bb.225:                              ;   in Loop: Header=BB8_196 Depth=2
	v_mov_b32_e32 v12, 0
	v_mov_b32_e32 v13, 0
	s_cmp_eq_u32 s17, 0
	s_cbranch_scc1 .LBB8_228
; %bb.226:                              ;   in Loop: Header=BB8_196 Depth=2
	s_mov_b64 s[12:13], 0
	s_mov_b64 s[14:15], 0
.LBB8_227:                              ;   Parent Loop BB8_165 Depth=1
                                        ;     Parent Loop BB8_196 Depth=2
                                        ; =>    This Inner Loop Header: Depth=3
	s_add_u32 s18, s4, s14
	s_addc_u32 s19, s5, s15
	s_add_u32 s14, s14, 1
	global_load_ubyte v14, v37, s[18:19]
	s_addc_u32 s15, s15, 0
	s_waitcnt vmcnt(0)
	v_and_b32_e32 v36, 0xffff, v14
	v_lshlrev_b64 v[14:15], s12, v[36:37]
	s_add_u32 s12, s12, 8
	s_addc_u32 s13, s13, 0
	s_cmp_lg_u32 s17, s14
	v_or_b32_e32 v12, v14, v12
	v_or_b32_e32 v13, v15, v13
	s_cbranch_scc1 .LBB8_227
.LBB8_228:                              ;   in Loop: Header=BB8_196 Depth=2
	s_mov_b32 s16, 0
	s_cbranch_execz .LBB8_230
	s_branch .LBB8_231
.LBB8_229:                              ;   in Loop: Header=BB8_196 Depth=2
                                        ; implicit-def: $sgpr16
.LBB8_230:                              ;   in Loop: Header=BB8_196 Depth=2
	global_load_dwordx2 v[12:13], v37, s[4:5]
	s_add_i32 s16, s17, -8
	s_add_u32 s4, s4, 8
	s_addc_u32 s5, s5, 0
.LBB8_231:                              ;   in Loop: Header=BB8_196 Depth=2
	s_cmp_gt_u32 s16, 7
	s_cbranch_scc1 .LBB8_236
; %bb.232:                              ;   in Loop: Header=BB8_196 Depth=2
	v_mov_b32_e32 v14, 0
	v_mov_b32_e32 v15, 0
	s_cmp_eq_u32 s16, 0
	s_cbranch_scc1 .LBB8_235
; %bb.233:                              ;   in Loop: Header=BB8_196 Depth=2
	s_mov_b64 s[12:13], 0
	s_mov_b64 s[14:15], 0
.LBB8_234:                              ;   Parent Loop BB8_165 Depth=1
                                        ;     Parent Loop BB8_196 Depth=2
                                        ; =>    This Inner Loop Header: Depth=3
	s_add_u32 s18, s4, s14
	s_addc_u32 s19, s5, s15
	s_add_u32 s14, s14, 1
	global_load_ubyte v16, v37, s[18:19]
	s_addc_u32 s15, s15, 0
	s_waitcnt vmcnt(0)
	v_and_b32_e32 v36, 0xffff, v16
	v_lshlrev_b64 v[16:17], s12, v[36:37]
	s_add_u32 s12, s12, 8
	s_addc_u32 s13, s13, 0
	s_cmp_lg_u32 s16, s14
	v_or_b32_e32 v14, v16, v14
	v_or_b32_e32 v15, v17, v15
	s_cbranch_scc1 .LBB8_234
.LBB8_235:                              ;   in Loop: Header=BB8_196 Depth=2
	s_mov_b32 s17, 0
	s_cbranch_execz .LBB8_237
	s_branch .LBB8_238
.LBB8_236:                              ;   in Loop: Header=BB8_196 Depth=2
                                        ; implicit-def: $vgpr14_vgpr15
                                        ; implicit-def: $sgpr17
.LBB8_237:                              ;   in Loop: Header=BB8_196 Depth=2
	global_load_dwordx2 v[14:15], v37, s[4:5]
	s_add_i32 s17, s16, -8
	s_add_u32 s4, s4, 8
	s_addc_u32 s5, s5, 0
.LBB8_238:                              ;   in Loop: Header=BB8_196 Depth=2
	s_cmp_gt_u32 s17, 7
	s_cbranch_scc1 .LBB8_243
; %bb.239:                              ;   in Loop: Header=BB8_196 Depth=2
	v_mov_b32_e32 v16, 0
	v_mov_b32_e32 v17, 0
	s_cmp_eq_u32 s17, 0
	s_cbranch_scc1 .LBB8_242
; %bb.240:                              ;   in Loop: Header=BB8_196 Depth=2
	s_mov_b64 s[12:13], 0
	s_mov_b64 s[14:15], s[4:5]
.LBB8_241:                              ;   Parent Loop BB8_165 Depth=1
                                        ;     Parent Loop BB8_196 Depth=2
                                        ; =>    This Inner Loop Header: Depth=3
	global_load_ubyte v18, v37, s[14:15]
	s_add_i32 s17, s17, -1
	s_waitcnt vmcnt(0)
	v_and_b32_e32 v36, 0xffff, v18
	v_lshlrev_b64 v[18:19], s12, v[36:37]
	s_add_u32 s12, s12, 8
	s_addc_u32 s13, s13, 0
	s_add_u32 s14, s14, 1
	s_addc_u32 s15, s15, 0
	s_cmp_lg_u32 s17, 0
	v_or_b32_e32 v16, v18, v16
	v_or_b32_e32 v17, v19, v17
	s_cbranch_scc1 .LBB8_241
.LBB8_242:                              ;   in Loop: Header=BB8_196 Depth=2
	s_cbranch_execz .LBB8_244
	s_branch .LBB8_245
.LBB8_243:                              ;   in Loop: Header=BB8_196 Depth=2
.LBB8_244:                              ;   in Loop: Header=BB8_196 Depth=2
	global_load_dwordx2 v[16:17], v37, s[4:5]
.LBB8_245:                              ;   in Loop: Header=BB8_196 Depth=2
	v_readfirstlane_b32 s4, v64
	v_mov_b32_e32 v22, 0
	v_mov_b32_e32 v23, 0
	v_cmp_eq_u32_e64 s4, s4, v64
	s_and_saveexec_b32 s5, s4
	s_cbranch_execz .LBB8_251
; %bb.246:                              ;   in Loop: Header=BB8_196 Depth=2
	global_load_dwordx2 v[20:21], v37, s[28:29] offset:24 glc dlc
	s_waitcnt vmcnt(0)
	buffer_gl1_inv
	buffer_gl0_inv
	s_clause 0x1
	global_load_dwordx2 v[18:19], v37, s[28:29] offset:40
	global_load_dwordx2 v[22:23], v37, s[28:29]
	s_mov_b32 s12, exec_lo
	s_waitcnt vmcnt(1)
	v_and_b32_e32 v19, v19, v21
	v_and_b32_e32 v18, v18, v20
	v_mul_lo_u32 v19, v19, 24
	v_mul_hi_u32 v26, v18, 24
	v_mul_lo_u32 v18, v18, 24
	v_add_nc_u32_e32 v19, v26, v19
	s_waitcnt vmcnt(0)
	v_add_co_u32 v18, vcc_lo, v22, v18
	v_add_co_ci_u32_e32 v19, vcc_lo, v23, v19, vcc_lo
	global_load_dwordx2 v[18:19], v[18:19], off glc dlc
	s_waitcnt vmcnt(0)
	global_atomic_cmpswap_x2 v[22:23], v37, v[18:21], s[28:29] offset:24 glc
	s_waitcnt vmcnt(0)
	buffer_gl1_inv
	buffer_gl0_inv
	v_cmpx_ne_u64_e64 v[22:23], v[20:21]
	s_cbranch_execz .LBB8_250
; %bb.247:                              ;   in Loop: Header=BB8_196 Depth=2
	s_mov_b32 s13, 0
	.p2align	6
.LBB8_248:                              ;   Parent Loop BB8_165 Depth=1
                                        ;     Parent Loop BB8_196 Depth=2
                                        ; =>    This Inner Loop Header: Depth=3
	s_sleep 1
	s_clause 0x1
	global_load_dwordx2 v[18:19], v37, s[28:29] offset:40
	global_load_dwordx2 v[26:27], v37, s[28:29]
	v_mov_b32_e32 v20, v22
	v_mov_b32_e32 v21, v23
	s_waitcnt vmcnt(1)
	v_and_b32_e32 v18, v18, v20
	v_and_b32_e32 v19, v19, v21
	s_waitcnt vmcnt(0)
	v_mad_u64_u32 v[22:23], null, v18, 24, v[26:27]
	v_mov_b32_e32 v18, v23
	v_mad_u64_u32 v[18:19], null, v19, 24, v[18:19]
	v_mov_b32_e32 v23, v18
	global_load_dwordx2 v[18:19], v[22:23], off glc dlc
	s_waitcnt vmcnt(0)
	global_atomic_cmpswap_x2 v[22:23], v37, v[18:21], s[28:29] offset:24 glc
	s_waitcnt vmcnt(0)
	buffer_gl1_inv
	buffer_gl0_inv
	v_cmp_eq_u64_e32 vcc_lo, v[22:23], v[20:21]
	s_or_b32 s13, vcc_lo, s13
	s_andn2_b32 exec_lo, exec_lo, s13
	s_cbranch_execnz .LBB8_248
; %bb.249:                              ;   in Loop: Header=BB8_196 Depth=2
	s_or_b32 exec_lo, exec_lo, s13
.LBB8_250:                              ;   in Loop: Header=BB8_196 Depth=2
	s_or_b32 exec_lo, exec_lo, s12
.LBB8_251:                              ;   in Loop: Header=BB8_196 Depth=2
	s_or_b32 exec_lo, exec_lo, s5
	s_clause 0x1
	global_load_dwordx2 v[26:27], v37, s[28:29] offset:40
	global_load_dwordx4 v[18:21], v37, s[28:29]
	v_readfirstlane_b32 s12, v22
	v_readfirstlane_b32 s13, v23
	s_mov_b32 s5, exec_lo
	s_waitcnt vmcnt(1)
	v_readfirstlane_b32 s14, v26
	v_readfirstlane_b32 s15, v27
	s_and_b64 s[14:15], s[12:13], s[14:15]
	s_mul_i32 s16, s15, 24
	s_mul_hi_u32 s17, s14, 24
	s_mul_i32 s18, s14, 24
	s_add_i32 s17, s17, s16
	s_waitcnt vmcnt(0)
	v_add_co_u32 v22, vcc_lo, v18, s18
	v_add_co_ci_u32_e32 v23, vcc_lo, s17, v19, vcc_lo
	s_and_saveexec_b32 s16, s4
	s_cbranch_execz .LBB8_253
; %bb.252:                              ;   in Loop: Header=BB8_196 Depth=2
	v_mov_b32_e32 v36, s5
	global_store_dwordx4 v[22:23], v[36:39], off offset:8
.LBB8_253:                              ;   in Loop: Header=BB8_196 Depth=2
	s_or_b32 exec_lo, exec_lo, s16
	s_lshl_b64 s[14:15], s[14:15], 12
	v_cmp_gt_u64_e64 vcc_lo, s[8:9], 56
	v_or_b32_e32 v27, v2, v25
	v_add_co_u32 v20, s5, v20, s14
	v_add_co_ci_u32_e64 v21, s5, s15, v21, s5
	s_lshl_b32 s5, s10, 2
	v_or_b32_e32 v26, 0, v3
	v_cndmask_b32_e32 v2, v27, v2, vcc_lo
	s_add_i32 s5, s5, 28
	v_readfirstlane_b32 s14, v20
	s_and_b32 s5, s5, 0x1e0
	v_cndmask_b32_e32 v3, v26, v3, vcc_lo
	v_readfirstlane_b32 s15, v21
	v_and_or_b32 v2, 0xffffff1f, v2, s5
	global_store_dwordx4 v65, v[2:5], s[14:15]
	global_store_dwordx4 v65, v[6:9], s[14:15] offset:16
	global_store_dwordx4 v65, v[10:13], s[14:15] offset:32
	global_store_dwordx4 v65, v[14:17], s[14:15] offset:48
	s_and_saveexec_b32 s5, s4
	s_cbranch_execz .LBB8_261
; %bb.254:                              ;   in Loop: Header=BB8_196 Depth=2
	s_clause 0x1
	global_load_dwordx2 v[10:11], v37, s[28:29] offset:32 glc dlc
	global_load_dwordx2 v[2:3], v37, s[28:29] offset:40
	v_mov_b32_e32 v8, s12
	v_mov_b32_e32 v9, s13
	s_waitcnt vmcnt(0)
	v_readfirstlane_b32 s14, v2
	v_readfirstlane_b32 s15, v3
	s_and_b64 s[14:15], s[14:15], s[12:13]
	s_mul_i32 s15, s15, 24
	s_mul_hi_u32 s16, s14, 24
	s_mul_i32 s14, s14, 24
	s_add_i32 s16, s16, s15
	v_add_co_u32 v6, vcc_lo, v18, s14
	v_add_co_ci_u32_e32 v7, vcc_lo, s16, v19, vcc_lo
	s_mov_b32 s14, exec_lo
	global_store_dwordx2 v[6:7], v[10:11], off
	s_waitcnt_vscnt null, 0x0
	global_atomic_cmpswap_x2 v[4:5], v37, v[8:11], s[28:29] offset:32 glc
	s_waitcnt vmcnt(0)
	v_cmpx_ne_u64_e64 v[4:5], v[10:11]
	s_cbranch_execz .LBB8_257
; %bb.255:                              ;   in Loop: Header=BB8_196 Depth=2
	s_mov_b32 s15, 0
.LBB8_256:                              ;   Parent Loop BB8_165 Depth=1
                                        ;     Parent Loop BB8_196 Depth=2
                                        ; =>    This Inner Loop Header: Depth=3
	v_mov_b32_e32 v2, s12
	v_mov_b32_e32 v3, s13
	s_sleep 1
	global_store_dwordx2 v[6:7], v[4:5], off
	s_waitcnt_vscnt null, 0x0
	global_atomic_cmpswap_x2 v[2:3], v37, v[2:5], s[28:29] offset:32 glc
	s_waitcnt vmcnt(0)
	v_cmp_eq_u64_e32 vcc_lo, v[2:3], v[4:5]
	v_mov_b32_e32 v5, v3
	v_mov_b32_e32 v4, v2
	s_or_b32 s15, vcc_lo, s15
	s_andn2_b32 exec_lo, exec_lo, s15
	s_cbranch_execnz .LBB8_256
.LBB8_257:                              ;   in Loop: Header=BB8_196 Depth=2
	s_or_b32 exec_lo, exec_lo, s14
	global_load_dwordx2 v[2:3], v37, s[28:29] offset:16
	s_mov_b32 s15, exec_lo
	s_mov_b32 s14, exec_lo
	v_mbcnt_lo_u32_b32 v4, s15, 0
	v_cmpx_eq_u32_e32 0, v4
	s_cbranch_execz .LBB8_259
; %bb.258:                              ;   in Loop: Header=BB8_196 Depth=2
	s_bcnt1_i32_b32 s15, s15
	v_mov_b32_e32 v36, s15
	s_waitcnt vmcnt(0)
	global_atomic_add_x2 v[2:3], v[36:37], off offset:8
.LBB8_259:                              ;   in Loop: Header=BB8_196 Depth=2
	s_or_b32 exec_lo, exec_lo, s14
	s_waitcnt vmcnt(0)
	global_load_dwordx2 v[4:5], v[2:3], off offset:16
	s_waitcnt vmcnt(0)
	v_cmp_eq_u64_e32 vcc_lo, 0, v[4:5]
	s_cbranch_vccnz .LBB8_261
; %bb.260:                              ;   in Loop: Header=BB8_196 Depth=2
	global_load_dword v36, v[2:3], off offset:24
	s_waitcnt vmcnt(0)
	v_and_b32_e32 v2, 0x7fffff, v36
	s_waitcnt_vscnt null, 0x0
	global_store_dwordx2 v[4:5], v[36:37], off
	v_readfirstlane_b32 m0, v2
	s_sendmsg sendmsg(MSG_INTERRUPT)
.LBB8_261:                              ;   in Loop: Header=BB8_196 Depth=2
	s_or_b32 exec_lo, exec_lo, s5
	v_add_co_u32 v2, vcc_lo, v20, v65
	v_add_co_ci_u32_e32 v3, vcc_lo, 0, v21, vcc_lo
	s_branch .LBB8_265
	.p2align	6
.LBB8_262:                              ;   in Loop: Header=BB8_265 Depth=3
	s_or_b32 exec_lo, exec_lo, s5
	v_readfirstlane_b32 s5, v4
	s_cmp_eq_u32 s5, 0
	s_cbranch_scc1 .LBB8_264
; %bb.263:                              ;   in Loop: Header=BB8_265 Depth=3
	s_sleep 1
	s_cbranch_execnz .LBB8_265
	s_branch .LBB8_267
	.p2align	6
.LBB8_264:                              ;   in Loop: Header=BB8_196 Depth=2
	s_branch .LBB8_267
.LBB8_265:                              ;   Parent Loop BB8_165 Depth=1
                                        ;     Parent Loop BB8_196 Depth=2
                                        ; =>    This Inner Loop Header: Depth=3
	v_mov_b32_e32 v4, 1
	s_and_saveexec_b32 s5, s4
	s_cbranch_execz .LBB8_262
; %bb.266:                              ;   in Loop: Header=BB8_265 Depth=3
	global_load_dword v4, v[22:23], off offset:20 glc dlc
	s_waitcnt vmcnt(0)
	buffer_gl1_inv
	buffer_gl0_inv
	v_and_b32_e32 v4, 1, v4
	s_branch .LBB8_262
.LBB8_267:                              ;   in Loop: Header=BB8_196 Depth=2
	global_load_dwordx4 v[2:5], v[2:3], off
	s_and_saveexec_b32 s5, s4
	s_cbranch_execz .LBB8_195
; %bb.268:                              ;   in Loop: Header=BB8_196 Depth=2
	s_clause 0x2
	global_load_dwordx2 v[6:7], v37, s[28:29] offset:40
	global_load_dwordx2 v[10:11], v37, s[28:29] offset:24 glc dlc
	global_load_dwordx2 v[8:9], v37, s[28:29]
	s_waitcnt vmcnt(2)
	v_add_co_u32 v12, vcc_lo, v6, 1
	v_add_co_ci_u32_e32 v13, vcc_lo, 0, v7, vcc_lo
	v_add_co_u32 v4, vcc_lo, v12, s12
	v_add_co_ci_u32_e32 v5, vcc_lo, s13, v13, vcc_lo
	v_cmp_eq_u64_e32 vcc_lo, 0, v[4:5]
	v_cndmask_b32_e32 v5, v5, v13, vcc_lo
	v_cndmask_b32_e32 v4, v4, v12, vcc_lo
	v_and_b32_e32 v7, v5, v7
	v_and_b32_e32 v6, v4, v6
	v_mul_lo_u32 v7, v7, 24
	v_mul_hi_u32 v12, v6, 24
	v_mul_lo_u32 v6, v6, 24
	v_add_nc_u32_e32 v7, v12, v7
	s_waitcnt vmcnt(0)
	v_add_co_u32 v8, vcc_lo, v8, v6
	v_mov_b32_e32 v6, v10
	v_add_co_ci_u32_e32 v9, vcc_lo, v9, v7, vcc_lo
	v_mov_b32_e32 v7, v11
	global_store_dwordx2 v[8:9], v[10:11], off
	s_waitcnt_vscnt null, 0x0
	global_atomic_cmpswap_x2 v[6:7], v37, v[4:7], s[28:29] offset:24 glc
	s_waitcnt vmcnt(0)
	v_cmp_ne_u64_e32 vcc_lo, v[6:7], v[10:11]
	s_and_b32 exec_lo, exec_lo, vcc_lo
	s_cbranch_execz .LBB8_195
; %bb.269:                              ;   in Loop: Header=BB8_196 Depth=2
	s_mov_b32 s4, 0
.LBB8_270:                              ;   Parent Loop BB8_165 Depth=1
                                        ;     Parent Loop BB8_196 Depth=2
                                        ; =>    This Inner Loop Header: Depth=3
	s_sleep 1
	global_store_dwordx2 v[8:9], v[6:7], off
	s_waitcnt_vscnt null, 0x0
	global_atomic_cmpswap_x2 v[10:11], v37, v[4:7], s[28:29] offset:24 glc
	s_waitcnt vmcnt(0)
	v_cmp_eq_u64_e32 vcc_lo, v[10:11], v[6:7]
	v_mov_b32_e32 v6, v10
	v_mov_b32_e32 v7, v11
	s_or_b32 s4, vcc_lo, s4
	s_andn2_b32 exec_lo, exec_lo, s4
	s_cbranch_execnz .LBB8_270
	s_branch .LBB8_195
.LBB8_271:                              ;   in Loop: Header=BB8_165 Depth=1
	s_branch .LBB8_300
.LBB8_272:                              ;   in Loop: Header=BB8_165 Depth=1
                                        ; implicit-def: $vgpr2_vgpr3
	s_cbranch_execz .LBB8_300
; %bb.273:                              ;   in Loop: Header=BB8_165 Depth=1
	v_readfirstlane_b32 s4, v64
	s_waitcnt vmcnt(0)
	v_mov_b32_e32 v2, 0
	v_mov_b32_e32 v3, 0
	v_cmp_eq_u32_e64 s4, s4, v64
	s_and_saveexec_b32 s5, s4
	s_cbranch_execz .LBB8_279
; %bb.274:                              ;   in Loop: Header=BB8_165 Depth=1
	global_load_dwordx2 v[4:5], v37, s[28:29] offset:24 glc dlc
	s_waitcnt vmcnt(0)
	buffer_gl1_inv
	buffer_gl0_inv
	s_clause 0x1
	global_load_dwordx2 v[2:3], v37, s[28:29] offset:40
	global_load_dwordx2 v[6:7], v37, s[28:29]
	s_mov_b32 s6, exec_lo
	s_waitcnt vmcnt(1)
	v_and_b32_e32 v3, v3, v5
	v_and_b32_e32 v2, v2, v4
	v_mul_lo_u32 v3, v3, 24
	v_mul_hi_u32 v8, v2, 24
	v_mul_lo_u32 v2, v2, 24
	v_add_nc_u32_e32 v3, v8, v3
	s_waitcnt vmcnt(0)
	v_add_co_u32 v2, vcc_lo, v6, v2
	v_add_co_ci_u32_e32 v3, vcc_lo, v7, v3, vcc_lo
	global_load_dwordx2 v[2:3], v[2:3], off glc dlc
	s_waitcnt vmcnt(0)
	global_atomic_cmpswap_x2 v[2:3], v37, v[2:5], s[28:29] offset:24 glc
	s_waitcnt vmcnt(0)
	buffer_gl1_inv
	buffer_gl0_inv
	v_cmpx_ne_u64_e64 v[2:3], v[4:5]
	s_cbranch_execz .LBB8_278
; %bb.275:                              ;   in Loop: Header=BB8_165 Depth=1
	s_mov_b32 s7, 0
	.p2align	6
.LBB8_276:                              ;   Parent Loop BB8_165 Depth=1
                                        ; =>  This Inner Loop Header: Depth=2
	s_sleep 1
	s_clause 0x1
	global_load_dwordx2 v[6:7], v37, s[28:29] offset:40
	global_load_dwordx2 v[8:9], v37, s[28:29]
	v_mov_b32_e32 v5, v3
	v_mov_b32_e32 v4, v2
	s_waitcnt vmcnt(1)
	v_and_b32_e32 v2, v6, v4
	v_and_b32_e32 v6, v7, v5
	s_waitcnt vmcnt(0)
	v_mad_u64_u32 v[2:3], null, v2, 24, v[8:9]
	v_mad_u64_u32 v[6:7], null, v6, 24, v[3:4]
	v_mov_b32_e32 v3, v6
	global_load_dwordx2 v[2:3], v[2:3], off glc dlc
	s_waitcnt vmcnt(0)
	global_atomic_cmpswap_x2 v[2:3], v37, v[2:5], s[28:29] offset:24 glc
	s_waitcnt vmcnt(0)
	buffer_gl1_inv
	buffer_gl0_inv
	v_cmp_eq_u64_e32 vcc_lo, v[2:3], v[4:5]
	s_or_b32 s7, vcc_lo, s7
	s_andn2_b32 exec_lo, exec_lo, s7
	s_cbranch_execnz .LBB8_276
; %bb.277:                              ;   in Loop: Header=BB8_165 Depth=1
	s_or_b32 exec_lo, exec_lo, s7
.LBB8_278:                              ;   in Loop: Header=BB8_165 Depth=1
	s_or_b32 exec_lo, exec_lo, s6
.LBB8_279:                              ;   in Loop: Header=BB8_165 Depth=1
	s_or_b32 exec_lo, exec_lo, s5
	s_clause 0x1
	global_load_dwordx2 v[8:9], v37, s[28:29] offset:40
	global_load_dwordx4 v[4:7], v37, s[28:29]
	v_readfirstlane_b32 s6, v2
	v_readfirstlane_b32 s7, v3
	s_mov_b32 s5, exec_lo
	s_waitcnt vmcnt(1)
	v_readfirstlane_b32 s8, v8
	v_readfirstlane_b32 s9, v9
	s_and_b64 s[8:9], s[6:7], s[8:9]
	s_mul_i32 s10, s9, 24
	s_mul_hi_u32 s11, s8, 24
	s_mul_i32 s12, s8, 24
	s_add_i32 s11, s11, s10
	s_waitcnt vmcnt(0)
	v_add_co_u32 v8, vcc_lo, v4, s12
	v_add_co_ci_u32_e32 v9, vcc_lo, s11, v5, vcc_lo
	s_and_saveexec_b32 s10, s4
	s_cbranch_execz .LBB8_281
; %bb.280:                              ;   in Loop: Header=BB8_165 Depth=1
	v_mov_b32_e32 v36, s5
	global_store_dwordx4 v[8:9], v[36:39], off offset:8
.LBB8_281:                              ;   in Loop: Header=BB8_165 Depth=1
	s_or_b32 exec_lo, exec_lo, s10
	s_lshl_b64 s[8:9], s[8:9], 12
	v_and_or_b32 v0, 0xffffff1f, v0, 32
	v_add_co_u32 v6, vcc_lo, v6, s8
	v_add_co_ci_u32_e32 v7, vcc_lo, s9, v7, vcc_lo
	v_mov_b32_e32 v2, v37
	v_mov_b32_e32 v3, v37
	v_readfirstlane_b32 s8, v6
	v_readfirstlane_b32 s9, v7
	v_mov_b32_e32 v10, s24
	v_mov_b32_e32 v11, s25
	;; [unrolled: 1-line block ×4, first 2 shown]
	global_store_dwordx4 v65, v[0:3], s[8:9]
	global_store_dwordx4 v65, v[10:13], s[8:9] offset:16
	global_store_dwordx4 v65, v[10:13], s[8:9] offset:32
	;; [unrolled: 1-line block ×3, first 2 shown]
	s_and_saveexec_b32 s5, s4
	s_cbranch_execz .LBB8_289
; %bb.282:                              ;   in Loop: Header=BB8_165 Depth=1
	s_clause 0x1
	global_load_dwordx2 v[12:13], v37, s[28:29] offset:32 glc dlc
	global_load_dwordx2 v[0:1], v37, s[28:29] offset:40
	v_mov_b32_e32 v10, s6
	v_mov_b32_e32 v11, s7
	s_waitcnt vmcnt(0)
	v_readfirstlane_b32 s8, v0
	v_readfirstlane_b32 s9, v1
	s_and_b64 s[8:9], s[8:9], s[6:7]
	s_mul_i32 s9, s9, 24
	s_mul_hi_u32 s10, s8, 24
	s_mul_i32 s8, s8, 24
	s_add_i32 s10, s10, s9
	v_add_co_u32 v4, vcc_lo, v4, s8
	v_add_co_ci_u32_e32 v5, vcc_lo, s10, v5, vcc_lo
	s_mov_b32 s8, exec_lo
	global_store_dwordx2 v[4:5], v[12:13], off
	s_waitcnt_vscnt null, 0x0
	global_atomic_cmpswap_x2 v[2:3], v37, v[10:13], s[28:29] offset:32 glc
	s_waitcnt vmcnt(0)
	v_cmpx_ne_u64_e64 v[2:3], v[12:13]
	s_cbranch_execz .LBB8_285
; %bb.283:                              ;   in Loop: Header=BB8_165 Depth=1
	s_mov_b32 s9, 0
.LBB8_284:                              ;   Parent Loop BB8_165 Depth=1
                                        ; =>  This Inner Loop Header: Depth=2
	v_mov_b32_e32 v0, s6
	v_mov_b32_e32 v1, s7
	s_sleep 1
	global_store_dwordx2 v[4:5], v[2:3], off
	s_waitcnt_vscnt null, 0x0
	global_atomic_cmpswap_x2 v[0:1], v37, v[0:3], s[28:29] offset:32 glc
	s_waitcnt vmcnt(0)
	v_cmp_eq_u64_e32 vcc_lo, v[0:1], v[2:3]
	v_mov_b32_e32 v3, v1
	v_mov_b32_e32 v2, v0
	s_or_b32 s9, vcc_lo, s9
	s_andn2_b32 exec_lo, exec_lo, s9
	s_cbranch_execnz .LBB8_284
.LBB8_285:                              ;   in Loop: Header=BB8_165 Depth=1
	s_or_b32 exec_lo, exec_lo, s8
	global_load_dwordx2 v[0:1], v37, s[28:29] offset:16
	s_mov_b32 s9, exec_lo
	s_mov_b32 s8, exec_lo
	v_mbcnt_lo_u32_b32 v2, s9, 0
	v_cmpx_eq_u32_e32 0, v2
	s_cbranch_execz .LBB8_287
; %bb.286:                              ;   in Loop: Header=BB8_165 Depth=1
	s_bcnt1_i32_b32 s9, s9
	v_mov_b32_e32 v36, s9
	s_waitcnt vmcnt(0)
	global_atomic_add_x2 v[0:1], v[36:37], off offset:8
.LBB8_287:                              ;   in Loop: Header=BB8_165 Depth=1
	s_or_b32 exec_lo, exec_lo, s8
	s_waitcnt vmcnt(0)
	global_load_dwordx2 v[2:3], v[0:1], off offset:16
	s_waitcnt vmcnt(0)
	v_cmp_eq_u64_e32 vcc_lo, 0, v[2:3]
	s_cbranch_vccnz .LBB8_289
; %bb.288:                              ;   in Loop: Header=BB8_165 Depth=1
	global_load_dword v36, v[0:1], off offset:24
	s_waitcnt vmcnt(0)
	v_and_b32_e32 v0, 0x7fffff, v36
	s_waitcnt_vscnt null, 0x0
	global_store_dwordx2 v[2:3], v[36:37], off
	v_readfirstlane_b32 m0, v0
	s_sendmsg sendmsg(MSG_INTERRUPT)
.LBB8_289:                              ;   in Loop: Header=BB8_165 Depth=1
	s_or_b32 exec_lo, exec_lo, s5
	v_add_co_u32 v0, vcc_lo, v6, v65
	v_add_co_ci_u32_e32 v1, vcc_lo, 0, v7, vcc_lo
	s_branch .LBB8_293
	.p2align	6
.LBB8_290:                              ;   in Loop: Header=BB8_293 Depth=2
	s_or_b32 exec_lo, exec_lo, s5
	v_readfirstlane_b32 s5, v2
	s_cmp_eq_u32 s5, 0
	s_cbranch_scc1 .LBB8_292
; %bb.291:                              ;   in Loop: Header=BB8_293 Depth=2
	s_sleep 1
	s_cbranch_execnz .LBB8_293
	s_branch .LBB8_295
	.p2align	6
.LBB8_292:                              ;   in Loop: Header=BB8_165 Depth=1
	s_branch .LBB8_295
.LBB8_293:                              ;   Parent Loop BB8_165 Depth=1
                                        ; =>  This Inner Loop Header: Depth=2
	v_mov_b32_e32 v2, 1
	s_and_saveexec_b32 s5, s4
	s_cbranch_execz .LBB8_290
; %bb.294:                              ;   in Loop: Header=BB8_293 Depth=2
	global_load_dword v2, v[8:9], off offset:20 glc dlc
	s_waitcnt vmcnt(0)
	buffer_gl1_inv
	buffer_gl0_inv
	v_and_b32_e32 v2, 1, v2
	s_branch .LBB8_290
.LBB8_295:                              ;   in Loop: Header=BB8_165 Depth=1
	global_load_dwordx2 v[2:3], v[0:1], off
	s_and_saveexec_b32 s5, s4
	s_cbranch_execz .LBB8_299
; %bb.296:                              ;   in Loop: Header=BB8_165 Depth=1
	s_clause 0x2
	global_load_dwordx2 v[0:1], v37, s[28:29] offset:40
	global_load_dwordx2 v[8:9], v37, s[28:29] offset:24 glc dlc
	global_load_dwordx2 v[6:7], v37, s[28:29]
	s_waitcnt vmcnt(2)
	v_add_co_u32 v10, vcc_lo, v0, 1
	v_add_co_ci_u32_e32 v11, vcc_lo, 0, v1, vcc_lo
	v_add_co_u32 v4, vcc_lo, v10, s6
	v_add_co_ci_u32_e32 v5, vcc_lo, s7, v11, vcc_lo
	v_cmp_eq_u64_e32 vcc_lo, 0, v[4:5]
	v_cndmask_b32_e32 v5, v5, v11, vcc_lo
	v_cndmask_b32_e32 v4, v4, v10, vcc_lo
	v_and_b32_e32 v1, v5, v1
	v_and_b32_e32 v0, v4, v0
	v_mul_lo_u32 v1, v1, 24
	v_mul_hi_u32 v10, v0, 24
	v_mul_lo_u32 v0, v0, 24
	v_add_nc_u32_e32 v1, v10, v1
	s_waitcnt vmcnt(0)
	v_add_co_u32 v0, vcc_lo, v6, v0
	v_mov_b32_e32 v6, v8
	v_add_co_ci_u32_e32 v1, vcc_lo, v7, v1, vcc_lo
	v_mov_b32_e32 v7, v9
	global_store_dwordx2 v[0:1], v[8:9], off
	s_waitcnt_vscnt null, 0x0
	global_atomic_cmpswap_x2 v[6:7], v37, v[4:7], s[28:29] offset:24 glc
	s_waitcnt vmcnt(0)
	v_cmp_ne_u64_e32 vcc_lo, v[6:7], v[8:9]
	s_and_b32 exec_lo, exec_lo, vcc_lo
	s_cbranch_execz .LBB8_299
; %bb.297:                              ;   in Loop: Header=BB8_165 Depth=1
	s_mov_b32 s4, 0
.LBB8_298:                              ;   Parent Loop BB8_165 Depth=1
                                        ; =>  This Inner Loop Header: Depth=2
	s_sleep 1
	global_store_dwordx2 v[0:1], v[6:7], off
	s_waitcnt_vscnt null, 0x0
	global_atomic_cmpswap_x2 v[8:9], v37, v[4:7], s[28:29] offset:24 glc
	s_waitcnt vmcnt(0)
	v_cmp_eq_u64_e32 vcc_lo, v[8:9], v[6:7]
	v_mov_b32_e32 v6, v8
	v_mov_b32_e32 v7, v9
	s_or_b32 s4, vcc_lo, s4
	s_andn2_b32 exec_lo, exec_lo, s4
	s_cbranch_execnz .LBB8_298
.LBB8_299:                              ;   in Loop: Header=BB8_165 Depth=1
	s_or_b32 exec_lo, exec_lo, s5
.LBB8_300:                              ;   in Loop: Header=BB8_165 Depth=1
	v_readfirstlane_b32 s4, v64
	s_waitcnt vmcnt(0)
	v_mov_b32_e32 v0, 0
	v_mov_b32_e32 v1, 0
	v_cmp_eq_u32_e64 s4, s4, v64
	s_and_saveexec_b32 s5, s4
	s_cbranch_execz .LBB8_306
; %bb.301:                              ;   in Loop: Header=BB8_165 Depth=1
	global_load_dwordx2 v[6:7], v37, s[28:29] offset:24 glc dlc
	s_waitcnt vmcnt(0)
	buffer_gl1_inv
	buffer_gl0_inv
	s_clause 0x1
	global_load_dwordx2 v[0:1], v37, s[28:29] offset:40
	global_load_dwordx2 v[4:5], v37, s[28:29]
	s_mov_b32 s6, exec_lo
	s_waitcnt vmcnt(1)
	v_and_b32_e32 v1, v1, v7
	v_and_b32_e32 v0, v0, v6
	v_mul_lo_u32 v1, v1, 24
	v_mul_hi_u32 v8, v0, 24
	v_mul_lo_u32 v0, v0, 24
	v_add_nc_u32_e32 v1, v8, v1
	s_waitcnt vmcnt(0)
	v_add_co_u32 v0, vcc_lo, v4, v0
	v_add_co_ci_u32_e32 v1, vcc_lo, v5, v1, vcc_lo
	global_load_dwordx2 v[4:5], v[0:1], off glc dlc
	s_waitcnt vmcnt(0)
	global_atomic_cmpswap_x2 v[0:1], v37, v[4:7], s[28:29] offset:24 glc
	s_waitcnt vmcnt(0)
	buffer_gl1_inv
	buffer_gl0_inv
	v_cmpx_ne_u64_e64 v[0:1], v[6:7]
	s_cbranch_execz .LBB8_305
; %bb.302:                              ;   in Loop: Header=BB8_165 Depth=1
	s_mov_b32 s7, 0
	.p2align	6
.LBB8_303:                              ;   Parent Loop BB8_165 Depth=1
                                        ; =>  This Inner Loop Header: Depth=2
	s_sleep 1
	s_clause 0x1
	global_load_dwordx2 v[4:5], v37, s[28:29] offset:40
	global_load_dwordx2 v[8:9], v37, s[28:29]
	v_mov_b32_e32 v7, v1
	v_mov_b32_e32 v6, v0
	s_waitcnt vmcnt(1)
	v_and_b32_e32 v0, v4, v6
	v_and_b32_e32 v4, v5, v7
	s_waitcnt vmcnt(0)
	v_mad_u64_u32 v[0:1], null, v0, 24, v[8:9]
	v_mad_u64_u32 v[4:5], null, v4, 24, v[1:2]
	v_mov_b32_e32 v1, v4
	global_load_dwordx2 v[4:5], v[0:1], off glc dlc
	s_waitcnt vmcnt(0)
	global_atomic_cmpswap_x2 v[0:1], v37, v[4:7], s[28:29] offset:24 glc
	s_waitcnt vmcnt(0)
	buffer_gl1_inv
	buffer_gl0_inv
	v_cmp_eq_u64_e32 vcc_lo, v[0:1], v[6:7]
	s_or_b32 s7, vcc_lo, s7
	s_andn2_b32 exec_lo, exec_lo, s7
	s_cbranch_execnz .LBB8_303
; %bb.304:                              ;   in Loop: Header=BB8_165 Depth=1
	s_or_b32 exec_lo, exec_lo, s7
.LBB8_305:                              ;   in Loop: Header=BB8_165 Depth=1
	s_or_b32 exec_lo, exec_lo, s6
.LBB8_306:                              ;   in Loop: Header=BB8_165 Depth=1
	s_or_b32 exec_lo, exec_lo, s5
	s_clause 0x1
	global_load_dwordx2 v[4:5], v37, s[28:29] offset:40
	global_load_dwordx4 v[6:9], v37, s[28:29]
	v_readfirstlane_b32 s6, v0
	v_readfirstlane_b32 s7, v1
	s_mov_b32 s5, exec_lo
	s_waitcnt vmcnt(1)
	v_readfirstlane_b32 s8, v4
	v_readfirstlane_b32 s9, v5
	s_and_b64 s[8:9], s[6:7], s[8:9]
	s_mul_i32 s10, s9, 24
	s_mul_hi_u32 s11, s8, 24
	s_mul_i32 s12, s8, 24
	s_add_i32 s11, s11, s10
	s_waitcnt vmcnt(0)
	v_add_co_u32 v10, vcc_lo, v6, s12
	v_add_co_ci_u32_e32 v11, vcc_lo, s11, v7, vcc_lo
	s_and_saveexec_b32 s10, s4
	s_cbranch_execz .LBB8_308
; %bb.307:                              ;   in Loop: Header=BB8_165 Depth=1
	v_mov_b32_e32 v36, s5
	global_store_dwordx4 v[10:11], v[36:39], off offset:8
.LBB8_308:                              ;   in Loop: Header=BB8_165 Depth=1
	s_or_b32 exec_lo, exec_lo, s10
	s_lshl_b64 s[8:9], s[8:9], 12
	v_and_or_b32 v2, 0xffffff1d, v2, 34
	v_add_co_u32 v0, vcc_lo, v8, s8
	v_add_co_ci_u32_e32 v1, vcc_lo, s9, v9, vcc_lo
	s_waitcnt lgkmcnt(0)
	v_ashrrev_i32_e32 v5, 31, v24
	v_mov_b32_e32 v4, v24
	v_readfirstlane_b32 s8, v0
	v_readfirstlane_b32 s9, v1
	v_mov_b32_e32 v12, s24
	v_mov_b32_e32 v13, s25
	;; [unrolled: 1-line block ×4, first 2 shown]
	global_store_dwordx4 v65, v[2:5], s[8:9]
	global_store_dwordx4 v65, v[12:15], s[8:9] offset:16
	global_store_dwordx4 v65, v[12:15], s[8:9] offset:32
	;; [unrolled: 1-line block ×3, first 2 shown]
	s_and_saveexec_b32 s5, s4
	s_cbranch_execz .LBB8_316
; %bb.309:                              ;   in Loop: Header=BB8_165 Depth=1
	s_clause 0x1
	global_load_dwordx2 v[8:9], v37, s[28:29] offset:32 glc dlc
	global_load_dwordx2 v[0:1], v37, s[28:29] offset:40
	s_waitcnt vmcnt(0)
	v_readfirstlane_b32 s8, v0
	v_readfirstlane_b32 s9, v1
	s_and_b64 s[8:9], s[8:9], s[6:7]
	s_mul_i32 s9, s9, 24
	s_mul_hi_u32 s10, s8, 24
	s_mul_i32 s8, s8, 24
	s_add_i32 s10, s10, s9
	v_add_co_u32 v4, vcc_lo, v6, s8
	v_add_co_ci_u32_e32 v5, vcc_lo, s10, v7, vcc_lo
	v_mov_b32_e32 v6, s6
	v_mov_b32_e32 v7, s7
	s_mov_b32 s8, exec_lo
	global_store_dwordx2 v[4:5], v[8:9], off
	s_waitcnt_vscnt null, 0x0
	global_atomic_cmpswap_x2 v[2:3], v37, v[6:9], s[28:29] offset:32 glc
	s_waitcnt vmcnt(0)
	v_cmpx_ne_u64_e64 v[2:3], v[8:9]
	s_cbranch_execz .LBB8_312
; %bb.310:                              ;   in Loop: Header=BB8_165 Depth=1
	s_mov_b32 s9, 0
.LBB8_311:                              ;   Parent Loop BB8_165 Depth=1
                                        ; =>  This Inner Loop Header: Depth=2
	v_mov_b32_e32 v0, s6
	v_mov_b32_e32 v1, s7
	s_sleep 1
	global_store_dwordx2 v[4:5], v[2:3], off
	s_waitcnt_vscnt null, 0x0
	global_atomic_cmpswap_x2 v[0:1], v37, v[0:3], s[28:29] offset:32 glc
	s_waitcnt vmcnt(0)
	v_cmp_eq_u64_e32 vcc_lo, v[0:1], v[2:3]
	v_mov_b32_e32 v3, v1
	v_mov_b32_e32 v2, v0
	s_or_b32 s9, vcc_lo, s9
	s_andn2_b32 exec_lo, exec_lo, s9
	s_cbranch_execnz .LBB8_311
.LBB8_312:                              ;   in Loop: Header=BB8_165 Depth=1
	s_or_b32 exec_lo, exec_lo, s8
	global_load_dwordx2 v[0:1], v37, s[28:29] offset:16
	s_mov_b32 s9, exec_lo
	s_mov_b32 s8, exec_lo
	v_mbcnt_lo_u32_b32 v2, s9, 0
	v_cmpx_eq_u32_e32 0, v2
	s_cbranch_execz .LBB8_314
; %bb.313:                              ;   in Loop: Header=BB8_165 Depth=1
	s_bcnt1_i32_b32 s9, s9
	v_mov_b32_e32 v36, s9
	s_waitcnt vmcnt(0)
	global_atomic_add_x2 v[0:1], v[36:37], off offset:8
.LBB8_314:                              ;   in Loop: Header=BB8_165 Depth=1
	s_or_b32 exec_lo, exec_lo, s8
	s_waitcnt vmcnt(0)
	global_load_dwordx2 v[2:3], v[0:1], off offset:16
	s_waitcnt vmcnt(0)
	v_cmp_eq_u64_e32 vcc_lo, 0, v[2:3]
	s_cbranch_vccnz .LBB8_316
; %bb.315:                              ;   in Loop: Header=BB8_165 Depth=1
	global_load_dword v36, v[0:1], off offset:24
	s_waitcnt vmcnt(0)
	v_and_b32_e32 v0, 0x7fffff, v36
	s_waitcnt_vscnt null, 0x0
	global_store_dwordx2 v[2:3], v[36:37], off
	v_readfirstlane_b32 m0, v0
	s_sendmsg sendmsg(MSG_INTERRUPT)
.LBB8_316:                              ;   in Loop: Header=BB8_165 Depth=1
	s_or_b32 exec_lo, exec_lo, s5
	s_branch .LBB8_320
	.p2align	6
.LBB8_317:                              ;   in Loop: Header=BB8_320 Depth=2
	s_or_b32 exec_lo, exec_lo, s5
	v_readfirstlane_b32 s5, v0
	s_cmp_eq_u32 s5, 0
	s_cbranch_scc1 .LBB8_319
; %bb.318:                              ;   in Loop: Header=BB8_320 Depth=2
	s_sleep 1
	s_cbranch_execnz .LBB8_320
	s_branch .LBB8_322
	.p2align	6
.LBB8_319:                              ;   in Loop: Header=BB8_165 Depth=1
	s_branch .LBB8_322
.LBB8_320:                              ;   Parent Loop BB8_165 Depth=1
                                        ; =>  This Inner Loop Header: Depth=2
	v_mov_b32_e32 v0, 1
	s_and_saveexec_b32 s5, s4
	s_cbranch_execz .LBB8_317
; %bb.321:                              ;   in Loop: Header=BB8_320 Depth=2
	global_load_dword v0, v[10:11], off offset:20 glc dlc
	s_waitcnt vmcnt(0)
	buffer_gl1_inv
	buffer_gl0_inv
	v_and_b32_e32 v0, 1, v0
	s_branch .LBB8_317
.LBB8_322:                              ;   in Loop: Header=BB8_165 Depth=1
	s_and_saveexec_b32 s5, s4
	s_cbranch_execz .LBB8_164
; %bb.323:                              ;   in Loop: Header=BB8_165 Depth=1
	s_clause 0x2
	global_load_dwordx2 v[2:3], v37, s[28:29] offset:40
	global_load_dwordx2 v[6:7], v37, s[28:29] offset:24 glc dlc
	global_load_dwordx2 v[4:5], v37, s[28:29]
	s_waitcnt vmcnt(2)
	v_add_co_u32 v8, vcc_lo, v2, 1
	v_add_co_ci_u32_e32 v9, vcc_lo, 0, v3, vcc_lo
	v_add_co_u32 v0, vcc_lo, v8, s6
	v_add_co_ci_u32_e32 v1, vcc_lo, s7, v9, vcc_lo
	v_cmp_eq_u64_e32 vcc_lo, 0, v[0:1]
	v_cndmask_b32_e32 v1, v1, v9, vcc_lo
	v_cndmask_b32_e32 v0, v0, v8, vcc_lo
	v_and_b32_e32 v3, v1, v3
	v_and_b32_e32 v2, v0, v2
	v_mul_lo_u32 v3, v3, 24
	v_mul_hi_u32 v8, v2, 24
	v_mul_lo_u32 v2, v2, 24
	v_add_nc_u32_e32 v3, v8, v3
	s_waitcnt vmcnt(0)
	v_add_co_u32 v4, vcc_lo, v4, v2
	v_mov_b32_e32 v2, v6
	v_add_co_ci_u32_e32 v5, vcc_lo, v5, v3, vcc_lo
	v_mov_b32_e32 v3, v7
	global_store_dwordx2 v[4:5], v[6:7], off
	s_waitcnt_vscnt null, 0x0
	global_atomic_cmpswap_x2 v[2:3], v37, v[0:3], s[28:29] offset:24 glc
	s_waitcnt vmcnt(0)
	v_cmp_ne_u64_e32 vcc_lo, v[2:3], v[6:7]
	s_and_b32 exec_lo, exec_lo, vcc_lo
	s_cbranch_execz .LBB8_164
; %bb.324:                              ;   in Loop: Header=BB8_165 Depth=1
	s_mov_b32 s4, 0
.LBB8_325:                              ;   Parent Loop BB8_165 Depth=1
                                        ; =>  This Inner Loop Header: Depth=2
	s_sleep 1
	global_store_dwordx2 v[4:5], v[2:3], off
	s_waitcnt_vscnt null, 0x0
	global_atomic_cmpswap_x2 v[6:7], v37, v[0:3], s[28:29] offset:24 glc
	s_waitcnt vmcnt(0)
	v_cmp_eq_u64_e32 vcc_lo, v[6:7], v[2:3]
	v_mov_b32_e32 v2, v6
	v_mov_b32_e32 v3, v7
	s_or_b32 s4, vcc_lo, s4
	s_andn2_b32 exec_lo, exec_lo, s4
	s_cbranch_execnz .LBB8_325
	s_branch .LBB8_164
.LBB8_326:
	v_readlane_b32 s30, v40, 0
	v_readlane_b32 s31, v40, 1
	;; [unrolled: 1-line block ×3, first 2 shown]
	s_or_saveexec_b32 s5, -1
	buffer_load_dword v40, off, s[0:3], s33 ; 4-byte Folded Reload
	s_mov_b32 exec_lo, s5
	s_addk_i32 s32, 0xfe00
	s_mov_b32 s33, s4
	s_waitcnt vmcnt(0) lgkmcnt(0)
	s_setpc_b64 s[30:31]
.Lfunc_end8:
	.size	_ZN8migraphx4testlsIKNS_13basic_printerIZNS_4coutEvEUlT_E_EEEERS3_S7_RKNS0_10expressionINS0_14lhs_expressionIRNS_5arrayIiLj5EEENS0_3nopEEESC_NS0_5equalEEE, .Lfunc_end8-_ZN8migraphx4testlsIKNS_13basic_printerIZNS_4coutEvEUlT_E_EEEERS3_S7_RKNS0_10expressionINS0_14lhs_expressionIRNS_5arrayIiLj5EEENS0_3nopEEESC_NS0_5equalEEE
                                        ; -- End function
	.section	.AMDGPU.csdata,"",@progbits
; Function info:
; codeLenInByte = 12088
; NumSgprs: 39
; NumVgprs: 66
; ScratchSize: 16
; MemoryBound: 0
	.text
	.p2align	2                               ; -- Begin function _ZL24merge_all_equal_elementsRN8migraphx4test12test_managerE
	.type	_ZL24merge_all_equal_elementsRN8migraphx4test12test_managerE,@function
_ZL24merge_all_equal_elementsRN8migraphx4test12test_managerE: ; @_ZL24merge_all_equal_elementsRN8migraphx4test12test_managerE
; %bb.0:
	s_waitcnt vmcnt(0) expcnt(0) lgkmcnt(0)
	s_mov_b32 s4, s33
	s_mov_b32 s33, s32
	s_or_saveexec_b32 s5, -1
	buffer_store_dword v41, off, s[0:3], s33 offset:80 ; 4-byte Folded Spill
	s_mov_b32 exec_lo, s5
	v_writelane_b32 v41, s4, 2
	v_writelane_b32 v41, s30, 0
	s_addk_i32 s32, 0xc00
	v_writelane_b32 v41, s31, 1
	v_lshrrev_b32_e64 v3, 5, s33
	v_mov_b32_e32 v67, v1
	v_mov_b32_e32 v66, v0
	;; [unrolled: 1-line block ×4, first 2 shown]
	v_add_nc_u32_e32 v3, 20, v3
	v_mov_b32_e32 v4, 0
	s_mov_b32 s4, 0
	buffer_store_dword v0, off, s[0:3], s33
	buffer_store_dword v0, off, s[0:3], s33 offset:4
	buffer_store_dword v0, off, s[0:3], s33 offset:8
	buffer_store_dword v0, off, s[0:3], s33 offset:12
	buffer_store_dword v0, off, s[0:3], s33 offset:16
	buffer_store_dword v2, off, s[0:3], s33 offset:20
	buffer_store_dword v2, off, s[0:3], s33 offset:24
	buffer_store_dword v2, off, s[0:3], s33 offset:28
	buffer_store_dword v2, off, s[0:3], s33 offset:32
	buffer_store_dword v2, off, s[0:3], s33 offset:36
                                        ; implicit-def: $sgpr5
                                        ; implicit-def: $sgpr7
                                        ; implicit-def: $sgpr6
	s_inst_prefetch 0x1
	s_branch .LBB9_2
	.p2align	6
.LBB9_1:                                ;   in Loop: Header=BB9_2 Depth=1
	s_or_b32 exec_lo, exec_lo, s10
	s_and_b32 s10, exec_lo, s7
	s_or_b32 s4, s10, s4
	s_andn2_b32 s5, s5, exec_lo
	s_and_b32 s10, s6, exec_lo
	s_or_b32 s5, s5, s10
	s_andn2_b32 exec_lo, exec_lo, s4
	s_cbranch_execz .LBB9_4
.LBB9_2:                                ; =>This Inner Loop Header: Depth=1
	v_mov_b32_e32 v1, v4
	v_mov_b32_e32 v0, v3
	s_or_b32 s6, s6, exec_lo
	s_or_b32 s7, s7, exec_lo
	s_mov_b32 s10, exec_lo
                                        ; implicit-def: $vgpr4
                                        ; implicit-def: $vgpr3
	v_cmpx_ne_u32_e32 8, v2
	s_cbranch_execz .LBB9_1
; %bb.3:                                ;   in Loop: Header=BB9_2 Depth=1
	v_lshrrev_b32_e64 v4, 5, s33
	v_lshrrev_b32_e64 v5, 5, s33
	s_andn2_b32 s7, s7, exec_lo
	s_andn2_b32 s6, s6, exec_lo
	v_add_nc_u32_e32 v4, 12, v4
	v_add_nc_u32_e32 v3, v4, v2
	;; [unrolled: 1-line block ×3, first 2 shown]
	s_clause 0x1
	buffer_load_dword v3, v3, s[0:3], 0 offen
	buffer_load_dword v5, v4, s[0:3], 0 offen
	s_waitcnt vmcnt(0)
	v_cmp_ge_i32_e32 vcc_lo, v3, v5
	v_cndmask_b32_e64 v4, 0, 1, vcc_lo
	v_cmp_lt_i32_e32 vcc_lo, v3, v5
	v_min_i32_e32 v5, v3, v5
	v_add_nc_u32_e32 v3, 4, v0
	v_lshl_add_u32 v4, v4, 2, v1
	v_cndmask_b32_e64 v6, 0, 1, vcc_lo
	buffer_store_dword v5, v0, s[0:3], 0 offen
	v_cmp_eq_u32_e32 vcc_lo, 12, v4
	v_lshl_add_u32 v2, v6, 2, v2
	s_and_b32 s11, vcc_lo, exec_lo
	s_or_b32 s7, s7, s11
	s_branch .LBB9_1
.LBB9_4:
	s_inst_prefetch 0x2
	s_or_b32 exec_lo, exec_lo, s4
	s_xor_b32 s4, s5, -1
	s_and_saveexec_b32 s5, s4
	s_xor_b32 s4, exec_lo, s5
	s_cbranch_execz .LBB9_9
; %bb.5:
	s_mov_b32 s5, exec_lo
	v_cmpx_ne_u32_e32 8, v2
	s_cbranch_execz .LBB9_8
; %bb.6:
	v_lshrrev_b32_e64 v5, 5, s33
	s_mov_b32 s6, 0
	s_mov_b32 s7, 0
	v_add_nc_u32_e32 v5, 12, v5
	v_add_nc_u32_e32 v4, v5, v2
	v_sub_nc_u32_e32 v2, 8, v2
.LBB9_7:                                ; =>This Inner Loop Header: Depth=1
	v_add_nc_u32_e32 v5, s7, v4
	v_add_nc_u32_e32 v6, s7, v3
	s_add_i32 s7, s7, 4
	v_cmp_eq_u32_e32 vcc_lo, s7, v2
	buffer_load_dword v5, v5, s[0:3], 0 offen
	s_or_b32 s6, vcc_lo, s6
	s_waitcnt vmcnt(0)
	buffer_store_dword v5, v6, s[0:3], 0 offen
	s_andn2_b32 exec_lo, exec_lo, s6
	s_cbranch_execnz .LBB9_7
.LBB9_8:
	s_or_b32 exec_lo, exec_lo, s5
.LBB9_9:
	s_andn2_saveexec_b32 s4, s4
	s_cbranch_execz .LBB9_13
; %bb.10:
	v_lshrrev_b32_e64 v3, 5, s33
	s_mov_b32 s5, 0
	s_mov_b32 s6, 0
	v_add_nc_u32_e32 v2, v3, v1
	v_sub_nc_u32_e32 v1, 12, v1
.LBB9_11:                               ; =>This Inner Loop Header: Depth=1
	v_add_nc_u32_e32 v3, s6, v2
	v_add_nc_u32_e32 v4, s6, v0
	s_add_i32 s6, s6, 4
	v_cmp_eq_u32_e32 vcc_lo, s6, v1
	buffer_load_dword v3, v3, s[0:3], 0 offen
	s_or_b32 s5, vcc_lo, s5
	s_waitcnt vmcnt(0)
	buffer_store_dword v3, v4, s[0:3], 0 offen
	s_andn2_b32 exec_lo, exec_lo, s5
	s_cbranch_execnz .LBB9_11
; %bb.12:
	s_or_b32 exec_lo, exec_lo, s5
.LBB9_13:
	s_or_b32 exec_lo, exec_lo, s4
	s_clause 0x4
	buffer_load_dword v0, off, s[0:3], s33 offset:24
	buffer_load_dword v1, off, s[0:3], s33 offset:28
	;; [unrolled: 1-line block ×5, first 2 shown]
	s_mov_b64 s[4:5], src_private_base
	s_waitcnt vmcnt(4)
	v_cmp_ne_u32_e32 vcc_lo, 5, v0
	v_cndmask_b32_e64 v0, 0, 1, vcc_lo
	s_waitcnt vmcnt(3)
	v_cmp_ne_u32_e32 vcc_lo, 5, v1
	v_lshlrev_b16 v0, 1, v0
	v_cndmask_b32_e64 v1, 0, 1, vcc_lo
	s_waitcnt vmcnt(2)
	v_cmp_ne_u32_e32 vcc_lo, 5, v2
	v_lshlrev_b16 v1, 2, v1
	;; [unrolled: 4-line block ×3, first 2 shown]
	v_cndmask_b32_e64 v3, 0, 1, vcc_lo
	s_waitcnt vmcnt(0)
	v_cmp_ne_u32_e32 vcc_lo, 5, v4
	v_or_b32_e32 v1, v2, v1
	v_or_b32_e32 v0, v3, v0
	v_mov_b32_e32 v2, 5
	buffer_store_dword v2, off, s[0:3], s33 offset:40
	buffer_store_dword v2, off, s[0:3], s33 offset:44
	;; [unrolled: 1-line block ×4, first 2 shown]
	v_and_b32_e32 v0, 3, v0
	buffer_store_dword v2, off, s[0:3], s33 offset:56
	v_lshrrev_b32_e64 v2, 5, s33
	v_or_b32_e32 v0, v0, v1
	v_mov_b32_e32 v1, s5
	v_add_nc_u32_e32 v2, 20, v2
	buffer_store_dword v1, off, s[0:3], s33 offset:68
	buffer_store_dword v2, off, s[0:3], s33 offset:64
	buffer_store_dword v1, off, s[0:3], s33 offset:76
	v_and_b32_e32 v0, 15, v0
	v_cmp_ne_u16_e64 s4, 0, v0
	v_lshrrev_b32_e64 v0, 5, s33
	s_or_b32 s4, s4, vcc_lo
	v_add_nc_u32_e32 v0, 40, v0
	buffer_store_dword v0, off, s[0:3], s33 offset:72
	s_and_saveexec_b32 s5, s4
	s_xor_b32 s37, exec_lo, s5
	s_cbranch_execz .LBB9_1692
; %bb.14:
	v_and_b32_e32 v0, 0x3ff, v31
	s_mov_b32 s42, exec_lo
	v_cmpx_eq_u32_e32 0, v0
	s_cbranch_execz .LBB9_1691
; %bb.15:
	s_load_dwordx2 s[40:41], s[8:9], 0x50
	v_mbcnt_lo_u32_b32 v69, -1, 0
	v_mov_b32_e32 v6, 0
	v_mov_b32_e32 v7, 0
	v_readfirstlane_b32 s4, v69
	v_cmp_eq_u32_e64 s4, s4, v69
	s_and_saveexec_b32 s5, s4
	s_cbranch_execz .LBB9_21
; %bb.16:
	v_mov_b32_e32 v0, 0
	s_mov_b32 s6, exec_lo
	s_waitcnt lgkmcnt(0)
	global_load_dwordx2 v[3:4], v0, s[40:41] offset:24 glc dlc
	s_waitcnt vmcnt(0)
	buffer_gl1_inv
	buffer_gl0_inv
	s_clause 0x1
	global_load_dwordx2 v[1:2], v0, s[40:41] offset:40
	global_load_dwordx2 v[5:6], v0, s[40:41]
	s_waitcnt vmcnt(1)
	v_and_b32_e32 v2, v2, v4
	v_and_b32_e32 v1, v1, v3
	v_mul_lo_u32 v2, v2, 24
	v_mul_hi_u32 v7, v1, 24
	v_mul_lo_u32 v1, v1, 24
	v_add_nc_u32_e32 v2, v7, v2
	s_waitcnt vmcnt(0)
	v_add_co_u32 v1, vcc_lo, v5, v1
	v_add_co_ci_u32_e32 v2, vcc_lo, v6, v2, vcc_lo
	global_load_dwordx2 v[1:2], v[1:2], off glc dlc
	s_waitcnt vmcnt(0)
	global_atomic_cmpswap_x2 v[6:7], v0, v[1:4], s[40:41] offset:24 glc
	s_waitcnt vmcnt(0)
	buffer_gl1_inv
	buffer_gl0_inv
	v_cmpx_ne_u64_e64 v[6:7], v[3:4]
	s_cbranch_execz .LBB9_20
; %bb.17:
	s_mov_b32 s7, 0
	.p2align	6
.LBB9_18:                               ; =>This Inner Loop Header: Depth=1
	s_sleep 1
	s_clause 0x1
	global_load_dwordx2 v[1:2], v0, s[40:41] offset:40
	global_load_dwordx2 v[8:9], v0, s[40:41]
	v_mov_b32_e32 v3, v6
	v_mov_b32_e32 v4, v7
	s_waitcnt vmcnt(1)
	v_and_b32_e32 v1, v1, v3
	v_and_b32_e32 v2, v2, v4
	s_waitcnt vmcnt(0)
	v_mad_u64_u32 v[5:6], null, v1, 24, v[8:9]
	v_mov_b32_e32 v1, v6
	v_mad_u64_u32 v[1:2], null, v2, 24, v[1:2]
	v_mov_b32_e32 v6, v1
	global_load_dwordx2 v[1:2], v[5:6], off glc dlc
	s_waitcnt vmcnt(0)
	global_atomic_cmpswap_x2 v[6:7], v0, v[1:4], s[40:41] offset:24 glc
	s_waitcnt vmcnt(0)
	buffer_gl1_inv
	buffer_gl0_inv
	v_cmp_eq_u64_e32 vcc_lo, v[6:7], v[3:4]
	s_or_b32 s7, vcc_lo, s7
	s_andn2_b32 exec_lo, exec_lo, s7
	s_cbranch_execnz .LBB9_18
; %bb.19:
	s_or_b32 exec_lo, exec_lo, s7
.LBB9_20:
	s_or_b32 exec_lo, exec_lo, s6
.LBB9_21:
	s_or_b32 exec_lo, exec_lo, s5
	v_mov_b32_e32 v5, 0
	v_readfirstlane_b32 s6, v6
	v_readfirstlane_b32 s7, v7
	s_mov_b32 s5, exec_lo
	s_waitcnt lgkmcnt(0)
	s_clause 0x1
	global_load_dwordx2 v[8:9], v5, s[40:41] offset:40
	global_load_dwordx4 v[0:3], v5, s[40:41]
	s_waitcnt vmcnt(1)
	v_readfirstlane_b32 s10, v8
	v_readfirstlane_b32 s11, v9
	s_and_b64 s[10:11], s[6:7], s[10:11]
	s_mul_i32 s15, s11, 24
	s_mul_hi_u32 s16, s10, 24
	s_mul_i32 s17, s10, 24
	s_add_i32 s16, s16, s15
	s_waitcnt vmcnt(0)
	v_add_co_u32 v8, vcc_lo, v0, s17
	v_add_co_ci_u32_e32 v9, vcc_lo, s16, v1, vcc_lo
	s_and_saveexec_b32 s15, s4
	s_cbranch_execz .LBB9_23
; %bb.22:
	v_mov_b32_e32 v4, s5
	v_mov_b32_e32 v6, 2
	;; [unrolled: 1-line block ×3, first 2 shown]
	global_store_dwordx4 v[8:9], v[4:7], off offset:8
.LBB9_23:
	s_or_b32 exec_lo, exec_lo, s15
	s_lshl_b64 s[10:11], s[10:11], 12
	v_lshlrev_b32_e32 v68, 6, v69
	v_add_co_u32 v2, vcc_lo, v2, s10
	v_add_co_ci_u32_e32 v3, vcc_lo, s11, v3, vcc_lo
	s_mov_b32 s16, 0
	v_add_co_u32 v10, vcc_lo, v2, v68
	s_mov_b32 s17, s16
	s_mov_b32 s18, s16
	;; [unrolled: 1-line block ×3, first 2 shown]
	v_mov_b32_e32 v4, 33
	v_mov_b32_e32 v6, v5
	;; [unrolled: 1-line block ×3, first 2 shown]
	v_readfirstlane_b32 s10, v2
	v_readfirstlane_b32 s11, v3
	v_mov_b32_e32 v12, s16
	v_add_co_ci_u32_e32 v11, vcc_lo, 0, v3, vcc_lo
	v_mov_b32_e32 v13, s17
	v_mov_b32_e32 v14, s18
	;; [unrolled: 1-line block ×3, first 2 shown]
	global_store_dwordx4 v68, v[4:7], s[10:11]
	global_store_dwordx4 v68, v[12:15], s[10:11] offset:16
	global_store_dwordx4 v68, v[12:15], s[10:11] offset:32
	;; [unrolled: 1-line block ×3, first 2 shown]
	s_and_saveexec_b32 s5, s4
	s_cbranch_execz .LBB9_31
; %bb.24:
	v_mov_b32_e32 v6, 0
	v_mov_b32_e32 v12, s6
	;; [unrolled: 1-line block ×3, first 2 shown]
	s_mov_b32 s10, exec_lo
	s_clause 0x1
	global_load_dwordx2 v[14:15], v6, s[40:41] offset:32 glc dlc
	global_load_dwordx2 v[2:3], v6, s[40:41] offset:40
	s_waitcnt vmcnt(0)
	v_and_b32_e32 v3, s7, v3
	v_and_b32_e32 v2, s6, v2
	v_mul_lo_u32 v3, v3, 24
	v_mul_hi_u32 v4, v2, 24
	v_mul_lo_u32 v2, v2, 24
	v_add_nc_u32_e32 v3, v4, v3
	v_add_co_u32 v4, vcc_lo, v0, v2
	v_add_co_ci_u32_e32 v5, vcc_lo, v1, v3, vcc_lo
	global_store_dwordx2 v[4:5], v[14:15], off
	s_waitcnt_vscnt null, 0x0
	global_atomic_cmpswap_x2 v[2:3], v6, v[12:15], s[40:41] offset:32 glc
	s_waitcnt vmcnt(0)
	v_cmpx_ne_u64_e64 v[2:3], v[14:15]
	s_cbranch_execz .LBB9_27
; %bb.25:
	s_mov_b32 s11, 0
.LBB9_26:                               ; =>This Inner Loop Header: Depth=1
	v_mov_b32_e32 v0, s6
	v_mov_b32_e32 v1, s7
	s_sleep 1
	global_store_dwordx2 v[4:5], v[2:3], off
	s_waitcnt_vscnt null, 0x0
	global_atomic_cmpswap_x2 v[0:1], v6, v[0:3], s[40:41] offset:32 glc
	s_waitcnt vmcnt(0)
	v_cmp_eq_u64_e32 vcc_lo, v[0:1], v[2:3]
	v_mov_b32_e32 v3, v1
	v_mov_b32_e32 v2, v0
	s_or_b32 s11, vcc_lo, s11
	s_andn2_b32 exec_lo, exec_lo, s11
	s_cbranch_execnz .LBB9_26
.LBB9_27:
	s_or_b32 exec_lo, exec_lo, s10
	v_mov_b32_e32 v3, 0
	s_mov_b32 s11, exec_lo
	s_mov_b32 s10, exec_lo
	v_mbcnt_lo_u32_b32 v2, s11, 0
	global_load_dwordx2 v[0:1], v3, s[40:41] offset:16
	v_cmpx_eq_u32_e32 0, v2
	s_cbranch_execz .LBB9_29
; %bb.28:
	s_bcnt1_i32_b32 s11, s11
	v_mov_b32_e32 v2, s11
	s_waitcnt vmcnt(0)
	global_atomic_add_x2 v[0:1], v[2:3], off offset:8
.LBB9_29:
	s_or_b32 exec_lo, exec_lo, s10
	s_waitcnt vmcnt(0)
	global_load_dwordx2 v[2:3], v[0:1], off offset:16
	s_waitcnt vmcnt(0)
	v_cmp_eq_u64_e32 vcc_lo, 0, v[2:3]
	s_cbranch_vccnz .LBB9_31
; %bb.30:
	global_load_dword v0, v[0:1], off offset:24
	v_mov_b32_e32 v1, 0
	s_waitcnt vmcnt(0)
	v_and_b32_e32 v4, 0x7fffff, v0
	s_waitcnt_vscnt null, 0x0
	global_store_dwordx2 v[2:3], v[0:1], off
	v_readfirstlane_b32 m0, v4
	s_sendmsg sendmsg(MSG_INTERRUPT)
.LBB9_31:
	s_or_b32 exec_lo, exec_lo, s5
	s_branch .LBB9_35
	.p2align	6
.LBB9_32:                               ;   in Loop: Header=BB9_35 Depth=1
	s_or_b32 exec_lo, exec_lo, s5
	v_readfirstlane_b32 s5, v0
	s_cmp_eq_u32 s5, 0
	s_cbranch_scc1 .LBB9_34
; %bb.33:                               ;   in Loop: Header=BB9_35 Depth=1
	s_sleep 1
	s_cbranch_execnz .LBB9_35
	s_branch .LBB9_37
	.p2align	6
.LBB9_34:
	s_branch .LBB9_37
.LBB9_35:                               ; =>This Inner Loop Header: Depth=1
	v_mov_b32_e32 v0, 1
	s_and_saveexec_b32 s5, s4
	s_cbranch_execz .LBB9_32
; %bb.36:                               ;   in Loop: Header=BB9_35 Depth=1
	global_load_dword v0, v[8:9], off offset:20 glc dlc
	s_waitcnt vmcnt(0)
	buffer_gl1_inv
	buffer_gl0_inv
	v_and_b32_e32 v0, 1, v0
	s_branch .LBB9_32
.LBB9_37:
	global_load_dwordx2 v[4:5], v[10:11], off
	s_and_saveexec_b32 s5, s4
	s_cbranch_execz .LBB9_41
; %bb.38:
	v_mov_b32_e32 v8, 0
	s_clause 0x2
	global_load_dwordx2 v[2:3], v8, s[40:41] offset:40
	global_load_dwordx2 v[9:10], v8, s[40:41] offset:24 glc dlc
	global_load_dwordx2 v[6:7], v8, s[40:41]
	s_waitcnt vmcnt(2)
	v_add_co_u32 v11, vcc_lo, v2, 1
	v_add_co_ci_u32_e32 v12, vcc_lo, 0, v3, vcc_lo
	v_add_co_u32 v0, vcc_lo, v11, s6
	v_add_co_ci_u32_e32 v1, vcc_lo, s7, v12, vcc_lo
	v_cmp_eq_u64_e32 vcc_lo, 0, v[0:1]
	v_cndmask_b32_e32 v1, v1, v12, vcc_lo
	v_cndmask_b32_e32 v0, v0, v11, vcc_lo
	v_and_b32_e32 v3, v1, v3
	v_and_b32_e32 v2, v0, v2
	v_mul_lo_u32 v3, v3, 24
	v_mul_hi_u32 v11, v2, 24
	v_mul_lo_u32 v2, v2, 24
	v_add_nc_u32_e32 v3, v11, v3
	s_waitcnt vmcnt(0)
	v_add_co_u32 v6, vcc_lo, v6, v2
	v_mov_b32_e32 v2, v9
	v_add_co_ci_u32_e32 v7, vcc_lo, v7, v3, vcc_lo
	v_mov_b32_e32 v3, v10
	global_store_dwordx2 v[6:7], v[9:10], off
	s_waitcnt_vscnt null, 0x0
	global_atomic_cmpswap_x2 v[2:3], v8, v[0:3], s[40:41] offset:24 glc
	s_waitcnt vmcnt(0)
	v_cmp_ne_u64_e32 vcc_lo, v[2:3], v[9:10]
	s_and_b32 exec_lo, exec_lo, vcc_lo
	s_cbranch_execz .LBB9_41
; %bb.39:
	s_mov_b32 s4, 0
.LBB9_40:                               ; =>This Inner Loop Header: Depth=1
	s_sleep 1
	global_store_dwordx2 v[6:7], v[2:3], off
	s_waitcnt_vscnt null, 0x0
	global_atomic_cmpswap_x2 v[9:10], v8, v[0:3], s[40:41] offset:24 glc
	s_waitcnt vmcnt(0)
	v_cmp_eq_u64_e32 vcc_lo, v[9:10], v[2:3]
	v_mov_b32_e32 v2, v9
	v_mov_b32_e32 v3, v10
	s_or_b32 s4, vcc_lo, s4
	s_andn2_b32 exec_lo, exec_lo, s4
	s_cbranch_execnz .LBB9_40
.LBB9_41:
	s_or_b32 exec_lo, exec_lo, s5
	s_getpc_b64 s[6:7]
	s_add_u32 s6, s6, .str.5@rel32@lo+4
	s_addc_u32 s7, s7, .str.5@rel32@hi+12
	s_cmp_lg_u64 s[6:7], 0
	s_cselect_b32 s15, -1, 0
	s_and_b32 vcc_lo, exec_lo, s15
	s_cbranch_vccz .LBB9_120
; %bb.42:
	s_waitcnt vmcnt(0)
	v_and_b32_e32 v28, 2, v4
	v_mov_b32_e32 v7, 0
	v_and_b32_e32 v0, -3, v4
	v_mov_b32_e32 v1, v5
	v_mov_b32_e32 v8, 2
	;; [unrolled: 1-line block ×3, first 2 shown]
	s_mov_b64 s[10:11], 3
	s_branch .LBB9_44
.LBB9_43:                               ;   in Loop: Header=BB9_44 Depth=1
	s_or_b32 exec_lo, exec_lo, s5
	s_sub_u32 s10, s10, s16
	s_subb_u32 s11, s11, s17
	s_add_u32 s6, s6, s16
	s_addc_u32 s7, s7, s17
	s_cmp_lg_u64 s[10:11], 0
	s_cbranch_scc0 .LBB9_119
.LBB9_44:                               ; =>This Loop Header: Depth=1
                                        ;     Child Loop BB9_53 Depth 2
                                        ;     Child Loop BB9_49 Depth 2
	;; [unrolled: 1-line block ×11, first 2 shown]
	v_cmp_lt_u64_e64 s4, s[10:11], 56
	v_cmp_gt_u64_e64 s5, s[10:11], 7
                                        ; implicit-def: $vgpr2_vgpr3
                                        ; implicit-def: $sgpr22
	s_and_b32 s4, s4, exec_lo
	s_cselect_b32 s17, s11, 0
	s_cselect_b32 s16, s10, 56
	s_and_b32 vcc_lo, exec_lo, s5
	s_mov_b32 s4, -1
	s_cbranch_vccz .LBB9_51
; %bb.45:                               ;   in Loop: Header=BB9_44 Depth=1
	s_andn2_b32 vcc_lo, exec_lo, s4
	s_mov_b64 s[4:5], s[6:7]
	s_cbranch_vccz .LBB9_55
.LBB9_46:                               ;   in Loop: Header=BB9_44 Depth=1
	s_cmp_gt_u32 s22, 7
	s_cbranch_scc1 .LBB9_56
.LBB9_47:                               ;   in Loop: Header=BB9_44 Depth=1
	v_mov_b32_e32 v10, 0
	v_mov_b32_e32 v11, 0
	s_cmp_eq_u32 s22, 0
	s_cbranch_scc1 .LBB9_50
; %bb.48:                               ;   in Loop: Header=BB9_44 Depth=1
	s_mov_b64 s[18:19], 0
	s_mov_b64 s[20:21], 0
.LBB9_49:                               ;   Parent Loop BB9_44 Depth=1
                                        ; =>  This Inner Loop Header: Depth=2
	s_add_u32 s24, s4, s20
	s_addc_u32 s25, s5, s21
	s_add_u32 s20, s20, 1
	global_load_ubyte v6, v7, s[24:25]
	s_addc_u32 s21, s21, 0
	s_waitcnt vmcnt(0)
	v_and_b32_e32 v6, 0xffff, v6
	v_lshlrev_b64 v[12:13], s18, v[6:7]
	s_add_u32 s18, s18, 8
	s_addc_u32 s19, s19, 0
	s_cmp_lg_u32 s22, s20
	v_or_b32_e32 v10, v12, v10
	v_or_b32_e32 v11, v13, v11
	s_cbranch_scc1 .LBB9_49
.LBB9_50:                               ;   in Loop: Header=BB9_44 Depth=1
	s_mov_b32 s23, 0
	s_cbranch_execz .LBB9_57
	s_branch .LBB9_58
.LBB9_51:                               ;   in Loop: Header=BB9_44 Depth=1
	s_waitcnt vmcnt(0)
	v_mov_b32_e32 v2, 0
	v_mov_b32_e32 v3, 0
	s_cmp_eq_u64 s[10:11], 0
	s_mov_b64 s[4:5], 0
	s_cbranch_scc1 .LBB9_54
; %bb.52:                               ;   in Loop: Header=BB9_44 Depth=1
	v_mov_b32_e32 v2, 0
	v_mov_b32_e32 v3, 0
	s_lshl_b64 s[18:19], s[16:17], 3
	s_mov_b64 s[20:21], s[6:7]
.LBB9_53:                               ;   Parent Loop BB9_44 Depth=1
                                        ; =>  This Inner Loop Header: Depth=2
	global_load_ubyte v6, v7, s[20:21]
	s_waitcnt vmcnt(0)
	v_and_b32_e32 v6, 0xffff, v6
	v_lshlrev_b64 v[10:11], s4, v[6:7]
	s_add_u32 s4, s4, 8
	s_addc_u32 s5, s5, 0
	s_add_u32 s20, s20, 1
	s_addc_u32 s21, s21, 0
	s_cmp_lg_u32 s18, s4
	v_or_b32_e32 v2, v10, v2
	v_or_b32_e32 v3, v11, v3
	s_cbranch_scc1 .LBB9_53
.LBB9_54:                               ;   in Loop: Header=BB9_44 Depth=1
	s_mov_b32 s22, 0
	s_mov_b64 s[4:5], s[6:7]
	s_cbranch_execnz .LBB9_46
.LBB9_55:                               ;   in Loop: Header=BB9_44 Depth=1
	global_load_dwordx2 v[2:3], v7, s[6:7]
	s_add_i32 s22, s16, -8
	s_add_u32 s4, s6, 8
	s_addc_u32 s5, s7, 0
	s_cmp_gt_u32 s22, 7
	s_cbranch_scc0 .LBB9_47
.LBB9_56:                               ;   in Loop: Header=BB9_44 Depth=1
                                        ; implicit-def: $vgpr10_vgpr11
                                        ; implicit-def: $sgpr23
.LBB9_57:                               ;   in Loop: Header=BB9_44 Depth=1
	global_load_dwordx2 v[10:11], v7, s[4:5]
	s_add_i32 s23, s22, -8
	s_add_u32 s4, s4, 8
	s_addc_u32 s5, s5, 0
.LBB9_58:                               ;   in Loop: Header=BB9_44 Depth=1
	s_cmp_gt_u32 s23, 7
	s_cbranch_scc1 .LBB9_63
; %bb.59:                               ;   in Loop: Header=BB9_44 Depth=1
	v_mov_b32_e32 v12, 0
	v_mov_b32_e32 v13, 0
	s_cmp_eq_u32 s23, 0
	s_cbranch_scc1 .LBB9_62
; %bb.60:                               ;   in Loop: Header=BB9_44 Depth=1
	s_mov_b64 s[18:19], 0
	s_mov_b64 s[20:21], 0
.LBB9_61:                               ;   Parent Loop BB9_44 Depth=1
                                        ; =>  This Inner Loop Header: Depth=2
	s_add_u32 s24, s4, s20
	s_addc_u32 s25, s5, s21
	s_add_u32 s20, s20, 1
	global_load_ubyte v6, v7, s[24:25]
	s_addc_u32 s21, s21, 0
	s_waitcnt vmcnt(0)
	v_and_b32_e32 v6, 0xffff, v6
	v_lshlrev_b64 v[14:15], s18, v[6:7]
	s_add_u32 s18, s18, 8
	s_addc_u32 s19, s19, 0
	s_cmp_lg_u32 s23, s20
	v_or_b32_e32 v12, v14, v12
	v_or_b32_e32 v13, v15, v13
	s_cbranch_scc1 .LBB9_61
.LBB9_62:                               ;   in Loop: Header=BB9_44 Depth=1
	s_mov_b32 s22, 0
	s_cbranch_execz .LBB9_64
	s_branch .LBB9_65
.LBB9_63:                               ;   in Loop: Header=BB9_44 Depth=1
                                        ; implicit-def: $sgpr22
.LBB9_64:                               ;   in Loop: Header=BB9_44 Depth=1
	global_load_dwordx2 v[12:13], v7, s[4:5]
	s_add_i32 s22, s23, -8
	s_add_u32 s4, s4, 8
	s_addc_u32 s5, s5, 0
.LBB9_65:                               ;   in Loop: Header=BB9_44 Depth=1
	s_cmp_gt_u32 s22, 7
	s_cbranch_scc1 .LBB9_70
; %bb.66:                               ;   in Loop: Header=BB9_44 Depth=1
	v_mov_b32_e32 v14, 0
	v_mov_b32_e32 v15, 0
	s_cmp_eq_u32 s22, 0
	s_cbranch_scc1 .LBB9_69
; %bb.67:                               ;   in Loop: Header=BB9_44 Depth=1
	s_mov_b64 s[18:19], 0
	s_mov_b64 s[20:21], 0
.LBB9_68:                               ;   Parent Loop BB9_44 Depth=1
                                        ; =>  This Inner Loop Header: Depth=2
	s_add_u32 s24, s4, s20
	s_addc_u32 s25, s5, s21
	s_add_u32 s20, s20, 1
	global_load_ubyte v6, v7, s[24:25]
	s_addc_u32 s21, s21, 0
	s_waitcnt vmcnt(0)
	v_and_b32_e32 v6, 0xffff, v6
	v_lshlrev_b64 v[16:17], s18, v[6:7]
	s_add_u32 s18, s18, 8
	s_addc_u32 s19, s19, 0
	s_cmp_lg_u32 s22, s20
	v_or_b32_e32 v14, v16, v14
	v_or_b32_e32 v15, v17, v15
	s_cbranch_scc1 .LBB9_68
.LBB9_69:                               ;   in Loop: Header=BB9_44 Depth=1
	s_mov_b32 s23, 0
	s_cbranch_execz .LBB9_71
	s_branch .LBB9_72
.LBB9_70:                               ;   in Loop: Header=BB9_44 Depth=1
                                        ; implicit-def: $vgpr14_vgpr15
                                        ; implicit-def: $sgpr23
.LBB9_71:                               ;   in Loop: Header=BB9_44 Depth=1
	global_load_dwordx2 v[14:15], v7, s[4:5]
	s_add_i32 s23, s22, -8
	s_add_u32 s4, s4, 8
	s_addc_u32 s5, s5, 0
.LBB9_72:                               ;   in Loop: Header=BB9_44 Depth=1
	s_cmp_gt_u32 s23, 7
	s_cbranch_scc1 .LBB9_77
; %bb.73:                               ;   in Loop: Header=BB9_44 Depth=1
	v_mov_b32_e32 v16, 0
	v_mov_b32_e32 v17, 0
	s_cmp_eq_u32 s23, 0
	s_cbranch_scc1 .LBB9_76
; %bb.74:                               ;   in Loop: Header=BB9_44 Depth=1
	s_mov_b64 s[18:19], 0
	s_mov_b64 s[20:21], 0
.LBB9_75:                               ;   Parent Loop BB9_44 Depth=1
                                        ; =>  This Inner Loop Header: Depth=2
	s_add_u32 s24, s4, s20
	s_addc_u32 s25, s5, s21
	s_add_u32 s20, s20, 1
	global_load_ubyte v6, v7, s[24:25]
	s_addc_u32 s21, s21, 0
	s_waitcnt vmcnt(0)
	v_and_b32_e32 v6, 0xffff, v6
	v_lshlrev_b64 v[18:19], s18, v[6:7]
	s_add_u32 s18, s18, 8
	s_addc_u32 s19, s19, 0
	s_cmp_lg_u32 s23, s20
	v_or_b32_e32 v16, v18, v16
	v_or_b32_e32 v17, v19, v17
	s_cbranch_scc1 .LBB9_75
.LBB9_76:                               ;   in Loop: Header=BB9_44 Depth=1
	s_mov_b32 s22, 0
	s_cbranch_execz .LBB9_78
	s_branch .LBB9_79
.LBB9_77:                               ;   in Loop: Header=BB9_44 Depth=1
                                        ; implicit-def: $sgpr22
.LBB9_78:                               ;   in Loop: Header=BB9_44 Depth=1
	global_load_dwordx2 v[16:17], v7, s[4:5]
	s_add_i32 s22, s23, -8
	s_add_u32 s4, s4, 8
	s_addc_u32 s5, s5, 0
.LBB9_79:                               ;   in Loop: Header=BB9_44 Depth=1
	s_cmp_gt_u32 s22, 7
	s_cbranch_scc1 .LBB9_84
; %bb.80:                               ;   in Loop: Header=BB9_44 Depth=1
	v_mov_b32_e32 v18, 0
	v_mov_b32_e32 v19, 0
	s_cmp_eq_u32 s22, 0
	s_cbranch_scc1 .LBB9_83
; %bb.81:                               ;   in Loop: Header=BB9_44 Depth=1
	s_mov_b64 s[18:19], 0
	s_mov_b64 s[20:21], 0
.LBB9_82:                               ;   Parent Loop BB9_44 Depth=1
                                        ; =>  This Inner Loop Header: Depth=2
	s_add_u32 s24, s4, s20
	s_addc_u32 s25, s5, s21
	s_add_u32 s20, s20, 1
	global_load_ubyte v6, v7, s[24:25]
	s_addc_u32 s21, s21, 0
	s_waitcnt vmcnt(0)
	v_and_b32_e32 v6, 0xffff, v6
	v_lshlrev_b64 v[20:21], s18, v[6:7]
	s_add_u32 s18, s18, 8
	s_addc_u32 s19, s19, 0
	s_cmp_lg_u32 s22, s20
	v_or_b32_e32 v18, v20, v18
	v_or_b32_e32 v19, v21, v19
	s_cbranch_scc1 .LBB9_82
.LBB9_83:                               ;   in Loop: Header=BB9_44 Depth=1
	s_mov_b32 s23, 0
	s_cbranch_execz .LBB9_85
	s_branch .LBB9_86
.LBB9_84:                               ;   in Loop: Header=BB9_44 Depth=1
                                        ; implicit-def: $vgpr18_vgpr19
                                        ; implicit-def: $sgpr23
.LBB9_85:                               ;   in Loop: Header=BB9_44 Depth=1
	global_load_dwordx2 v[18:19], v7, s[4:5]
	s_add_i32 s23, s22, -8
	s_add_u32 s4, s4, 8
	s_addc_u32 s5, s5, 0
.LBB9_86:                               ;   in Loop: Header=BB9_44 Depth=1
	s_cmp_gt_u32 s23, 7
	s_cbranch_scc1 .LBB9_91
; %bb.87:                               ;   in Loop: Header=BB9_44 Depth=1
	v_mov_b32_e32 v20, 0
	v_mov_b32_e32 v21, 0
	s_cmp_eq_u32 s23, 0
	s_cbranch_scc1 .LBB9_90
; %bb.88:                               ;   in Loop: Header=BB9_44 Depth=1
	s_mov_b64 s[18:19], 0
	s_mov_b64 s[20:21], s[4:5]
.LBB9_89:                               ;   Parent Loop BB9_44 Depth=1
                                        ; =>  This Inner Loop Header: Depth=2
	global_load_ubyte v6, v7, s[20:21]
	s_add_i32 s23, s23, -1
	s_waitcnt vmcnt(0)
	v_and_b32_e32 v6, 0xffff, v6
	v_lshlrev_b64 v[22:23], s18, v[6:7]
	s_add_u32 s18, s18, 8
	s_addc_u32 s19, s19, 0
	s_add_u32 s20, s20, 1
	s_addc_u32 s21, s21, 0
	s_cmp_lg_u32 s23, 0
	v_or_b32_e32 v20, v22, v20
	v_or_b32_e32 v21, v23, v21
	s_cbranch_scc1 .LBB9_89
.LBB9_90:                               ;   in Loop: Header=BB9_44 Depth=1
	s_cbranch_execz .LBB9_92
	s_branch .LBB9_93
.LBB9_91:                               ;   in Loop: Header=BB9_44 Depth=1
.LBB9_92:                               ;   in Loop: Header=BB9_44 Depth=1
	global_load_dwordx2 v[20:21], v7, s[4:5]
.LBB9_93:                               ;   in Loop: Header=BB9_44 Depth=1
	v_readfirstlane_b32 s4, v69
	v_mov_b32_e32 v26, 0
	v_mov_b32_e32 v27, 0
	v_cmp_eq_u32_e64 s4, s4, v69
	s_and_saveexec_b32 s5, s4
	s_cbranch_execz .LBB9_99
; %bb.94:                               ;   in Loop: Header=BB9_44 Depth=1
	global_load_dwordx2 v[24:25], v7, s[40:41] offset:24 glc dlc
	s_waitcnt vmcnt(0)
	buffer_gl1_inv
	buffer_gl0_inv
	s_clause 0x1
	global_load_dwordx2 v[22:23], v7, s[40:41] offset:40
	global_load_dwordx2 v[26:27], v7, s[40:41]
	s_mov_b32 s18, exec_lo
	s_waitcnt vmcnt(1)
	v_and_b32_e32 v6, v23, v25
	v_and_b32_e32 v22, v22, v24
	v_mul_lo_u32 v6, v6, 24
	v_mul_hi_u32 v23, v22, 24
	v_mul_lo_u32 v22, v22, 24
	v_add_nc_u32_e32 v6, v23, v6
	s_waitcnt vmcnt(0)
	v_add_co_u32 v22, vcc_lo, v26, v22
	v_add_co_ci_u32_e32 v23, vcc_lo, v27, v6, vcc_lo
	global_load_dwordx2 v[22:23], v[22:23], off glc dlc
	s_waitcnt vmcnt(0)
	global_atomic_cmpswap_x2 v[26:27], v7, v[22:25], s[40:41] offset:24 glc
	s_waitcnt vmcnt(0)
	buffer_gl1_inv
	buffer_gl0_inv
	v_cmpx_ne_u64_e64 v[26:27], v[24:25]
	s_cbranch_execz .LBB9_98
; %bb.95:                               ;   in Loop: Header=BB9_44 Depth=1
	s_mov_b32 s19, 0
	.p2align	6
.LBB9_96:                               ;   Parent Loop BB9_44 Depth=1
                                        ; =>  This Inner Loop Header: Depth=2
	s_sleep 1
	s_clause 0x1
	global_load_dwordx2 v[22:23], v7, s[40:41] offset:40
	global_load_dwordx2 v[29:30], v7, s[40:41]
	v_mov_b32_e32 v24, v26
	v_mov_b32_e32 v25, v27
	s_waitcnt vmcnt(1)
	v_and_b32_e32 v6, v22, v24
	v_and_b32_e32 v22, v23, v25
	s_waitcnt vmcnt(0)
	v_mad_u64_u32 v[26:27], null, v6, 24, v[29:30]
	v_mov_b32_e32 v6, v27
	v_mad_u64_u32 v[22:23], null, v22, 24, v[6:7]
	v_mov_b32_e32 v27, v22
	global_load_dwordx2 v[22:23], v[26:27], off glc dlc
	s_waitcnt vmcnt(0)
	global_atomic_cmpswap_x2 v[26:27], v7, v[22:25], s[40:41] offset:24 glc
	s_waitcnt vmcnt(0)
	buffer_gl1_inv
	buffer_gl0_inv
	v_cmp_eq_u64_e32 vcc_lo, v[26:27], v[24:25]
	s_or_b32 s19, vcc_lo, s19
	s_andn2_b32 exec_lo, exec_lo, s19
	s_cbranch_execnz .LBB9_96
; %bb.97:                               ;   in Loop: Header=BB9_44 Depth=1
	s_or_b32 exec_lo, exec_lo, s19
.LBB9_98:                               ;   in Loop: Header=BB9_44 Depth=1
	s_or_b32 exec_lo, exec_lo, s18
.LBB9_99:                               ;   in Loop: Header=BB9_44 Depth=1
	s_or_b32 exec_lo, exec_lo, s5
	s_clause 0x1
	global_load_dwordx2 v[29:30], v7, s[40:41] offset:40
	global_load_dwordx4 v[22:25], v7, s[40:41]
	v_readfirstlane_b32 s18, v26
	v_readfirstlane_b32 s19, v27
	s_mov_b32 s5, exec_lo
	s_waitcnt vmcnt(1)
	v_readfirstlane_b32 s20, v29
	v_readfirstlane_b32 s21, v30
	s_and_b64 s[20:21], s[18:19], s[20:21]
	s_mul_i32 s22, s21, 24
	s_mul_hi_u32 s23, s20, 24
	s_mul_i32 s24, s20, 24
	s_add_i32 s23, s23, s22
	s_waitcnt vmcnt(0)
	v_add_co_u32 v26, vcc_lo, v22, s24
	v_add_co_ci_u32_e32 v27, vcc_lo, s23, v23, vcc_lo
	s_and_saveexec_b32 s22, s4
	s_cbranch_execz .LBB9_101
; %bb.100:                              ;   in Loop: Header=BB9_44 Depth=1
	v_mov_b32_e32 v6, s5
	global_store_dwordx4 v[26:27], v[6:9], off offset:8
.LBB9_101:                              ;   in Loop: Header=BB9_44 Depth=1
	s_or_b32 exec_lo, exec_lo, s22
	s_lshl_b64 s[20:21], s[20:21], 12
	v_cmp_gt_u64_e64 vcc_lo, s[10:11], 56
	v_or_b32_e32 v29, v0, v28
	v_add_co_u32 v24, s5, v24, s20
	v_add_co_ci_u32_e64 v25, s5, s21, v25, s5
	s_lshl_b32 s5, s16, 2
	v_or_b32_e32 v6, 0, v1
	v_cndmask_b32_e32 v0, v29, v0, vcc_lo
	s_add_i32 s5, s5, 28
	v_readfirstlane_b32 s20, v24
	s_and_b32 s5, s5, 0x1e0
	v_cndmask_b32_e32 v1, v6, v1, vcc_lo
	v_readfirstlane_b32 s21, v25
	v_and_or_b32 v0, 0xffffff1f, v0, s5
	global_store_dwordx4 v68, v[0:3], s[20:21]
	global_store_dwordx4 v68, v[10:13], s[20:21] offset:16
	global_store_dwordx4 v68, v[14:17], s[20:21] offset:32
	;; [unrolled: 1-line block ×3, first 2 shown]
	s_and_saveexec_b32 s5, s4
	s_cbranch_execz .LBB9_109
; %bb.102:                              ;   in Loop: Header=BB9_44 Depth=1
	s_clause 0x1
	global_load_dwordx2 v[14:15], v7, s[40:41] offset:32 glc dlc
	global_load_dwordx2 v[0:1], v7, s[40:41] offset:40
	v_mov_b32_e32 v12, s18
	v_mov_b32_e32 v13, s19
	s_waitcnt vmcnt(0)
	v_readfirstlane_b32 s20, v0
	v_readfirstlane_b32 s21, v1
	s_and_b64 s[20:21], s[20:21], s[18:19]
	s_mul_i32 s21, s21, 24
	s_mul_hi_u32 s22, s20, 24
	s_mul_i32 s20, s20, 24
	s_add_i32 s22, s22, s21
	v_add_co_u32 v10, vcc_lo, v22, s20
	v_add_co_ci_u32_e32 v11, vcc_lo, s22, v23, vcc_lo
	s_mov_b32 s20, exec_lo
	global_store_dwordx2 v[10:11], v[14:15], off
	s_waitcnt_vscnt null, 0x0
	global_atomic_cmpswap_x2 v[2:3], v7, v[12:15], s[40:41] offset:32 glc
	s_waitcnt vmcnt(0)
	v_cmpx_ne_u64_e64 v[2:3], v[14:15]
	s_cbranch_execz .LBB9_105
; %bb.103:                              ;   in Loop: Header=BB9_44 Depth=1
	s_mov_b32 s21, 0
.LBB9_104:                              ;   Parent Loop BB9_44 Depth=1
                                        ; =>  This Inner Loop Header: Depth=2
	v_mov_b32_e32 v0, s18
	v_mov_b32_e32 v1, s19
	s_sleep 1
	global_store_dwordx2 v[10:11], v[2:3], off
	s_waitcnt_vscnt null, 0x0
	global_atomic_cmpswap_x2 v[0:1], v7, v[0:3], s[40:41] offset:32 glc
	s_waitcnt vmcnt(0)
	v_cmp_eq_u64_e32 vcc_lo, v[0:1], v[2:3]
	v_mov_b32_e32 v3, v1
	v_mov_b32_e32 v2, v0
	s_or_b32 s21, vcc_lo, s21
	s_andn2_b32 exec_lo, exec_lo, s21
	s_cbranch_execnz .LBB9_104
.LBB9_105:                              ;   in Loop: Header=BB9_44 Depth=1
	s_or_b32 exec_lo, exec_lo, s20
	global_load_dwordx2 v[0:1], v7, s[40:41] offset:16
	s_mov_b32 s21, exec_lo
	s_mov_b32 s20, exec_lo
	v_mbcnt_lo_u32_b32 v2, s21, 0
	v_cmpx_eq_u32_e32 0, v2
	s_cbranch_execz .LBB9_107
; %bb.106:                              ;   in Loop: Header=BB9_44 Depth=1
	s_bcnt1_i32_b32 s21, s21
	v_mov_b32_e32 v6, s21
	s_waitcnt vmcnt(0)
	global_atomic_add_x2 v[0:1], v[6:7], off offset:8
.LBB9_107:                              ;   in Loop: Header=BB9_44 Depth=1
	s_or_b32 exec_lo, exec_lo, s20
	s_waitcnt vmcnt(0)
	global_load_dwordx2 v[2:3], v[0:1], off offset:16
	s_waitcnt vmcnt(0)
	v_cmp_eq_u64_e32 vcc_lo, 0, v[2:3]
	s_cbranch_vccnz .LBB9_109
; %bb.108:                              ;   in Loop: Header=BB9_44 Depth=1
	global_load_dword v6, v[0:1], off offset:24
	s_waitcnt vmcnt(0)
	v_and_b32_e32 v0, 0x7fffff, v6
	s_waitcnt_vscnt null, 0x0
	global_store_dwordx2 v[2:3], v[6:7], off
	v_readfirstlane_b32 m0, v0
	s_sendmsg sendmsg(MSG_INTERRUPT)
.LBB9_109:                              ;   in Loop: Header=BB9_44 Depth=1
	s_or_b32 exec_lo, exec_lo, s5
	v_add_co_u32 v0, vcc_lo, v24, v68
	v_add_co_ci_u32_e32 v1, vcc_lo, 0, v25, vcc_lo
	s_branch .LBB9_113
	.p2align	6
.LBB9_110:                              ;   in Loop: Header=BB9_113 Depth=2
	s_or_b32 exec_lo, exec_lo, s5
	v_readfirstlane_b32 s5, v2
	s_cmp_eq_u32 s5, 0
	s_cbranch_scc1 .LBB9_112
; %bb.111:                              ;   in Loop: Header=BB9_113 Depth=2
	s_sleep 1
	s_cbranch_execnz .LBB9_113
	s_branch .LBB9_115
	.p2align	6
.LBB9_112:                              ;   in Loop: Header=BB9_44 Depth=1
	s_branch .LBB9_115
.LBB9_113:                              ;   Parent Loop BB9_44 Depth=1
                                        ; =>  This Inner Loop Header: Depth=2
	v_mov_b32_e32 v2, 1
	s_and_saveexec_b32 s5, s4
	s_cbranch_execz .LBB9_110
; %bb.114:                              ;   in Loop: Header=BB9_113 Depth=2
	global_load_dword v2, v[26:27], off offset:20 glc dlc
	s_waitcnt vmcnt(0)
	buffer_gl1_inv
	buffer_gl0_inv
	v_and_b32_e32 v2, 1, v2
	s_branch .LBB9_110
.LBB9_115:                              ;   in Loop: Header=BB9_44 Depth=1
	global_load_dwordx4 v[0:3], v[0:1], off
	s_and_saveexec_b32 s5, s4
	s_cbranch_execz .LBB9_43
; %bb.116:                              ;   in Loop: Header=BB9_44 Depth=1
	s_clause 0x2
	global_load_dwordx2 v[2:3], v7, s[40:41] offset:40
	global_load_dwordx2 v[14:15], v7, s[40:41] offset:24 glc dlc
	global_load_dwordx2 v[12:13], v7, s[40:41]
	s_waitcnt vmcnt(2)
	v_add_co_u32 v6, vcc_lo, v2, 1
	v_add_co_ci_u32_e32 v16, vcc_lo, 0, v3, vcc_lo
	v_add_co_u32 v10, vcc_lo, v6, s18
	v_add_co_ci_u32_e32 v11, vcc_lo, s19, v16, vcc_lo
	v_cmp_eq_u64_e32 vcc_lo, 0, v[10:11]
	v_cndmask_b32_e32 v11, v11, v16, vcc_lo
	v_cndmask_b32_e32 v10, v10, v6, vcc_lo
	v_and_b32_e32 v3, v11, v3
	v_and_b32_e32 v2, v10, v2
	v_mul_lo_u32 v3, v3, 24
	v_mul_hi_u32 v6, v2, 24
	v_mul_lo_u32 v2, v2, 24
	v_add_nc_u32_e32 v3, v6, v3
	s_waitcnt vmcnt(0)
	v_add_co_u32 v2, vcc_lo, v12, v2
	v_mov_b32_e32 v12, v14
	v_add_co_ci_u32_e32 v3, vcc_lo, v13, v3, vcc_lo
	v_mov_b32_e32 v13, v15
	global_store_dwordx2 v[2:3], v[14:15], off
	s_waitcnt_vscnt null, 0x0
	global_atomic_cmpswap_x2 v[12:13], v7, v[10:13], s[40:41] offset:24 glc
	s_waitcnt vmcnt(0)
	v_cmp_ne_u64_e32 vcc_lo, v[12:13], v[14:15]
	s_and_b32 exec_lo, exec_lo, vcc_lo
	s_cbranch_execz .LBB9_43
; %bb.117:                              ;   in Loop: Header=BB9_44 Depth=1
	s_mov_b32 s4, 0
.LBB9_118:                              ;   Parent Loop BB9_44 Depth=1
                                        ; =>  This Inner Loop Header: Depth=2
	s_sleep 1
	global_store_dwordx2 v[2:3], v[12:13], off
	s_waitcnt_vscnt null, 0x0
	global_atomic_cmpswap_x2 v[14:15], v7, v[10:13], s[40:41] offset:24 glc
	s_waitcnt vmcnt(0)
	v_cmp_eq_u64_e32 vcc_lo, v[14:15], v[12:13]
	v_mov_b32_e32 v12, v14
	v_mov_b32_e32 v13, v15
	s_or_b32 s4, vcc_lo, s4
	s_andn2_b32 exec_lo, exec_lo, s4
	s_cbranch_execnz .LBB9_118
	s_branch .LBB9_43
.LBB9_119:
	s_branch .LBB9_148
.LBB9_120:
                                        ; implicit-def: $vgpr0_vgpr1
	s_cbranch_execz .LBB9_148
; %bb.121:
	v_readfirstlane_b32 s4, v69
	v_mov_b32_e32 v7, 0
	v_mov_b32_e32 v8, 0
	v_cmp_eq_u32_e64 s4, s4, v69
	s_and_saveexec_b32 s5, s4
	s_cbranch_execz .LBB9_127
; %bb.122:
	s_waitcnt vmcnt(0)
	v_mov_b32_e32 v0, 0
	s_mov_b32 s6, exec_lo
	global_load_dwordx2 v[9:10], v0, s[40:41] offset:24 glc dlc
	s_waitcnt vmcnt(0)
	buffer_gl1_inv
	buffer_gl0_inv
	s_clause 0x1
	global_load_dwordx2 v[1:2], v0, s[40:41] offset:40
	global_load_dwordx2 v[6:7], v0, s[40:41]
	s_waitcnt vmcnt(1)
	v_and_b32_e32 v2, v2, v10
	v_and_b32_e32 v1, v1, v9
	v_mul_lo_u32 v2, v2, 24
	v_mul_hi_u32 v3, v1, 24
	v_mul_lo_u32 v1, v1, 24
	v_add_nc_u32_e32 v2, v3, v2
	s_waitcnt vmcnt(0)
	v_add_co_u32 v1, vcc_lo, v6, v1
	v_add_co_ci_u32_e32 v2, vcc_lo, v7, v2, vcc_lo
	global_load_dwordx2 v[7:8], v[1:2], off glc dlc
	s_waitcnt vmcnt(0)
	global_atomic_cmpswap_x2 v[7:8], v0, v[7:10], s[40:41] offset:24 glc
	s_waitcnt vmcnt(0)
	buffer_gl1_inv
	buffer_gl0_inv
	v_cmpx_ne_u64_e64 v[7:8], v[9:10]
	s_cbranch_execz .LBB9_126
; %bb.123:
	s_mov_b32 s7, 0
	.p2align	6
.LBB9_124:                              ; =>This Inner Loop Header: Depth=1
	s_sleep 1
	s_clause 0x1
	global_load_dwordx2 v[1:2], v0, s[40:41] offset:40
	global_load_dwordx2 v[11:12], v0, s[40:41]
	v_mov_b32_e32 v10, v8
	v_mov_b32_e32 v9, v7
	s_waitcnt vmcnt(1)
	v_and_b32_e32 v1, v1, v9
	v_and_b32_e32 v2, v2, v10
	s_waitcnt vmcnt(0)
	v_mad_u64_u32 v[6:7], null, v1, 24, v[11:12]
	v_mov_b32_e32 v1, v7
	v_mad_u64_u32 v[1:2], null, v2, 24, v[1:2]
	v_mov_b32_e32 v7, v1
	global_load_dwordx2 v[7:8], v[6:7], off glc dlc
	s_waitcnt vmcnt(0)
	global_atomic_cmpswap_x2 v[7:8], v0, v[7:10], s[40:41] offset:24 glc
	s_waitcnt vmcnt(0)
	buffer_gl1_inv
	buffer_gl0_inv
	v_cmp_eq_u64_e32 vcc_lo, v[7:8], v[9:10]
	s_or_b32 s7, vcc_lo, s7
	s_andn2_b32 exec_lo, exec_lo, s7
	s_cbranch_execnz .LBB9_124
; %bb.125:
	s_or_b32 exec_lo, exec_lo, s7
.LBB9_126:
	s_or_b32 exec_lo, exec_lo, s6
.LBB9_127:
	s_or_b32 exec_lo, exec_lo, s5
	v_mov_b32_e32 v6, 0
	v_readfirstlane_b32 s6, v7
	v_readfirstlane_b32 s7, v8
	s_mov_b32 s5, exec_lo
	s_clause 0x1
	global_load_dwordx2 v[9:10], v6, s[40:41] offset:40
	global_load_dwordx4 v[0:3], v6, s[40:41]
	s_waitcnt vmcnt(1)
	v_readfirstlane_b32 s10, v9
	v_readfirstlane_b32 s11, v10
	s_and_b64 s[10:11], s[6:7], s[10:11]
	s_mul_i32 s16, s11, 24
	s_mul_hi_u32 s17, s10, 24
	s_mul_i32 s18, s10, 24
	s_add_i32 s17, s17, s16
	s_waitcnt vmcnt(0)
	v_add_co_u32 v8, vcc_lo, v0, s18
	v_add_co_ci_u32_e32 v9, vcc_lo, s17, v1, vcc_lo
	s_and_saveexec_b32 s16, s4
	s_cbranch_execz .LBB9_129
; %bb.128:
	v_mov_b32_e32 v10, s5
	v_mov_b32_e32 v11, v6
	;; [unrolled: 1-line block ×4, first 2 shown]
	global_store_dwordx4 v[8:9], v[10:13], off offset:8
.LBB9_129:
	s_or_b32 exec_lo, exec_lo, s16
	s_lshl_b64 s[10:11], s[10:11], 12
	s_mov_b32 s16, 0
	v_add_co_u32 v2, vcc_lo, v2, s10
	v_add_co_ci_u32_e32 v3, vcc_lo, s11, v3, vcc_lo
	s_mov_b32 s17, s16
	v_add_co_u32 v10, vcc_lo, v2, v68
	s_mov_b32 s18, s16
	s_mov_b32 s19, s16
	v_and_or_b32 v4, 0xffffff1f, v4, 32
	v_mov_b32_e32 v7, v6
	v_readfirstlane_b32 s10, v2
	v_readfirstlane_b32 s11, v3
	v_mov_b32_e32 v12, s16
	v_add_co_ci_u32_e32 v11, vcc_lo, 0, v3, vcc_lo
	v_mov_b32_e32 v13, s17
	v_mov_b32_e32 v14, s18
	;; [unrolled: 1-line block ×3, first 2 shown]
	global_store_dwordx4 v68, v[4:7], s[10:11]
	global_store_dwordx4 v68, v[12:15], s[10:11] offset:16
	global_store_dwordx4 v68, v[12:15], s[10:11] offset:32
	;; [unrolled: 1-line block ×3, first 2 shown]
	s_and_saveexec_b32 s5, s4
	s_cbranch_execz .LBB9_137
; %bb.130:
	v_mov_b32_e32 v6, 0
	v_mov_b32_e32 v12, s6
	;; [unrolled: 1-line block ×3, first 2 shown]
	s_clause 0x1
	global_load_dwordx2 v[14:15], v6, s[40:41] offset:32 glc dlc
	global_load_dwordx2 v[2:3], v6, s[40:41] offset:40
	s_waitcnt vmcnt(0)
	v_readfirstlane_b32 s10, v2
	v_readfirstlane_b32 s11, v3
	s_and_b64 s[10:11], s[10:11], s[6:7]
	s_mul_i32 s11, s11, 24
	s_mul_hi_u32 s16, s10, 24
	s_mul_i32 s10, s10, 24
	s_add_i32 s16, s16, s11
	v_add_co_u32 v4, vcc_lo, v0, s10
	v_add_co_ci_u32_e32 v5, vcc_lo, s16, v1, vcc_lo
	s_mov_b32 s10, exec_lo
	global_store_dwordx2 v[4:5], v[14:15], off
	s_waitcnt_vscnt null, 0x0
	global_atomic_cmpswap_x2 v[2:3], v6, v[12:15], s[40:41] offset:32 glc
	s_waitcnt vmcnt(0)
	v_cmpx_ne_u64_e64 v[2:3], v[14:15]
	s_cbranch_execz .LBB9_133
; %bb.131:
	s_mov_b32 s11, 0
.LBB9_132:                              ; =>This Inner Loop Header: Depth=1
	v_mov_b32_e32 v0, s6
	v_mov_b32_e32 v1, s7
	s_sleep 1
	global_store_dwordx2 v[4:5], v[2:3], off
	s_waitcnt_vscnt null, 0x0
	global_atomic_cmpswap_x2 v[0:1], v6, v[0:3], s[40:41] offset:32 glc
	s_waitcnt vmcnt(0)
	v_cmp_eq_u64_e32 vcc_lo, v[0:1], v[2:3]
	v_mov_b32_e32 v3, v1
	v_mov_b32_e32 v2, v0
	s_or_b32 s11, vcc_lo, s11
	s_andn2_b32 exec_lo, exec_lo, s11
	s_cbranch_execnz .LBB9_132
.LBB9_133:
	s_or_b32 exec_lo, exec_lo, s10
	v_mov_b32_e32 v3, 0
	s_mov_b32 s11, exec_lo
	s_mov_b32 s10, exec_lo
	v_mbcnt_lo_u32_b32 v2, s11, 0
	global_load_dwordx2 v[0:1], v3, s[40:41] offset:16
	v_cmpx_eq_u32_e32 0, v2
	s_cbranch_execz .LBB9_135
; %bb.134:
	s_bcnt1_i32_b32 s11, s11
	v_mov_b32_e32 v2, s11
	s_waitcnt vmcnt(0)
	global_atomic_add_x2 v[0:1], v[2:3], off offset:8
.LBB9_135:
	s_or_b32 exec_lo, exec_lo, s10
	s_waitcnt vmcnt(0)
	global_load_dwordx2 v[2:3], v[0:1], off offset:16
	s_waitcnt vmcnt(0)
	v_cmp_eq_u64_e32 vcc_lo, 0, v[2:3]
	s_cbranch_vccnz .LBB9_137
; %bb.136:
	global_load_dword v0, v[0:1], off offset:24
	v_mov_b32_e32 v1, 0
	s_waitcnt vmcnt(0)
	v_and_b32_e32 v4, 0x7fffff, v0
	s_waitcnt_vscnt null, 0x0
	global_store_dwordx2 v[2:3], v[0:1], off
	v_readfirstlane_b32 m0, v4
	s_sendmsg sendmsg(MSG_INTERRUPT)
.LBB9_137:
	s_or_b32 exec_lo, exec_lo, s5
	s_branch .LBB9_141
	.p2align	6
.LBB9_138:                              ;   in Loop: Header=BB9_141 Depth=1
	s_or_b32 exec_lo, exec_lo, s5
	v_readfirstlane_b32 s5, v0
	s_cmp_eq_u32 s5, 0
	s_cbranch_scc1 .LBB9_140
; %bb.139:                              ;   in Loop: Header=BB9_141 Depth=1
	s_sleep 1
	s_cbranch_execnz .LBB9_141
	s_branch .LBB9_143
	.p2align	6
.LBB9_140:
	s_branch .LBB9_143
.LBB9_141:                              ; =>This Inner Loop Header: Depth=1
	v_mov_b32_e32 v0, 1
	s_and_saveexec_b32 s5, s4
	s_cbranch_execz .LBB9_138
; %bb.142:                              ;   in Loop: Header=BB9_141 Depth=1
	global_load_dword v0, v[8:9], off offset:20 glc dlc
	s_waitcnt vmcnt(0)
	buffer_gl1_inv
	buffer_gl0_inv
	v_and_b32_e32 v0, 1, v0
	s_branch .LBB9_138
.LBB9_143:
	global_load_dwordx2 v[0:1], v[10:11], off
	s_and_saveexec_b32 s5, s4
	s_cbranch_execz .LBB9_147
; %bb.144:
	v_mov_b32_e32 v8, 0
	s_clause 0x2
	global_load_dwordx2 v[4:5], v8, s[40:41] offset:40
	global_load_dwordx2 v[9:10], v8, s[40:41] offset:24 glc dlc
	global_load_dwordx2 v[6:7], v8, s[40:41]
	s_waitcnt vmcnt(2)
	v_add_co_u32 v11, vcc_lo, v4, 1
	v_add_co_ci_u32_e32 v12, vcc_lo, 0, v5, vcc_lo
	v_add_co_u32 v2, vcc_lo, v11, s6
	v_add_co_ci_u32_e32 v3, vcc_lo, s7, v12, vcc_lo
	v_cmp_eq_u64_e32 vcc_lo, 0, v[2:3]
	v_cndmask_b32_e32 v3, v3, v12, vcc_lo
	v_cndmask_b32_e32 v2, v2, v11, vcc_lo
	v_and_b32_e32 v5, v3, v5
	v_and_b32_e32 v4, v2, v4
	v_mul_lo_u32 v5, v5, 24
	v_mul_hi_u32 v11, v4, 24
	v_mul_lo_u32 v4, v4, 24
	v_add_nc_u32_e32 v5, v11, v5
	s_waitcnt vmcnt(0)
	v_add_co_u32 v6, vcc_lo, v6, v4
	v_mov_b32_e32 v4, v9
	v_add_co_ci_u32_e32 v7, vcc_lo, v7, v5, vcc_lo
	v_mov_b32_e32 v5, v10
	global_store_dwordx2 v[6:7], v[9:10], off
	s_waitcnt_vscnt null, 0x0
	global_atomic_cmpswap_x2 v[4:5], v8, v[2:5], s[40:41] offset:24 glc
	s_waitcnt vmcnt(0)
	v_cmp_ne_u64_e32 vcc_lo, v[4:5], v[9:10]
	s_and_b32 exec_lo, exec_lo, vcc_lo
	s_cbranch_execz .LBB9_147
; %bb.145:
	s_mov_b32 s4, 0
.LBB9_146:                              ; =>This Inner Loop Header: Depth=1
	s_sleep 1
	global_store_dwordx2 v[6:7], v[4:5], off
	s_waitcnt_vscnt null, 0x0
	global_atomic_cmpswap_x2 v[9:10], v8, v[2:5], s[40:41] offset:24 glc
	s_waitcnt vmcnt(0)
	v_cmp_eq_u64_e32 vcc_lo, v[9:10], v[4:5]
	v_mov_b32_e32 v4, v9
	v_mov_b32_e32 v5, v10
	s_or_b32 s4, vcc_lo, s4
	s_andn2_b32 exec_lo, exec_lo, s4
	s_cbranch_execnz .LBB9_146
.LBB9_147:
	s_or_b32 exec_lo, exec_lo, s5
.LBB9_148:
	s_getpc_b64 s[6:7]
	s_add_u32 s6, s6, __PRETTY_FUNCTION__._ZL24merge_all_equal_elementsRN8migraphx4test12test_managerE@rel32@lo+4
	s_addc_u32 s7, s7, __PRETTY_FUNCTION__._ZL24merge_all_equal_elementsRN8migraphx4test12test_managerE@rel32@hi+12
	s_cmp_lg_u64 s[6:7], 0
	s_cbranch_scc0 .LBB9_227
; %bb.149:
	s_waitcnt vmcnt(0)
	v_and_b32_e32 v6, -3, v0
	v_mov_b32_e32 v7, v1
	v_mov_b32_e32 v3, 0
	;; [unrolled: 1-line block ×4, first 2 shown]
	s_mov_b64 s[10:11], 62
	s_branch .LBB9_151
.LBB9_150:                              ;   in Loop: Header=BB9_151 Depth=1
	s_or_b32 exec_lo, exec_lo, s5
	s_sub_u32 s10, s10, s16
	s_subb_u32 s11, s11, s17
	s_add_u32 s6, s6, s16
	s_addc_u32 s7, s7, s17
	s_cmp_lg_u64 s[10:11], 0
	s_cbranch_scc0 .LBB9_226
.LBB9_151:                              ; =>This Loop Header: Depth=1
                                        ;     Child Loop BB9_160 Depth 2
                                        ;     Child Loop BB9_156 Depth 2
	;; [unrolled: 1-line block ×11, first 2 shown]
	v_cmp_lt_u64_e64 s4, s[10:11], 56
	v_cmp_gt_u64_e64 s5, s[10:11], 7
                                        ; implicit-def: $sgpr22
	s_and_b32 s4, s4, exec_lo
	s_cselect_b32 s17, s11, 0
	s_cselect_b32 s16, s10, 56
	s_and_b32 vcc_lo, exec_lo, s5
	s_mov_b32 s4, -1
	s_cbranch_vccz .LBB9_158
; %bb.152:                              ;   in Loop: Header=BB9_151 Depth=1
	s_andn2_b32 vcc_lo, exec_lo, s4
	s_mov_b64 s[4:5], s[6:7]
	s_cbranch_vccz .LBB9_162
.LBB9_153:                              ;   in Loop: Header=BB9_151 Depth=1
	s_cmp_gt_u32 s22, 7
	s_cbranch_scc1 .LBB9_163
.LBB9_154:                              ;   in Loop: Header=BB9_151 Depth=1
	v_mov_b32_e32 v10, 0
	v_mov_b32_e32 v11, 0
	s_cmp_eq_u32 s22, 0
	s_cbranch_scc1 .LBB9_157
; %bb.155:                              ;   in Loop: Header=BB9_151 Depth=1
	s_mov_b64 s[18:19], 0
	s_mov_b64 s[20:21], 0
.LBB9_156:                              ;   Parent Loop BB9_151 Depth=1
                                        ; =>  This Inner Loop Header: Depth=2
	s_add_u32 s24, s4, s20
	s_addc_u32 s25, s5, s21
	s_add_u32 s20, s20, 1
	global_load_ubyte v2, v3, s[24:25]
	s_addc_u32 s21, s21, 0
	s_waitcnt vmcnt(0)
	v_and_b32_e32 v2, 0xffff, v2
	v_lshlrev_b64 v[12:13], s18, v[2:3]
	s_add_u32 s18, s18, 8
	s_addc_u32 s19, s19, 0
	s_cmp_lg_u32 s22, s20
	v_or_b32_e32 v10, v12, v10
	v_or_b32_e32 v11, v13, v11
	s_cbranch_scc1 .LBB9_156
.LBB9_157:                              ;   in Loop: Header=BB9_151 Depth=1
	s_mov_b32 s23, 0
	s_cbranch_execz .LBB9_164
	s_branch .LBB9_165
.LBB9_158:                              ;   in Loop: Header=BB9_151 Depth=1
	s_waitcnt vmcnt(0)
	v_mov_b32_e32 v8, 0
	v_mov_b32_e32 v9, 0
	s_cmp_eq_u64 s[10:11], 0
	s_mov_b64 s[4:5], 0
	s_cbranch_scc1 .LBB9_161
; %bb.159:                              ;   in Loop: Header=BB9_151 Depth=1
	v_mov_b32_e32 v8, 0
	v_mov_b32_e32 v9, 0
	s_lshl_b64 s[18:19], s[16:17], 3
	s_mov_b64 s[20:21], s[6:7]
.LBB9_160:                              ;   Parent Loop BB9_151 Depth=1
                                        ; =>  This Inner Loop Header: Depth=2
	global_load_ubyte v2, v3, s[20:21]
	s_waitcnt vmcnt(0)
	v_and_b32_e32 v2, 0xffff, v2
	v_lshlrev_b64 v[10:11], s4, v[2:3]
	s_add_u32 s4, s4, 8
	s_addc_u32 s5, s5, 0
	s_add_u32 s20, s20, 1
	s_addc_u32 s21, s21, 0
	s_cmp_lg_u32 s18, s4
	v_or_b32_e32 v8, v10, v8
	v_or_b32_e32 v9, v11, v9
	s_cbranch_scc1 .LBB9_160
.LBB9_161:                              ;   in Loop: Header=BB9_151 Depth=1
	s_mov_b32 s22, 0
	s_mov_b64 s[4:5], s[6:7]
	s_cbranch_execnz .LBB9_153
.LBB9_162:                              ;   in Loop: Header=BB9_151 Depth=1
	global_load_dwordx2 v[8:9], v3, s[6:7]
	s_add_i32 s22, s16, -8
	s_add_u32 s4, s6, 8
	s_addc_u32 s5, s7, 0
	s_cmp_gt_u32 s22, 7
	s_cbranch_scc0 .LBB9_154
.LBB9_163:                              ;   in Loop: Header=BB9_151 Depth=1
                                        ; implicit-def: $vgpr10_vgpr11
                                        ; implicit-def: $sgpr23
.LBB9_164:                              ;   in Loop: Header=BB9_151 Depth=1
	global_load_dwordx2 v[10:11], v3, s[4:5]
	s_add_i32 s23, s22, -8
	s_add_u32 s4, s4, 8
	s_addc_u32 s5, s5, 0
.LBB9_165:                              ;   in Loop: Header=BB9_151 Depth=1
	s_cmp_gt_u32 s23, 7
	s_cbranch_scc1 .LBB9_170
; %bb.166:                              ;   in Loop: Header=BB9_151 Depth=1
	v_mov_b32_e32 v12, 0
	v_mov_b32_e32 v13, 0
	s_cmp_eq_u32 s23, 0
	s_cbranch_scc1 .LBB9_169
; %bb.167:                              ;   in Loop: Header=BB9_151 Depth=1
	s_mov_b64 s[18:19], 0
	s_mov_b64 s[20:21], 0
.LBB9_168:                              ;   Parent Loop BB9_151 Depth=1
                                        ; =>  This Inner Loop Header: Depth=2
	s_add_u32 s24, s4, s20
	s_addc_u32 s25, s5, s21
	s_add_u32 s20, s20, 1
	global_load_ubyte v2, v3, s[24:25]
	s_addc_u32 s21, s21, 0
	s_waitcnt vmcnt(0)
	v_and_b32_e32 v2, 0xffff, v2
	v_lshlrev_b64 v[14:15], s18, v[2:3]
	s_add_u32 s18, s18, 8
	s_addc_u32 s19, s19, 0
	s_cmp_lg_u32 s23, s20
	v_or_b32_e32 v12, v14, v12
	v_or_b32_e32 v13, v15, v13
	s_cbranch_scc1 .LBB9_168
.LBB9_169:                              ;   in Loop: Header=BB9_151 Depth=1
	s_mov_b32 s22, 0
	s_cbranch_execz .LBB9_171
	s_branch .LBB9_172
.LBB9_170:                              ;   in Loop: Header=BB9_151 Depth=1
                                        ; implicit-def: $sgpr22
.LBB9_171:                              ;   in Loop: Header=BB9_151 Depth=1
	global_load_dwordx2 v[12:13], v3, s[4:5]
	s_add_i32 s22, s23, -8
	s_add_u32 s4, s4, 8
	s_addc_u32 s5, s5, 0
.LBB9_172:                              ;   in Loop: Header=BB9_151 Depth=1
	s_cmp_gt_u32 s22, 7
	s_cbranch_scc1 .LBB9_177
; %bb.173:                              ;   in Loop: Header=BB9_151 Depth=1
	v_mov_b32_e32 v14, 0
	v_mov_b32_e32 v15, 0
	s_cmp_eq_u32 s22, 0
	s_cbranch_scc1 .LBB9_176
; %bb.174:                              ;   in Loop: Header=BB9_151 Depth=1
	s_mov_b64 s[18:19], 0
	s_mov_b64 s[20:21], 0
.LBB9_175:                              ;   Parent Loop BB9_151 Depth=1
                                        ; =>  This Inner Loop Header: Depth=2
	s_add_u32 s24, s4, s20
	s_addc_u32 s25, s5, s21
	s_add_u32 s20, s20, 1
	global_load_ubyte v2, v3, s[24:25]
	s_addc_u32 s21, s21, 0
	s_waitcnt vmcnt(0)
	v_and_b32_e32 v2, 0xffff, v2
	v_lshlrev_b64 v[16:17], s18, v[2:3]
	s_add_u32 s18, s18, 8
	s_addc_u32 s19, s19, 0
	s_cmp_lg_u32 s22, s20
	v_or_b32_e32 v14, v16, v14
	v_or_b32_e32 v15, v17, v15
	s_cbranch_scc1 .LBB9_175
.LBB9_176:                              ;   in Loop: Header=BB9_151 Depth=1
	s_mov_b32 s23, 0
	s_cbranch_execz .LBB9_178
	s_branch .LBB9_179
.LBB9_177:                              ;   in Loop: Header=BB9_151 Depth=1
                                        ; implicit-def: $vgpr14_vgpr15
                                        ; implicit-def: $sgpr23
.LBB9_178:                              ;   in Loop: Header=BB9_151 Depth=1
	global_load_dwordx2 v[14:15], v3, s[4:5]
	s_add_i32 s23, s22, -8
	s_add_u32 s4, s4, 8
	s_addc_u32 s5, s5, 0
.LBB9_179:                              ;   in Loop: Header=BB9_151 Depth=1
	s_cmp_gt_u32 s23, 7
	s_cbranch_scc1 .LBB9_184
; %bb.180:                              ;   in Loop: Header=BB9_151 Depth=1
	v_mov_b32_e32 v16, 0
	v_mov_b32_e32 v17, 0
	s_cmp_eq_u32 s23, 0
	s_cbranch_scc1 .LBB9_183
; %bb.181:                              ;   in Loop: Header=BB9_151 Depth=1
	s_mov_b64 s[18:19], 0
	s_mov_b64 s[20:21], 0
.LBB9_182:                              ;   Parent Loop BB9_151 Depth=1
                                        ; =>  This Inner Loop Header: Depth=2
	s_add_u32 s24, s4, s20
	s_addc_u32 s25, s5, s21
	s_add_u32 s20, s20, 1
	global_load_ubyte v2, v3, s[24:25]
	s_addc_u32 s21, s21, 0
	s_waitcnt vmcnt(0)
	v_and_b32_e32 v2, 0xffff, v2
	v_lshlrev_b64 v[18:19], s18, v[2:3]
	s_add_u32 s18, s18, 8
	s_addc_u32 s19, s19, 0
	s_cmp_lg_u32 s23, s20
	v_or_b32_e32 v16, v18, v16
	v_or_b32_e32 v17, v19, v17
	s_cbranch_scc1 .LBB9_182
.LBB9_183:                              ;   in Loop: Header=BB9_151 Depth=1
	s_mov_b32 s22, 0
	s_cbranch_execz .LBB9_185
	s_branch .LBB9_186
.LBB9_184:                              ;   in Loop: Header=BB9_151 Depth=1
                                        ; implicit-def: $sgpr22
.LBB9_185:                              ;   in Loop: Header=BB9_151 Depth=1
	global_load_dwordx2 v[16:17], v3, s[4:5]
	s_add_i32 s22, s23, -8
	s_add_u32 s4, s4, 8
	s_addc_u32 s5, s5, 0
.LBB9_186:                              ;   in Loop: Header=BB9_151 Depth=1
	s_cmp_gt_u32 s22, 7
	s_cbranch_scc1 .LBB9_191
; %bb.187:                              ;   in Loop: Header=BB9_151 Depth=1
	v_mov_b32_e32 v18, 0
	v_mov_b32_e32 v19, 0
	s_cmp_eq_u32 s22, 0
	s_cbranch_scc1 .LBB9_190
; %bb.188:                              ;   in Loop: Header=BB9_151 Depth=1
	s_mov_b64 s[18:19], 0
	s_mov_b64 s[20:21], 0
.LBB9_189:                              ;   Parent Loop BB9_151 Depth=1
                                        ; =>  This Inner Loop Header: Depth=2
	s_add_u32 s24, s4, s20
	s_addc_u32 s25, s5, s21
	s_add_u32 s20, s20, 1
	global_load_ubyte v2, v3, s[24:25]
	s_addc_u32 s21, s21, 0
	s_waitcnt vmcnt(0)
	v_and_b32_e32 v2, 0xffff, v2
	v_lshlrev_b64 v[20:21], s18, v[2:3]
	s_add_u32 s18, s18, 8
	s_addc_u32 s19, s19, 0
	s_cmp_lg_u32 s22, s20
	v_or_b32_e32 v18, v20, v18
	v_or_b32_e32 v19, v21, v19
	s_cbranch_scc1 .LBB9_189
.LBB9_190:                              ;   in Loop: Header=BB9_151 Depth=1
	s_mov_b32 s23, 0
	s_cbranch_execz .LBB9_192
	s_branch .LBB9_193
.LBB9_191:                              ;   in Loop: Header=BB9_151 Depth=1
                                        ; implicit-def: $vgpr18_vgpr19
                                        ; implicit-def: $sgpr23
.LBB9_192:                              ;   in Loop: Header=BB9_151 Depth=1
	global_load_dwordx2 v[18:19], v3, s[4:5]
	s_add_i32 s23, s22, -8
	s_add_u32 s4, s4, 8
	s_addc_u32 s5, s5, 0
.LBB9_193:                              ;   in Loop: Header=BB9_151 Depth=1
	s_cmp_gt_u32 s23, 7
	s_cbranch_scc1 .LBB9_198
; %bb.194:                              ;   in Loop: Header=BB9_151 Depth=1
	v_mov_b32_e32 v20, 0
	v_mov_b32_e32 v21, 0
	s_cmp_eq_u32 s23, 0
	s_cbranch_scc1 .LBB9_197
; %bb.195:                              ;   in Loop: Header=BB9_151 Depth=1
	s_mov_b64 s[18:19], 0
	s_mov_b64 s[20:21], s[4:5]
.LBB9_196:                              ;   Parent Loop BB9_151 Depth=1
                                        ; =>  This Inner Loop Header: Depth=2
	global_load_ubyte v2, v3, s[20:21]
	s_add_i32 s23, s23, -1
	s_waitcnt vmcnt(0)
	v_and_b32_e32 v2, 0xffff, v2
	v_lshlrev_b64 v[22:23], s18, v[2:3]
	s_add_u32 s18, s18, 8
	s_addc_u32 s19, s19, 0
	s_add_u32 s20, s20, 1
	s_addc_u32 s21, s21, 0
	s_cmp_lg_u32 s23, 0
	v_or_b32_e32 v20, v22, v20
	v_or_b32_e32 v21, v23, v21
	s_cbranch_scc1 .LBB9_196
.LBB9_197:                              ;   in Loop: Header=BB9_151 Depth=1
	s_cbranch_execz .LBB9_199
	s_branch .LBB9_200
.LBB9_198:                              ;   in Loop: Header=BB9_151 Depth=1
.LBB9_199:                              ;   in Loop: Header=BB9_151 Depth=1
	global_load_dwordx2 v[20:21], v3, s[4:5]
.LBB9_200:                              ;   in Loop: Header=BB9_151 Depth=1
	v_readfirstlane_b32 s4, v69
	v_mov_b32_e32 v26, 0
	v_mov_b32_e32 v27, 0
	v_cmp_eq_u32_e64 s4, s4, v69
	s_and_saveexec_b32 s5, s4
	s_cbranch_execz .LBB9_206
; %bb.201:                              ;   in Loop: Header=BB9_151 Depth=1
	global_load_dwordx2 v[24:25], v3, s[40:41] offset:24 glc dlc
	s_waitcnt vmcnt(0)
	buffer_gl1_inv
	buffer_gl0_inv
	s_clause 0x1
	global_load_dwordx2 v[22:23], v3, s[40:41] offset:40
	global_load_dwordx2 v[26:27], v3, s[40:41]
	s_mov_b32 s18, exec_lo
	s_waitcnt vmcnt(1)
	v_and_b32_e32 v2, v23, v25
	v_and_b32_e32 v22, v22, v24
	v_mul_lo_u32 v2, v2, 24
	v_mul_hi_u32 v23, v22, 24
	v_mul_lo_u32 v22, v22, 24
	v_add_nc_u32_e32 v2, v23, v2
	s_waitcnt vmcnt(0)
	v_add_co_u32 v22, vcc_lo, v26, v22
	v_add_co_ci_u32_e32 v23, vcc_lo, v27, v2, vcc_lo
	global_load_dwordx2 v[22:23], v[22:23], off glc dlc
	s_waitcnt vmcnt(0)
	global_atomic_cmpswap_x2 v[26:27], v3, v[22:25], s[40:41] offset:24 glc
	s_waitcnt vmcnt(0)
	buffer_gl1_inv
	buffer_gl0_inv
	v_cmpx_ne_u64_e64 v[26:27], v[24:25]
	s_cbranch_execz .LBB9_205
; %bb.202:                              ;   in Loop: Header=BB9_151 Depth=1
	s_mov_b32 s19, 0
	.p2align	6
.LBB9_203:                              ;   Parent Loop BB9_151 Depth=1
                                        ; =>  This Inner Loop Header: Depth=2
	s_sleep 1
	s_clause 0x1
	global_load_dwordx2 v[22:23], v3, s[40:41] offset:40
	global_load_dwordx2 v[28:29], v3, s[40:41]
	v_mov_b32_e32 v24, v26
	v_mov_b32_e32 v25, v27
	s_waitcnt vmcnt(1)
	v_and_b32_e32 v2, v22, v24
	v_and_b32_e32 v22, v23, v25
	s_waitcnt vmcnt(0)
	v_mad_u64_u32 v[26:27], null, v2, 24, v[28:29]
	v_mov_b32_e32 v2, v27
	v_mad_u64_u32 v[22:23], null, v22, 24, v[2:3]
	v_mov_b32_e32 v27, v22
	global_load_dwordx2 v[22:23], v[26:27], off glc dlc
	s_waitcnt vmcnt(0)
	global_atomic_cmpswap_x2 v[26:27], v3, v[22:25], s[40:41] offset:24 glc
	s_waitcnt vmcnt(0)
	buffer_gl1_inv
	buffer_gl0_inv
	v_cmp_eq_u64_e32 vcc_lo, v[26:27], v[24:25]
	s_or_b32 s19, vcc_lo, s19
	s_andn2_b32 exec_lo, exec_lo, s19
	s_cbranch_execnz .LBB9_203
; %bb.204:                              ;   in Loop: Header=BB9_151 Depth=1
	s_or_b32 exec_lo, exec_lo, s19
.LBB9_205:                              ;   in Loop: Header=BB9_151 Depth=1
	s_or_b32 exec_lo, exec_lo, s18
.LBB9_206:                              ;   in Loop: Header=BB9_151 Depth=1
	s_or_b32 exec_lo, exec_lo, s5
	s_clause 0x1
	global_load_dwordx2 v[28:29], v3, s[40:41] offset:40
	global_load_dwordx4 v[22:25], v3, s[40:41]
	v_readfirstlane_b32 s18, v26
	v_readfirstlane_b32 s19, v27
	s_mov_b32 s5, exec_lo
	s_waitcnt vmcnt(1)
	v_readfirstlane_b32 s20, v28
	v_readfirstlane_b32 s21, v29
	s_and_b64 s[20:21], s[18:19], s[20:21]
	s_mul_i32 s22, s21, 24
	s_mul_hi_u32 s23, s20, 24
	s_mul_i32 s24, s20, 24
	s_add_i32 s23, s23, s22
	s_waitcnt vmcnt(0)
	v_add_co_u32 v26, vcc_lo, v22, s24
	v_add_co_ci_u32_e32 v27, vcc_lo, s23, v23, vcc_lo
	s_and_saveexec_b32 s22, s4
	s_cbranch_execz .LBB9_208
; %bb.207:                              ;   in Loop: Header=BB9_151 Depth=1
	v_mov_b32_e32 v2, s5
	global_store_dwordx4 v[26:27], v[2:5], off offset:8
.LBB9_208:                              ;   in Loop: Header=BB9_151 Depth=1
	s_or_b32 exec_lo, exec_lo, s22
	s_lshl_b64 s[20:21], s[20:21], 12
	v_or_b32_e32 v2, 2, v6
	v_add_co_u32 v24, vcc_lo, v24, s20
	v_add_co_ci_u32_e32 v25, vcc_lo, s21, v25, vcc_lo
	v_cmp_gt_u64_e64 vcc_lo, s[10:11], 56
	s_lshl_b32 s5, s16, 2
	v_readfirstlane_b32 s20, v24
	s_add_i32 s5, s5, 28
	v_readfirstlane_b32 s21, v25
	s_and_b32 s5, s5, 0x1e0
	v_cndmask_b32_e32 v2, v2, v6, vcc_lo
	v_and_or_b32 v6, 0xffffff1f, v2, s5
	global_store_dwordx4 v68, v[10:13], s[20:21] offset:16
	global_store_dwordx4 v68, v[6:9], s[20:21]
	global_store_dwordx4 v68, v[14:17], s[20:21] offset:32
	global_store_dwordx4 v68, v[18:21], s[20:21] offset:48
	s_and_saveexec_b32 s5, s4
	s_cbranch_execz .LBB9_216
; %bb.209:                              ;   in Loop: Header=BB9_151 Depth=1
	s_clause 0x1
	global_load_dwordx2 v[14:15], v3, s[40:41] offset:32 glc dlc
	global_load_dwordx2 v[6:7], v3, s[40:41] offset:40
	v_mov_b32_e32 v12, s18
	v_mov_b32_e32 v13, s19
	s_waitcnt vmcnt(0)
	v_readfirstlane_b32 s20, v6
	v_readfirstlane_b32 s21, v7
	s_and_b64 s[20:21], s[20:21], s[18:19]
	s_mul_i32 s21, s21, 24
	s_mul_hi_u32 s22, s20, 24
	s_mul_i32 s20, s20, 24
	s_add_i32 s22, s22, s21
	v_add_co_u32 v10, vcc_lo, v22, s20
	v_add_co_ci_u32_e32 v11, vcc_lo, s22, v23, vcc_lo
	s_mov_b32 s20, exec_lo
	global_store_dwordx2 v[10:11], v[14:15], off
	s_waitcnt_vscnt null, 0x0
	global_atomic_cmpswap_x2 v[8:9], v3, v[12:15], s[40:41] offset:32 glc
	s_waitcnt vmcnt(0)
	v_cmpx_ne_u64_e64 v[8:9], v[14:15]
	s_cbranch_execz .LBB9_212
; %bb.210:                              ;   in Loop: Header=BB9_151 Depth=1
	s_mov_b32 s21, 0
.LBB9_211:                              ;   Parent Loop BB9_151 Depth=1
                                        ; =>  This Inner Loop Header: Depth=2
	v_mov_b32_e32 v6, s18
	v_mov_b32_e32 v7, s19
	s_sleep 1
	global_store_dwordx2 v[10:11], v[8:9], off
	s_waitcnt_vscnt null, 0x0
	global_atomic_cmpswap_x2 v[6:7], v3, v[6:9], s[40:41] offset:32 glc
	s_waitcnt vmcnt(0)
	v_cmp_eq_u64_e32 vcc_lo, v[6:7], v[8:9]
	v_mov_b32_e32 v9, v7
	v_mov_b32_e32 v8, v6
	s_or_b32 s21, vcc_lo, s21
	s_andn2_b32 exec_lo, exec_lo, s21
	s_cbranch_execnz .LBB9_211
.LBB9_212:                              ;   in Loop: Header=BB9_151 Depth=1
	s_or_b32 exec_lo, exec_lo, s20
	global_load_dwordx2 v[6:7], v3, s[40:41] offset:16
	s_mov_b32 s21, exec_lo
	s_mov_b32 s20, exec_lo
	v_mbcnt_lo_u32_b32 v2, s21, 0
	v_cmpx_eq_u32_e32 0, v2
	s_cbranch_execz .LBB9_214
; %bb.213:                              ;   in Loop: Header=BB9_151 Depth=1
	s_bcnt1_i32_b32 s21, s21
	v_mov_b32_e32 v2, s21
	s_waitcnt vmcnt(0)
	global_atomic_add_x2 v[6:7], v[2:3], off offset:8
.LBB9_214:                              ;   in Loop: Header=BB9_151 Depth=1
	s_or_b32 exec_lo, exec_lo, s20
	s_waitcnt vmcnt(0)
	global_load_dwordx2 v[8:9], v[6:7], off offset:16
	s_waitcnt vmcnt(0)
	v_cmp_eq_u64_e32 vcc_lo, 0, v[8:9]
	s_cbranch_vccnz .LBB9_216
; %bb.215:                              ;   in Loop: Header=BB9_151 Depth=1
	global_load_dword v2, v[6:7], off offset:24
	s_waitcnt vmcnt(0)
	v_and_b32_e32 v6, 0x7fffff, v2
	s_waitcnt_vscnt null, 0x0
	global_store_dwordx2 v[8:9], v[2:3], off
	v_readfirstlane_b32 m0, v6
	s_sendmsg sendmsg(MSG_INTERRUPT)
.LBB9_216:                              ;   in Loop: Header=BB9_151 Depth=1
	s_or_b32 exec_lo, exec_lo, s5
	v_add_co_u32 v6, vcc_lo, v24, v68
	v_add_co_ci_u32_e32 v7, vcc_lo, 0, v25, vcc_lo
	s_branch .LBB9_220
	.p2align	6
.LBB9_217:                              ;   in Loop: Header=BB9_220 Depth=2
	s_or_b32 exec_lo, exec_lo, s5
	v_readfirstlane_b32 s5, v2
	s_cmp_eq_u32 s5, 0
	s_cbranch_scc1 .LBB9_219
; %bb.218:                              ;   in Loop: Header=BB9_220 Depth=2
	s_sleep 1
	s_cbranch_execnz .LBB9_220
	s_branch .LBB9_222
	.p2align	6
.LBB9_219:                              ;   in Loop: Header=BB9_151 Depth=1
	s_branch .LBB9_222
.LBB9_220:                              ;   Parent Loop BB9_151 Depth=1
                                        ; =>  This Inner Loop Header: Depth=2
	v_mov_b32_e32 v2, 1
	s_and_saveexec_b32 s5, s4
	s_cbranch_execz .LBB9_217
; %bb.221:                              ;   in Loop: Header=BB9_220 Depth=2
	global_load_dword v2, v[26:27], off offset:20 glc dlc
	s_waitcnt vmcnt(0)
	buffer_gl1_inv
	buffer_gl0_inv
	v_and_b32_e32 v2, 1, v2
	s_branch .LBB9_217
.LBB9_222:                              ;   in Loop: Header=BB9_151 Depth=1
	global_load_dwordx4 v[6:9], v[6:7], off
	s_and_saveexec_b32 s5, s4
	s_cbranch_execz .LBB9_150
; %bb.223:                              ;   in Loop: Header=BB9_151 Depth=1
	s_clause 0x2
	global_load_dwordx2 v[10:11], v3, s[40:41] offset:40
	global_load_dwordx2 v[14:15], v3, s[40:41] offset:24 glc dlc
	global_load_dwordx2 v[12:13], v3, s[40:41]
	s_waitcnt vmcnt(2)
	v_add_co_u32 v2, vcc_lo, v10, 1
	v_add_co_ci_u32_e32 v16, vcc_lo, 0, v11, vcc_lo
	v_add_co_u32 v8, vcc_lo, v2, s18
	v_add_co_ci_u32_e32 v9, vcc_lo, s19, v16, vcc_lo
	v_cmp_eq_u64_e32 vcc_lo, 0, v[8:9]
	v_cndmask_b32_e32 v9, v9, v16, vcc_lo
	v_cndmask_b32_e32 v8, v8, v2, vcc_lo
	v_and_b32_e32 v2, v9, v11
	v_and_b32_e32 v10, v8, v10
	v_mul_lo_u32 v2, v2, 24
	v_mul_hi_u32 v11, v10, 24
	v_mul_lo_u32 v10, v10, 24
	v_add_nc_u32_e32 v2, v11, v2
	s_waitcnt vmcnt(0)
	v_add_co_u32 v12, vcc_lo, v12, v10
	v_mov_b32_e32 v10, v14
	v_mov_b32_e32 v11, v15
	v_add_co_ci_u32_e32 v13, vcc_lo, v13, v2, vcc_lo
	global_store_dwordx2 v[12:13], v[14:15], off
	s_waitcnt_vscnt null, 0x0
	global_atomic_cmpswap_x2 v[10:11], v3, v[8:11], s[40:41] offset:24 glc
	s_waitcnt vmcnt(0)
	v_cmp_ne_u64_e32 vcc_lo, v[10:11], v[14:15]
	s_and_b32 exec_lo, exec_lo, vcc_lo
	s_cbranch_execz .LBB9_150
; %bb.224:                              ;   in Loop: Header=BB9_151 Depth=1
	s_mov_b32 s4, 0
.LBB9_225:                              ;   Parent Loop BB9_151 Depth=1
                                        ; =>  This Inner Loop Header: Depth=2
	s_sleep 1
	global_store_dwordx2 v[12:13], v[10:11], off
	s_waitcnt_vscnt null, 0x0
	global_atomic_cmpswap_x2 v[14:15], v3, v[8:11], s[40:41] offset:24 glc
	s_waitcnt vmcnt(0)
	v_cmp_eq_u64_e32 vcc_lo, v[14:15], v[10:11]
	v_mov_b32_e32 v10, v14
	v_mov_b32_e32 v11, v15
	s_or_b32 s4, vcc_lo, s4
	s_andn2_b32 exec_lo, exec_lo, s4
	s_cbranch_execnz .LBB9_225
	s_branch .LBB9_150
.LBB9_226:
	s_branch .LBB9_255
.LBB9_227:
	s_cbranch_execz .LBB9_255
; %bb.228:
	v_readfirstlane_b32 s4, v69
	s_waitcnt vmcnt(0)
	v_mov_b32_e32 v8, 0
	v_mov_b32_e32 v9, 0
	v_cmp_eq_u32_e64 s4, s4, v69
	s_and_saveexec_b32 s5, s4
	s_cbranch_execz .LBB9_234
; %bb.229:
	v_mov_b32_e32 v2, 0
	s_mov_b32 s6, exec_lo
	global_load_dwordx2 v[5:6], v2, s[40:41] offset:24 glc dlc
	s_waitcnt vmcnt(0)
	buffer_gl1_inv
	buffer_gl0_inv
	s_clause 0x1
	global_load_dwordx2 v[3:4], v2, s[40:41] offset:40
	global_load_dwordx2 v[7:8], v2, s[40:41]
	s_waitcnt vmcnt(1)
	v_and_b32_e32 v4, v4, v6
	v_and_b32_e32 v3, v3, v5
	v_mul_lo_u32 v4, v4, 24
	v_mul_hi_u32 v9, v3, 24
	v_mul_lo_u32 v3, v3, 24
	v_add_nc_u32_e32 v4, v9, v4
	s_waitcnt vmcnt(0)
	v_add_co_u32 v3, vcc_lo, v7, v3
	v_add_co_ci_u32_e32 v4, vcc_lo, v8, v4, vcc_lo
	global_load_dwordx2 v[3:4], v[3:4], off glc dlc
	s_waitcnt vmcnt(0)
	global_atomic_cmpswap_x2 v[8:9], v2, v[3:6], s[40:41] offset:24 glc
	s_waitcnt vmcnt(0)
	buffer_gl1_inv
	buffer_gl0_inv
	v_cmpx_ne_u64_e64 v[8:9], v[5:6]
	s_cbranch_execz .LBB9_233
; %bb.230:
	s_mov_b32 s7, 0
	.p2align	6
.LBB9_231:                              ; =>This Inner Loop Header: Depth=1
	s_sleep 1
	s_clause 0x1
	global_load_dwordx2 v[3:4], v2, s[40:41] offset:40
	global_load_dwordx2 v[10:11], v2, s[40:41]
	v_mov_b32_e32 v5, v8
	v_mov_b32_e32 v6, v9
	s_waitcnt vmcnt(1)
	v_and_b32_e32 v3, v3, v5
	v_and_b32_e32 v4, v4, v6
	s_waitcnt vmcnt(0)
	v_mad_u64_u32 v[7:8], null, v3, 24, v[10:11]
	v_mov_b32_e32 v3, v8
	v_mad_u64_u32 v[3:4], null, v4, 24, v[3:4]
	v_mov_b32_e32 v8, v3
	global_load_dwordx2 v[3:4], v[7:8], off glc dlc
	s_waitcnt vmcnt(0)
	global_atomic_cmpswap_x2 v[8:9], v2, v[3:6], s[40:41] offset:24 glc
	s_waitcnt vmcnt(0)
	buffer_gl1_inv
	buffer_gl0_inv
	v_cmp_eq_u64_e32 vcc_lo, v[8:9], v[5:6]
	s_or_b32 s7, vcc_lo, s7
	s_andn2_b32 exec_lo, exec_lo, s7
	s_cbranch_execnz .LBB9_231
; %bb.232:
	s_or_b32 exec_lo, exec_lo, s7
.LBB9_233:
	s_or_b32 exec_lo, exec_lo, s6
.LBB9_234:
	s_or_b32 exec_lo, exec_lo, s5
	v_mov_b32_e32 v2, 0
	v_readfirstlane_b32 s6, v8
	v_readfirstlane_b32 s7, v9
	s_mov_b32 s5, exec_lo
	s_clause 0x1
	global_load_dwordx2 v[10:11], v2, s[40:41] offset:40
	global_load_dwordx4 v[4:7], v2, s[40:41]
	s_waitcnt vmcnt(1)
	v_readfirstlane_b32 s10, v10
	v_readfirstlane_b32 s11, v11
	s_and_b64 s[10:11], s[6:7], s[10:11]
	s_mul_i32 s16, s11, 24
	s_mul_hi_u32 s17, s10, 24
	s_mul_i32 s18, s10, 24
	s_add_i32 s17, s17, s16
	s_waitcnt vmcnt(0)
	v_add_co_u32 v8, vcc_lo, v4, s18
	v_add_co_ci_u32_e32 v9, vcc_lo, s17, v5, vcc_lo
	s_and_saveexec_b32 s16, s4
	s_cbranch_execz .LBB9_236
; %bb.235:
	v_mov_b32_e32 v10, s5
	v_mov_b32_e32 v11, v2
	;; [unrolled: 1-line block ×4, first 2 shown]
	global_store_dwordx4 v[8:9], v[10:13], off offset:8
.LBB9_236:
	s_or_b32 exec_lo, exec_lo, s16
	s_lshl_b64 s[10:11], s[10:11], 12
	s_mov_b32 s16, 0
	v_add_co_u32 v6, vcc_lo, v6, s10
	v_add_co_ci_u32_e32 v7, vcc_lo, s11, v7, vcc_lo
	s_mov_b32 s17, s16
	s_mov_b32 s18, s16
	;; [unrolled: 1-line block ×3, first 2 shown]
	v_and_or_b32 v0, 0xffffff1d, v0, 34
	v_mov_b32_e32 v3, v2
	v_readfirstlane_b32 s10, v6
	v_readfirstlane_b32 s11, v7
	v_mov_b32_e32 v10, s16
	v_mov_b32_e32 v11, s17
	;; [unrolled: 1-line block ×4, first 2 shown]
	global_store_dwordx4 v68, v[0:3], s[10:11]
	global_store_dwordx4 v68, v[10:13], s[10:11] offset:16
	global_store_dwordx4 v68, v[10:13], s[10:11] offset:32
	;; [unrolled: 1-line block ×3, first 2 shown]
	s_and_saveexec_b32 s5, s4
	s_cbranch_execz .LBB9_244
; %bb.237:
	v_mov_b32_e32 v6, 0
	v_mov_b32_e32 v10, s6
	;; [unrolled: 1-line block ×3, first 2 shown]
	s_clause 0x1
	global_load_dwordx2 v[12:13], v6, s[40:41] offset:32 glc dlc
	global_load_dwordx2 v[0:1], v6, s[40:41] offset:40
	s_waitcnt vmcnt(0)
	v_readfirstlane_b32 s10, v0
	v_readfirstlane_b32 s11, v1
	s_and_b64 s[10:11], s[10:11], s[6:7]
	s_mul_i32 s11, s11, 24
	s_mul_hi_u32 s16, s10, 24
	s_mul_i32 s10, s10, 24
	s_add_i32 s16, s16, s11
	v_add_co_u32 v4, vcc_lo, v4, s10
	v_add_co_ci_u32_e32 v5, vcc_lo, s16, v5, vcc_lo
	s_mov_b32 s10, exec_lo
	global_store_dwordx2 v[4:5], v[12:13], off
	s_waitcnt_vscnt null, 0x0
	global_atomic_cmpswap_x2 v[2:3], v6, v[10:13], s[40:41] offset:32 glc
	s_waitcnt vmcnt(0)
	v_cmpx_ne_u64_e64 v[2:3], v[12:13]
	s_cbranch_execz .LBB9_240
; %bb.238:
	s_mov_b32 s11, 0
.LBB9_239:                              ; =>This Inner Loop Header: Depth=1
	v_mov_b32_e32 v0, s6
	v_mov_b32_e32 v1, s7
	s_sleep 1
	global_store_dwordx2 v[4:5], v[2:3], off
	s_waitcnt_vscnt null, 0x0
	global_atomic_cmpswap_x2 v[0:1], v6, v[0:3], s[40:41] offset:32 glc
	s_waitcnt vmcnt(0)
	v_cmp_eq_u64_e32 vcc_lo, v[0:1], v[2:3]
	v_mov_b32_e32 v3, v1
	v_mov_b32_e32 v2, v0
	s_or_b32 s11, vcc_lo, s11
	s_andn2_b32 exec_lo, exec_lo, s11
	s_cbranch_execnz .LBB9_239
.LBB9_240:
	s_or_b32 exec_lo, exec_lo, s10
	v_mov_b32_e32 v3, 0
	s_mov_b32 s11, exec_lo
	s_mov_b32 s10, exec_lo
	v_mbcnt_lo_u32_b32 v2, s11, 0
	global_load_dwordx2 v[0:1], v3, s[40:41] offset:16
	v_cmpx_eq_u32_e32 0, v2
	s_cbranch_execz .LBB9_242
; %bb.241:
	s_bcnt1_i32_b32 s11, s11
	v_mov_b32_e32 v2, s11
	s_waitcnt vmcnt(0)
	global_atomic_add_x2 v[0:1], v[2:3], off offset:8
.LBB9_242:
	s_or_b32 exec_lo, exec_lo, s10
	s_waitcnt vmcnt(0)
	global_load_dwordx2 v[2:3], v[0:1], off offset:16
	s_waitcnt vmcnt(0)
	v_cmp_eq_u64_e32 vcc_lo, 0, v[2:3]
	s_cbranch_vccnz .LBB9_244
; %bb.243:
	global_load_dword v0, v[0:1], off offset:24
	v_mov_b32_e32 v1, 0
	s_waitcnt vmcnt(0)
	v_and_b32_e32 v4, 0x7fffff, v0
	s_waitcnt_vscnt null, 0x0
	global_store_dwordx2 v[2:3], v[0:1], off
	v_readfirstlane_b32 m0, v4
	s_sendmsg sendmsg(MSG_INTERRUPT)
.LBB9_244:
	s_or_b32 exec_lo, exec_lo, s5
	s_branch .LBB9_248
	.p2align	6
.LBB9_245:                              ;   in Loop: Header=BB9_248 Depth=1
	s_or_b32 exec_lo, exec_lo, s5
	v_readfirstlane_b32 s5, v0
	s_cmp_eq_u32 s5, 0
	s_cbranch_scc1 .LBB9_247
; %bb.246:                              ;   in Loop: Header=BB9_248 Depth=1
	s_sleep 1
	s_cbranch_execnz .LBB9_248
	s_branch .LBB9_250
	.p2align	6
.LBB9_247:
	s_branch .LBB9_250
.LBB9_248:                              ; =>This Inner Loop Header: Depth=1
	v_mov_b32_e32 v0, 1
	s_and_saveexec_b32 s5, s4
	s_cbranch_execz .LBB9_245
; %bb.249:                              ;   in Loop: Header=BB9_248 Depth=1
	global_load_dword v0, v[8:9], off offset:20 glc dlc
	s_waitcnt vmcnt(0)
	buffer_gl1_inv
	buffer_gl0_inv
	v_and_b32_e32 v0, 1, v0
	s_branch .LBB9_245
.LBB9_250:
	s_and_saveexec_b32 s5, s4
	s_cbranch_execz .LBB9_254
; %bb.251:
	v_mov_b32_e32 v6, 0
	s_clause 0x2
	global_load_dwordx2 v[2:3], v6, s[40:41] offset:40
	global_load_dwordx2 v[7:8], v6, s[40:41] offset:24 glc dlc
	global_load_dwordx2 v[4:5], v6, s[40:41]
	s_waitcnt vmcnt(2)
	v_add_co_u32 v9, vcc_lo, v2, 1
	v_add_co_ci_u32_e32 v10, vcc_lo, 0, v3, vcc_lo
	v_add_co_u32 v0, vcc_lo, v9, s6
	v_add_co_ci_u32_e32 v1, vcc_lo, s7, v10, vcc_lo
	v_cmp_eq_u64_e32 vcc_lo, 0, v[0:1]
	v_cndmask_b32_e32 v1, v1, v10, vcc_lo
	v_cndmask_b32_e32 v0, v0, v9, vcc_lo
	v_and_b32_e32 v3, v1, v3
	v_and_b32_e32 v2, v0, v2
	v_mul_lo_u32 v3, v3, 24
	v_mul_hi_u32 v9, v2, 24
	v_mul_lo_u32 v2, v2, 24
	v_add_nc_u32_e32 v3, v9, v3
	s_waitcnt vmcnt(0)
	v_add_co_u32 v4, vcc_lo, v4, v2
	v_mov_b32_e32 v2, v7
	v_add_co_ci_u32_e32 v5, vcc_lo, v5, v3, vcc_lo
	v_mov_b32_e32 v3, v8
	global_store_dwordx2 v[4:5], v[7:8], off
	s_waitcnt_vscnt null, 0x0
	global_atomic_cmpswap_x2 v[2:3], v6, v[0:3], s[40:41] offset:24 glc
	s_waitcnt vmcnt(0)
	v_cmp_ne_u64_e32 vcc_lo, v[2:3], v[7:8]
	s_and_b32 exec_lo, exec_lo, vcc_lo
	s_cbranch_execz .LBB9_254
; %bb.252:
	s_mov_b32 s4, 0
.LBB9_253:                              ; =>This Inner Loop Header: Depth=1
	s_sleep 1
	global_store_dwordx2 v[4:5], v[2:3], off
	s_waitcnt_vscnt null, 0x0
	global_atomic_cmpswap_x2 v[7:8], v6, v[0:3], s[40:41] offset:24 glc
	s_waitcnt vmcnt(0)
	v_cmp_eq_u64_e32 vcc_lo, v[7:8], v[2:3]
	v_mov_b32_e32 v2, v7
	v_mov_b32_e32 v3, v8
	s_or_b32 s4, vcc_lo, s4
	s_andn2_b32 exec_lo, exec_lo, s4
	s_cbranch_execnz .LBB9_253
.LBB9_254:
	s_or_b32 exec_lo, exec_lo, s5
.LBB9_255:
	v_readfirstlane_b32 s4, v69
	s_waitcnt vmcnt(0)
	v_mov_b32_e32 v6, 0
	v_mov_b32_e32 v7, 0
	v_cmp_eq_u32_e64 s4, s4, v69
	s_and_saveexec_b32 s5, s4
	s_cbranch_execz .LBB9_261
; %bb.256:
	v_mov_b32_e32 v0, 0
	s_mov_b32 s6, exec_lo
	global_load_dwordx2 v[3:4], v0, s[40:41] offset:24 glc dlc
	s_waitcnt vmcnt(0)
	buffer_gl1_inv
	buffer_gl0_inv
	s_clause 0x1
	global_load_dwordx2 v[1:2], v0, s[40:41] offset:40
	global_load_dwordx2 v[5:6], v0, s[40:41]
	s_waitcnt vmcnt(1)
	v_and_b32_e32 v2, v2, v4
	v_and_b32_e32 v1, v1, v3
	v_mul_lo_u32 v2, v2, 24
	v_mul_hi_u32 v7, v1, 24
	v_mul_lo_u32 v1, v1, 24
	v_add_nc_u32_e32 v2, v7, v2
	s_waitcnt vmcnt(0)
	v_add_co_u32 v1, vcc_lo, v5, v1
	v_add_co_ci_u32_e32 v2, vcc_lo, v6, v2, vcc_lo
	global_load_dwordx2 v[1:2], v[1:2], off glc dlc
	s_waitcnt vmcnt(0)
	global_atomic_cmpswap_x2 v[6:7], v0, v[1:4], s[40:41] offset:24 glc
	s_waitcnt vmcnt(0)
	buffer_gl1_inv
	buffer_gl0_inv
	v_cmpx_ne_u64_e64 v[6:7], v[3:4]
	s_cbranch_execz .LBB9_260
; %bb.257:
	s_mov_b32 s7, 0
	.p2align	6
.LBB9_258:                              ; =>This Inner Loop Header: Depth=1
	s_sleep 1
	s_clause 0x1
	global_load_dwordx2 v[1:2], v0, s[40:41] offset:40
	global_load_dwordx2 v[8:9], v0, s[40:41]
	v_mov_b32_e32 v3, v6
	v_mov_b32_e32 v4, v7
	s_waitcnt vmcnt(1)
	v_and_b32_e32 v1, v1, v3
	v_and_b32_e32 v2, v2, v4
	s_waitcnt vmcnt(0)
	v_mad_u64_u32 v[5:6], null, v1, 24, v[8:9]
	v_mov_b32_e32 v1, v6
	v_mad_u64_u32 v[1:2], null, v2, 24, v[1:2]
	v_mov_b32_e32 v6, v1
	global_load_dwordx2 v[1:2], v[5:6], off glc dlc
	s_waitcnt vmcnt(0)
	global_atomic_cmpswap_x2 v[6:7], v0, v[1:4], s[40:41] offset:24 glc
	s_waitcnt vmcnt(0)
	buffer_gl1_inv
	buffer_gl0_inv
	v_cmp_eq_u64_e32 vcc_lo, v[6:7], v[3:4]
	s_or_b32 s7, vcc_lo, s7
	s_andn2_b32 exec_lo, exec_lo, s7
	s_cbranch_execnz .LBB9_258
; %bb.259:
	s_or_b32 exec_lo, exec_lo, s7
.LBB9_260:
	s_or_b32 exec_lo, exec_lo, s6
.LBB9_261:
	s_or_b32 exec_lo, exec_lo, s5
	v_mov_b32_e32 v5, 0
	v_readfirstlane_b32 s6, v6
	v_readfirstlane_b32 s7, v7
	s_mov_b32 s5, exec_lo
	s_clause 0x1
	global_load_dwordx2 v[8:9], v5, s[40:41] offset:40
	global_load_dwordx4 v[0:3], v5, s[40:41]
	s_waitcnt vmcnt(1)
	v_readfirstlane_b32 s10, v8
	v_readfirstlane_b32 s11, v9
	s_and_b64 s[10:11], s[6:7], s[10:11]
	s_mul_i32 s16, s11, 24
	s_mul_hi_u32 s17, s10, 24
	s_mul_i32 s18, s10, 24
	s_add_i32 s17, s17, s16
	s_waitcnt vmcnt(0)
	v_add_co_u32 v8, vcc_lo, v0, s18
	v_add_co_ci_u32_e32 v9, vcc_lo, s17, v1, vcc_lo
	s_and_saveexec_b32 s16, s4
	s_cbranch_execz .LBB9_263
; %bb.262:
	v_mov_b32_e32 v4, s5
	v_mov_b32_e32 v6, 2
	v_mov_b32_e32 v7, 1
	global_store_dwordx4 v[8:9], v[4:7], off offset:8
.LBB9_263:
	s_or_b32 exec_lo, exec_lo, s16
	s_lshl_b64 s[10:11], s[10:11], 12
	s_mov_b32 s16, 0
	v_add_co_u32 v2, vcc_lo, v2, s10
	v_add_co_ci_u32_e32 v3, vcc_lo, s11, v3, vcc_lo
	s_mov_b32 s17, s16
	v_add_co_u32 v10, vcc_lo, v2, v68
	s_mov_b32 s18, s16
	s_mov_b32 s19, s16
	v_mov_b32_e32 v4, 33
	v_mov_b32_e32 v6, v5
	;; [unrolled: 1-line block ×3, first 2 shown]
	v_readfirstlane_b32 s10, v2
	v_readfirstlane_b32 s11, v3
	v_mov_b32_e32 v12, s16
	v_add_co_ci_u32_e32 v11, vcc_lo, 0, v3, vcc_lo
	v_mov_b32_e32 v13, s17
	v_mov_b32_e32 v14, s18
	;; [unrolled: 1-line block ×3, first 2 shown]
	global_store_dwordx4 v68, v[4:7], s[10:11]
	global_store_dwordx4 v68, v[12:15], s[10:11] offset:16
	global_store_dwordx4 v68, v[12:15], s[10:11] offset:32
	;; [unrolled: 1-line block ×3, first 2 shown]
	s_and_saveexec_b32 s5, s4
	s_cbranch_execz .LBB9_271
; %bb.264:
	v_mov_b32_e32 v6, 0
	v_mov_b32_e32 v12, s6
	;; [unrolled: 1-line block ×3, first 2 shown]
	s_clause 0x1
	global_load_dwordx2 v[14:15], v6, s[40:41] offset:32 glc dlc
	global_load_dwordx2 v[2:3], v6, s[40:41] offset:40
	s_waitcnt vmcnt(0)
	v_readfirstlane_b32 s10, v2
	v_readfirstlane_b32 s11, v3
	s_and_b64 s[10:11], s[10:11], s[6:7]
	s_mul_i32 s11, s11, 24
	s_mul_hi_u32 s16, s10, 24
	s_mul_i32 s10, s10, 24
	s_add_i32 s16, s16, s11
	v_add_co_u32 v4, vcc_lo, v0, s10
	v_add_co_ci_u32_e32 v5, vcc_lo, s16, v1, vcc_lo
	s_mov_b32 s10, exec_lo
	global_store_dwordx2 v[4:5], v[14:15], off
	s_waitcnt_vscnt null, 0x0
	global_atomic_cmpswap_x2 v[2:3], v6, v[12:15], s[40:41] offset:32 glc
	s_waitcnt vmcnt(0)
	v_cmpx_ne_u64_e64 v[2:3], v[14:15]
	s_cbranch_execz .LBB9_267
; %bb.265:
	s_mov_b32 s11, 0
.LBB9_266:                              ; =>This Inner Loop Header: Depth=1
	v_mov_b32_e32 v0, s6
	v_mov_b32_e32 v1, s7
	s_sleep 1
	global_store_dwordx2 v[4:5], v[2:3], off
	s_waitcnt_vscnt null, 0x0
	global_atomic_cmpswap_x2 v[0:1], v6, v[0:3], s[40:41] offset:32 glc
	s_waitcnt vmcnt(0)
	v_cmp_eq_u64_e32 vcc_lo, v[0:1], v[2:3]
	v_mov_b32_e32 v3, v1
	v_mov_b32_e32 v2, v0
	s_or_b32 s11, vcc_lo, s11
	s_andn2_b32 exec_lo, exec_lo, s11
	s_cbranch_execnz .LBB9_266
.LBB9_267:
	s_or_b32 exec_lo, exec_lo, s10
	v_mov_b32_e32 v3, 0
	s_mov_b32 s11, exec_lo
	s_mov_b32 s10, exec_lo
	v_mbcnt_lo_u32_b32 v2, s11, 0
	global_load_dwordx2 v[0:1], v3, s[40:41] offset:16
	v_cmpx_eq_u32_e32 0, v2
	s_cbranch_execz .LBB9_269
; %bb.268:
	s_bcnt1_i32_b32 s11, s11
	v_mov_b32_e32 v2, s11
	s_waitcnt vmcnt(0)
	global_atomic_add_x2 v[0:1], v[2:3], off offset:8
.LBB9_269:
	s_or_b32 exec_lo, exec_lo, s10
	s_waitcnt vmcnt(0)
	global_load_dwordx2 v[2:3], v[0:1], off offset:16
	s_waitcnt vmcnt(0)
	v_cmp_eq_u64_e32 vcc_lo, 0, v[2:3]
	s_cbranch_vccnz .LBB9_271
; %bb.270:
	global_load_dword v0, v[0:1], off offset:24
	v_mov_b32_e32 v1, 0
	s_waitcnt vmcnt(0)
	v_and_b32_e32 v4, 0x7fffff, v0
	s_waitcnt_vscnt null, 0x0
	global_store_dwordx2 v[2:3], v[0:1], off
	v_readfirstlane_b32 m0, v4
	s_sendmsg sendmsg(MSG_INTERRUPT)
.LBB9_271:
	s_or_b32 exec_lo, exec_lo, s5
	s_branch .LBB9_275
	.p2align	6
.LBB9_272:                              ;   in Loop: Header=BB9_275 Depth=1
	s_or_b32 exec_lo, exec_lo, s5
	v_readfirstlane_b32 s5, v0
	s_cmp_eq_u32 s5, 0
	s_cbranch_scc1 .LBB9_274
; %bb.273:                              ;   in Loop: Header=BB9_275 Depth=1
	s_sleep 1
	s_cbranch_execnz .LBB9_275
	s_branch .LBB9_277
	.p2align	6
.LBB9_274:
	s_branch .LBB9_277
.LBB9_275:                              ; =>This Inner Loop Header: Depth=1
	v_mov_b32_e32 v0, 1
	s_and_saveexec_b32 s5, s4
	s_cbranch_execz .LBB9_272
; %bb.276:                              ;   in Loop: Header=BB9_275 Depth=1
	global_load_dword v0, v[8:9], off offset:20 glc dlc
	s_waitcnt vmcnt(0)
	buffer_gl1_inv
	buffer_gl0_inv
	v_and_b32_e32 v0, 1, v0
	s_branch .LBB9_272
.LBB9_277:
	global_load_dwordx2 v[0:1], v[10:11], off
	s_and_saveexec_b32 s5, s4
	s_cbranch_execz .LBB9_281
; %bb.278:
	v_mov_b32_e32 v8, 0
	s_clause 0x2
	global_load_dwordx2 v[4:5], v8, s[40:41] offset:40
	global_load_dwordx2 v[9:10], v8, s[40:41] offset:24 glc dlc
	global_load_dwordx2 v[6:7], v8, s[40:41]
	s_waitcnt vmcnt(2)
	v_add_co_u32 v11, vcc_lo, v4, 1
	v_add_co_ci_u32_e32 v12, vcc_lo, 0, v5, vcc_lo
	v_add_co_u32 v2, vcc_lo, v11, s6
	v_add_co_ci_u32_e32 v3, vcc_lo, s7, v12, vcc_lo
	v_cmp_eq_u64_e32 vcc_lo, 0, v[2:3]
	v_cndmask_b32_e32 v3, v3, v12, vcc_lo
	v_cndmask_b32_e32 v2, v2, v11, vcc_lo
	v_and_b32_e32 v5, v3, v5
	v_and_b32_e32 v4, v2, v4
	v_mul_lo_u32 v5, v5, 24
	v_mul_hi_u32 v11, v4, 24
	v_mul_lo_u32 v4, v4, 24
	v_add_nc_u32_e32 v5, v11, v5
	s_waitcnt vmcnt(0)
	v_add_co_u32 v6, vcc_lo, v6, v4
	v_mov_b32_e32 v4, v9
	v_add_co_ci_u32_e32 v7, vcc_lo, v7, v5, vcc_lo
	v_mov_b32_e32 v5, v10
	global_store_dwordx2 v[6:7], v[9:10], off
	s_waitcnt_vscnt null, 0x0
	global_atomic_cmpswap_x2 v[4:5], v8, v[2:5], s[40:41] offset:24 glc
	s_waitcnt vmcnt(0)
	v_cmp_ne_u64_e32 vcc_lo, v[4:5], v[9:10]
	s_and_b32 exec_lo, exec_lo, vcc_lo
	s_cbranch_execz .LBB9_281
; %bb.279:
	s_mov_b32 s4, 0
.LBB9_280:                              ; =>This Inner Loop Header: Depth=1
	s_sleep 1
	global_store_dwordx2 v[6:7], v[4:5], off
	s_waitcnt_vscnt null, 0x0
	global_atomic_cmpswap_x2 v[9:10], v8, v[2:5], s[40:41] offset:24 glc
	s_waitcnt vmcnt(0)
	v_cmp_eq_u64_e32 vcc_lo, v[9:10], v[4:5]
	v_mov_b32_e32 v4, v9
	v_mov_b32_e32 v5, v10
	s_or_b32 s4, vcc_lo, s4
	s_andn2_b32 exec_lo, exec_lo, s4
	s_cbranch_execnz .LBB9_280
.LBB9_281:
	s_or_b32 exec_lo, exec_lo, s5
	s_getpc_b64 s[6:7]
	s_add_u32 s6, s6, .str.6@rel32@lo+4
	s_addc_u32 s7, s7, .str.6@rel32@hi+12
	s_cmp_lg_u64 s[6:7], 0
	s_cselect_b32 s43, -1, 0
	s_and_b32 vcc_lo, exec_lo, s43
	s_cbranch_vccz .LBB9_360
; %bb.282:
	s_waitcnt vmcnt(0)
	v_and_b32_e32 v31, 2, v0
	v_mov_b32_e32 v6, 0
	v_and_b32_e32 v2, -3, v0
	v_mov_b32_e32 v3, v1
	v_mov_b32_e32 v7, 2
	;; [unrolled: 1-line block ×3, first 2 shown]
	s_mov_b64 s[10:11], 3
	s_branch .LBB9_284
.LBB9_283:                              ;   in Loop: Header=BB9_284 Depth=1
	s_or_b32 exec_lo, exec_lo, s5
	s_sub_u32 s10, s10, s16
	s_subb_u32 s11, s11, s17
	s_add_u32 s6, s6, s16
	s_addc_u32 s7, s7, s17
	s_cmp_lg_u64 s[10:11], 0
	s_cbranch_scc0 .LBB9_359
.LBB9_284:                              ; =>This Loop Header: Depth=1
                                        ;     Child Loop BB9_293 Depth 2
                                        ;     Child Loop BB9_289 Depth 2
	;; [unrolled: 1-line block ×11, first 2 shown]
	v_cmp_lt_u64_e64 s4, s[10:11], 56
	v_cmp_gt_u64_e64 s5, s[10:11], 7
                                        ; implicit-def: $vgpr11_vgpr12
                                        ; implicit-def: $sgpr22
	s_and_b32 s4, s4, exec_lo
	s_cselect_b32 s17, s11, 0
	s_cselect_b32 s16, s10, 56
	s_and_b32 vcc_lo, exec_lo, s5
	s_mov_b32 s4, -1
	s_cbranch_vccz .LBB9_291
; %bb.285:                              ;   in Loop: Header=BB9_284 Depth=1
	s_andn2_b32 vcc_lo, exec_lo, s4
	s_mov_b64 s[4:5], s[6:7]
	s_cbranch_vccz .LBB9_295
.LBB9_286:                              ;   in Loop: Header=BB9_284 Depth=1
	s_cmp_gt_u32 s22, 7
	s_cbranch_scc1 .LBB9_296
.LBB9_287:                              ;   in Loop: Header=BB9_284 Depth=1
	v_mov_b32_e32 v13, 0
	v_mov_b32_e32 v14, 0
	s_cmp_eq_u32 s22, 0
	s_cbranch_scc1 .LBB9_290
; %bb.288:                              ;   in Loop: Header=BB9_284 Depth=1
	s_mov_b64 s[18:19], 0
	s_mov_b64 s[20:21], 0
.LBB9_289:                              ;   Parent Loop BB9_284 Depth=1
                                        ; =>  This Inner Loop Header: Depth=2
	s_add_u32 s24, s4, s20
	s_addc_u32 s25, s5, s21
	s_add_u32 s20, s20, 1
	global_load_ubyte v4, v6, s[24:25]
	s_addc_u32 s21, s21, 0
	s_waitcnt vmcnt(0)
	v_and_b32_e32 v5, 0xffff, v4
	v_lshlrev_b64 v[4:5], s18, v[5:6]
	s_add_u32 s18, s18, 8
	s_addc_u32 s19, s19, 0
	s_cmp_lg_u32 s22, s20
	v_or_b32_e32 v13, v4, v13
	v_or_b32_e32 v14, v5, v14
	s_cbranch_scc1 .LBB9_289
.LBB9_290:                              ;   in Loop: Header=BB9_284 Depth=1
	s_mov_b32 s23, 0
	s_cbranch_execz .LBB9_297
	s_branch .LBB9_298
.LBB9_291:                              ;   in Loop: Header=BB9_284 Depth=1
	v_mov_b32_e32 v11, 0
	v_mov_b32_e32 v12, 0
	s_cmp_eq_u64 s[10:11], 0
	s_mov_b64 s[4:5], 0
	s_cbranch_scc1 .LBB9_294
; %bb.292:                              ;   in Loop: Header=BB9_284 Depth=1
	v_mov_b32_e32 v11, 0
	v_mov_b32_e32 v12, 0
	s_lshl_b64 s[18:19], s[16:17], 3
	s_mov_b64 s[20:21], s[6:7]
.LBB9_293:                              ;   Parent Loop BB9_284 Depth=1
                                        ; =>  This Inner Loop Header: Depth=2
	global_load_ubyte v4, v6, s[20:21]
	s_waitcnt vmcnt(0)
	v_and_b32_e32 v5, 0xffff, v4
	v_lshlrev_b64 v[4:5], s4, v[5:6]
	s_add_u32 s4, s4, 8
	s_addc_u32 s5, s5, 0
	s_add_u32 s20, s20, 1
	s_addc_u32 s21, s21, 0
	s_cmp_lg_u32 s18, s4
	v_or_b32_e32 v11, v4, v11
	v_or_b32_e32 v12, v5, v12
	s_cbranch_scc1 .LBB9_293
.LBB9_294:                              ;   in Loop: Header=BB9_284 Depth=1
	s_mov_b32 s22, 0
	s_mov_b64 s[4:5], s[6:7]
	s_cbranch_execnz .LBB9_286
.LBB9_295:                              ;   in Loop: Header=BB9_284 Depth=1
	global_load_dwordx2 v[11:12], v6, s[6:7]
	s_add_i32 s22, s16, -8
	s_add_u32 s4, s6, 8
	s_addc_u32 s5, s7, 0
	s_cmp_gt_u32 s22, 7
	s_cbranch_scc0 .LBB9_287
.LBB9_296:                              ;   in Loop: Header=BB9_284 Depth=1
                                        ; implicit-def: $vgpr13_vgpr14
                                        ; implicit-def: $sgpr23
.LBB9_297:                              ;   in Loop: Header=BB9_284 Depth=1
	global_load_dwordx2 v[13:14], v6, s[4:5]
	s_add_i32 s23, s22, -8
	s_add_u32 s4, s4, 8
	s_addc_u32 s5, s5, 0
.LBB9_298:                              ;   in Loop: Header=BB9_284 Depth=1
	s_cmp_gt_u32 s23, 7
	s_cbranch_scc1 .LBB9_303
; %bb.299:                              ;   in Loop: Header=BB9_284 Depth=1
	v_mov_b32_e32 v15, 0
	v_mov_b32_e32 v16, 0
	s_cmp_eq_u32 s23, 0
	s_cbranch_scc1 .LBB9_302
; %bb.300:                              ;   in Loop: Header=BB9_284 Depth=1
	s_mov_b64 s[18:19], 0
	s_mov_b64 s[20:21], 0
.LBB9_301:                              ;   Parent Loop BB9_284 Depth=1
                                        ; =>  This Inner Loop Header: Depth=2
	s_add_u32 s24, s4, s20
	s_addc_u32 s25, s5, s21
	s_add_u32 s20, s20, 1
	global_load_ubyte v4, v6, s[24:25]
	s_addc_u32 s21, s21, 0
	s_waitcnt vmcnt(0)
	v_and_b32_e32 v5, 0xffff, v4
	v_lshlrev_b64 v[4:5], s18, v[5:6]
	s_add_u32 s18, s18, 8
	s_addc_u32 s19, s19, 0
	s_cmp_lg_u32 s23, s20
	v_or_b32_e32 v15, v4, v15
	v_or_b32_e32 v16, v5, v16
	s_cbranch_scc1 .LBB9_301
.LBB9_302:                              ;   in Loop: Header=BB9_284 Depth=1
	s_mov_b32 s22, 0
	s_cbranch_execz .LBB9_304
	s_branch .LBB9_305
.LBB9_303:                              ;   in Loop: Header=BB9_284 Depth=1
                                        ; implicit-def: $sgpr22
.LBB9_304:                              ;   in Loop: Header=BB9_284 Depth=1
	global_load_dwordx2 v[15:16], v6, s[4:5]
	s_add_i32 s22, s23, -8
	s_add_u32 s4, s4, 8
	s_addc_u32 s5, s5, 0
.LBB9_305:                              ;   in Loop: Header=BB9_284 Depth=1
	s_cmp_gt_u32 s22, 7
	s_cbranch_scc1 .LBB9_310
; %bb.306:                              ;   in Loop: Header=BB9_284 Depth=1
	v_mov_b32_e32 v17, 0
	v_mov_b32_e32 v18, 0
	s_cmp_eq_u32 s22, 0
	s_cbranch_scc1 .LBB9_309
; %bb.307:                              ;   in Loop: Header=BB9_284 Depth=1
	s_mov_b64 s[18:19], 0
	s_mov_b64 s[20:21], 0
.LBB9_308:                              ;   Parent Loop BB9_284 Depth=1
                                        ; =>  This Inner Loop Header: Depth=2
	s_add_u32 s24, s4, s20
	s_addc_u32 s25, s5, s21
	s_add_u32 s20, s20, 1
	global_load_ubyte v4, v6, s[24:25]
	s_addc_u32 s21, s21, 0
	s_waitcnt vmcnt(0)
	v_and_b32_e32 v5, 0xffff, v4
	v_lshlrev_b64 v[4:5], s18, v[5:6]
	s_add_u32 s18, s18, 8
	s_addc_u32 s19, s19, 0
	s_cmp_lg_u32 s22, s20
	v_or_b32_e32 v17, v4, v17
	v_or_b32_e32 v18, v5, v18
	s_cbranch_scc1 .LBB9_308
.LBB9_309:                              ;   in Loop: Header=BB9_284 Depth=1
	s_mov_b32 s23, 0
	s_cbranch_execz .LBB9_311
	s_branch .LBB9_312
.LBB9_310:                              ;   in Loop: Header=BB9_284 Depth=1
                                        ; implicit-def: $vgpr17_vgpr18
                                        ; implicit-def: $sgpr23
.LBB9_311:                              ;   in Loop: Header=BB9_284 Depth=1
	global_load_dwordx2 v[17:18], v6, s[4:5]
	s_add_i32 s23, s22, -8
	s_add_u32 s4, s4, 8
	s_addc_u32 s5, s5, 0
.LBB9_312:                              ;   in Loop: Header=BB9_284 Depth=1
	s_cmp_gt_u32 s23, 7
	s_cbranch_scc1 .LBB9_317
; %bb.313:                              ;   in Loop: Header=BB9_284 Depth=1
	v_mov_b32_e32 v19, 0
	v_mov_b32_e32 v20, 0
	s_cmp_eq_u32 s23, 0
	s_cbranch_scc1 .LBB9_316
; %bb.314:                              ;   in Loop: Header=BB9_284 Depth=1
	s_mov_b64 s[18:19], 0
	s_mov_b64 s[20:21], 0
.LBB9_315:                              ;   Parent Loop BB9_284 Depth=1
                                        ; =>  This Inner Loop Header: Depth=2
	s_add_u32 s24, s4, s20
	s_addc_u32 s25, s5, s21
	s_add_u32 s20, s20, 1
	global_load_ubyte v4, v6, s[24:25]
	s_addc_u32 s21, s21, 0
	s_waitcnt vmcnt(0)
	v_and_b32_e32 v5, 0xffff, v4
	v_lshlrev_b64 v[4:5], s18, v[5:6]
	s_add_u32 s18, s18, 8
	s_addc_u32 s19, s19, 0
	s_cmp_lg_u32 s23, s20
	v_or_b32_e32 v19, v4, v19
	v_or_b32_e32 v20, v5, v20
	s_cbranch_scc1 .LBB9_315
.LBB9_316:                              ;   in Loop: Header=BB9_284 Depth=1
	s_mov_b32 s22, 0
	s_cbranch_execz .LBB9_318
	s_branch .LBB9_319
.LBB9_317:                              ;   in Loop: Header=BB9_284 Depth=1
                                        ; implicit-def: $sgpr22
.LBB9_318:                              ;   in Loop: Header=BB9_284 Depth=1
	global_load_dwordx2 v[19:20], v6, s[4:5]
	s_add_i32 s22, s23, -8
	s_add_u32 s4, s4, 8
	s_addc_u32 s5, s5, 0
.LBB9_319:                              ;   in Loop: Header=BB9_284 Depth=1
	s_cmp_gt_u32 s22, 7
	s_cbranch_scc1 .LBB9_324
; %bb.320:                              ;   in Loop: Header=BB9_284 Depth=1
	v_mov_b32_e32 v21, 0
	v_mov_b32_e32 v22, 0
	s_cmp_eq_u32 s22, 0
	s_cbranch_scc1 .LBB9_323
; %bb.321:                              ;   in Loop: Header=BB9_284 Depth=1
	s_mov_b64 s[18:19], 0
	s_mov_b64 s[20:21], 0
.LBB9_322:                              ;   Parent Loop BB9_284 Depth=1
                                        ; =>  This Inner Loop Header: Depth=2
	s_add_u32 s24, s4, s20
	s_addc_u32 s25, s5, s21
	s_add_u32 s20, s20, 1
	global_load_ubyte v4, v6, s[24:25]
	s_addc_u32 s21, s21, 0
	s_waitcnt vmcnt(0)
	v_and_b32_e32 v5, 0xffff, v4
	v_lshlrev_b64 v[4:5], s18, v[5:6]
	s_add_u32 s18, s18, 8
	s_addc_u32 s19, s19, 0
	s_cmp_lg_u32 s22, s20
	v_or_b32_e32 v21, v4, v21
	v_or_b32_e32 v22, v5, v22
	s_cbranch_scc1 .LBB9_322
.LBB9_323:                              ;   in Loop: Header=BB9_284 Depth=1
	s_mov_b32 s23, 0
	s_cbranch_execz .LBB9_325
	s_branch .LBB9_326
.LBB9_324:                              ;   in Loop: Header=BB9_284 Depth=1
                                        ; implicit-def: $vgpr21_vgpr22
                                        ; implicit-def: $sgpr23
.LBB9_325:                              ;   in Loop: Header=BB9_284 Depth=1
	global_load_dwordx2 v[21:22], v6, s[4:5]
	s_add_i32 s23, s22, -8
	s_add_u32 s4, s4, 8
	s_addc_u32 s5, s5, 0
.LBB9_326:                              ;   in Loop: Header=BB9_284 Depth=1
	s_cmp_gt_u32 s23, 7
	s_cbranch_scc1 .LBB9_331
; %bb.327:                              ;   in Loop: Header=BB9_284 Depth=1
	v_mov_b32_e32 v23, 0
	v_mov_b32_e32 v24, 0
	s_cmp_eq_u32 s23, 0
	s_cbranch_scc1 .LBB9_330
; %bb.328:                              ;   in Loop: Header=BB9_284 Depth=1
	s_mov_b64 s[18:19], 0
	s_mov_b64 s[20:21], s[4:5]
.LBB9_329:                              ;   Parent Loop BB9_284 Depth=1
                                        ; =>  This Inner Loop Header: Depth=2
	global_load_ubyte v4, v6, s[20:21]
	s_add_i32 s23, s23, -1
	s_waitcnt vmcnt(0)
	v_and_b32_e32 v5, 0xffff, v4
	v_lshlrev_b64 v[4:5], s18, v[5:6]
	s_add_u32 s18, s18, 8
	s_addc_u32 s19, s19, 0
	s_add_u32 s20, s20, 1
	s_addc_u32 s21, s21, 0
	s_cmp_lg_u32 s23, 0
	v_or_b32_e32 v23, v4, v23
	v_or_b32_e32 v24, v5, v24
	s_cbranch_scc1 .LBB9_329
.LBB9_330:                              ;   in Loop: Header=BB9_284 Depth=1
	s_cbranch_execz .LBB9_332
	s_branch .LBB9_333
.LBB9_331:                              ;   in Loop: Header=BB9_284 Depth=1
.LBB9_332:                              ;   in Loop: Header=BB9_284 Depth=1
	global_load_dwordx2 v[23:24], v6, s[4:5]
.LBB9_333:                              ;   in Loop: Header=BB9_284 Depth=1
	v_readfirstlane_b32 s4, v69
	s_waitcnt vmcnt(0)
	v_mov_b32_e32 v4, 0
	v_mov_b32_e32 v5, 0
	v_cmp_eq_u32_e64 s4, s4, v69
	s_and_saveexec_b32 s5, s4
	s_cbranch_execz .LBB9_339
; %bb.334:                              ;   in Loop: Header=BB9_284 Depth=1
	global_load_dwordx2 v[27:28], v6, s[40:41] offset:24 glc dlc
	s_waitcnt vmcnt(0)
	buffer_gl1_inv
	buffer_gl0_inv
	s_clause 0x1
	global_load_dwordx2 v[4:5], v6, s[40:41] offset:40
	global_load_dwordx2 v[9:10], v6, s[40:41]
	s_mov_b32 s18, exec_lo
	s_waitcnt vmcnt(1)
	v_and_b32_e32 v5, v5, v28
	v_and_b32_e32 v4, v4, v27
	v_mul_lo_u32 v5, v5, 24
	v_mul_hi_u32 v25, v4, 24
	v_mul_lo_u32 v4, v4, 24
	v_add_nc_u32_e32 v5, v25, v5
	s_waitcnt vmcnt(0)
	v_add_co_u32 v4, vcc_lo, v9, v4
	v_add_co_ci_u32_e32 v5, vcc_lo, v10, v5, vcc_lo
	global_load_dwordx2 v[25:26], v[4:5], off glc dlc
	s_waitcnt vmcnt(0)
	global_atomic_cmpswap_x2 v[4:5], v6, v[25:28], s[40:41] offset:24 glc
	s_waitcnt vmcnt(0)
	buffer_gl1_inv
	buffer_gl0_inv
	v_cmpx_ne_u64_e64 v[4:5], v[27:28]
	s_cbranch_execz .LBB9_338
; %bb.335:                              ;   in Loop: Header=BB9_284 Depth=1
	s_mov_b32 s19, 0
	.p2align	6
.LBB9_336:                              ;   Parent Loop BB9_284 Depth=1
                                        ; =>  This Inner Loop Header: Depth=2
	s_sleep 1
	s_clause 0x1
	global_load_dwordx2 v[9:10], v6, s[40:41] offset:40
	global_load_dwordx2 v[25:26], v6, s[40:41]
	v_mov_b32_e32 v28, v5
	v_mov_b32_e32 v27, v4
	s_waitcnt vmcnt(1)
	v_and_b32_e32 v4, v9, v27
	v_and_b32_e32 v9, v10, v28
	s_waitcnt vmcnt(0)
	v_mad_u64_u32 v[4:5], null, v4, 24, v[25:26]
	v_mad_u64_u32 v[9:10], null, v9, 24, v[5:6]
	v_mov_b32_e32 v5, v9
	global_load_dwordx2 v[25:26], v[4:5], off glc dlc
	s_waitcnt vmcnt(0)
	global_atomic_cmpswap_x2 v[4:5], v6, v[25:28], s[40:41] offset:24 glc
	s_waitcnt vmcnt(0)
	buffer_gl1_inv
	buffer_gl0_inv
	v_cmp_eq_u64_e32 vcc_lo, v[4:5], v[27:28]
	s_or_b32 s19, vcc_lo, s19
	s_andn2_b32 exec_lo, exec_lo, s19
	s_cbranch_execnz .LBB9_336
; %bb.337:                              ;   in Loop: Header=BB9_284 Depth=1
	s_or_b32 exec_lo, exec_lo, s19
.LBB9_338:                              ;   in Loop: Header=BB9_284 Depth=1
	s_or_b32 exec_lo, exec_lo, s18
.LBB9_339:                              ;   in Loop: Header=BB9_284 Depth=1
	s_or_b32 exec_lo, exec_lo, s5
	s_clause 0x1
	global_load_dwordx2 v[9:10], v6, s[40:41] offset:40
	global_load_dwordx4 v[25:28], v6, s[40:41]
	v_readfirstlane_b32 s18, v4
	v_readfirstlane_b32 s19, v5
	s_mov_b32 s5, exec_lo
	s_waitcnt vmcnt(1)
	v_readfirstlane_b32 s20, v9
	v_readfirstlane_b32 s21, v10
	s_and_b64 s[20:21], s[18:19], s[20:21]
	s_mul_i32 s22, s21, 24
	s_mul_hi_u32 s23, s20, 24
	s_mul_i32 s24, s20, 24
	s_add_i32 s23, s23, s22
	s_waitcnt vmcnt(0)
	v_add_co_u32 v29, vcc_lo, v25, s24
	v_add_co_ci_u32_e32 v30, vcc_lo, s23, v26, vcc_lo
	s_and_saveexec_b32 s22, s4
	s_cbranch_execz .LBB9_341
; %bb.340:                              ;   in Loop: Header=BB9_284 Depth=1
	v_mov_b32_e32 v5, s5
	global_store_dwordx4 v[29:30], v[5:8], off offset:8
.LBB9_341:                              ;   in Loop: Header=BB9_284 Depth=1
	s_or_b32 exec_lo, exec_lo, s22
	s_lshl_b64 s[20:21], s[20:21], 12
	v_cmp_gt_u64_e64 vcc_lo, s[10:11], 56
	v_or_b32_e32 v5, v2, v31
	v_add_co_u32 v27, s5, v27, s20
	v_add_co_ci_u32_e64 v28, s5, s21, v28, s5
	s_lshl_b32 s5, s16, 2
	v_or_b32_e32 v4, 0, v3
	v_cndmask_b32_e32 v2, v5, v2, vcc_lo
	s_add_i32 s5, s5, 28
	v_readfirstlane_b32 s20, v27
	s_and_b32 s5, s5, 0x1e0
	v_cndmask_b32_e32 v10, v4, v3, vcc_lo
	v_readfirstlane_b32 s21, v28
	v_and_or_b32 v9, 0xffffff1f, v2, s5
	global_store_dwordx4 v68, v[9:12], s[20:21]
	global_store_dwordx4 v68, v[13:16], s[20:21] offset:16
	global_store_dwordx4 v68, v[17:20], s[20:21] offset:32
	;; [unrolled: 1-line block ×3, first 2 shown]
	s_and_saveexec_b32 s5, s4
	s_cbranch_execz .LBB9_349
; %bb.342:                              ;   in Loop: Header=BB9_284 Depth=1
	s_clause 0x1
	global_load_dwordx2 v[13:14], v6, s[40:41] offset:32 glc dlc
	global_load_dwordx2 v[2:3], v6, s[40:41] offset:40
	v_mov_b32_e32 v11, s18
	v_mov_b32_e32 v12, s19
	s_waitcnt vmcnt(0)
	v_readfirstlane_b32 s20, v2
	v_readfirstlane_b32 s21, v3
	s_and_b64 s[20:21], s[20:21], s[18:19]
	s_mul_i32 s21, s21, 24
	s_mul_hi_u32 s22, s20, 24
	s_mul_i32 s20, s20, 24
	s_add_i32 s22, s22, s21
	v_add_co_u32 v9, vcc_lo, v25, s20
	v_add_co_ci_u32_e32 v10, vcc_lo, s22, v26, vcc_lo
	s_mov_b32 s20, exec_lo
	global_store_dwordx2 v[9:10], v[13:14], off
	s_waitcnt_vscnt null, 0x0
	global_atomic_cmpswap_x2 v[4:5], v6, v[11:14], s[40:41] offset:32 glc
	s_waitcnt vmcnt(0)
	v_cmpx_ne_u64_e64 v[4:5], v[13:14]
	s_cbranch_execz .LBB9_345
; %bb.343:                              ;   in Loop: Header=BB9_284 Depth=1
	s_mov_b32 s21, 0
.LBB9_344:                              ;   Parent Loop BB9_284 Depth=1
                                        ; =>  This Inner Loop Header: Depth=2
	v_mov_b32_e32 v2, s18
	v_mov_b32_e32 v3, s19
	s_sleep 1
	global_store_dwordx2 v[9:10], v[4:5], off
	s_waitcnt_vscnt null, 0x0
	global_atomic_cmpswap_x2 v[2:3], v6, v[2:5], s[40:41] offset:32 glc
	s_waitcnt vmcnt(0)
	v_cmp_eq_u64_e32 vcc_lo, v[2:3], v[4:5]
	v_mov_b32_e32 v5, v3
	v_mov_b32_e32 v4, v2
	s_or_b32 s21, vcc_lo, s21
	s_andn2_b32 exec_lo, exec_lo, s21
	s_cbranch_execnz .LBB9_344
.LBB9_345:                              ;   in Loop: Header=BB9_284 Depth=1
	s_or_b32 exec_lo, exec_lo, s20
	global_load_dwordx2 v[2:3], v6, s[40:41] offset:16
	s_mov_b32 s21, exec_lo
	s_mov_b32 s20, exec_lo
	v_mbcnt_lo_u32_b32 v4, s21, 0
	v_cmpx_eq_u32_e32 0, v4
	s_cbranch_execz .LBB9_347
; %bb.346:                              ;   in Loop: Header=BB9_284 Depth=1
	s_bcnt1_i32_b32 s21, s21
	v_mov_b32_e32 v5, s21
	s_waitcnt vmcnt(0)
	global_atomic_add_x2 v[2:3], v[5:6], off offset:8
.LBB9_347:                              ;   in Loop: Header=BB9_284 Depth=1
	s_or_b32 exec_lo, exec_lo, s20
	s_waitcnt vmcnt(0)
	global_load_dwordx2 v[9:10], v[2:3], off offset:16
	s_waitcnt vmcnt(0)
	v_cmp_eq_u64_e32 vcc_lo, 0, v[9:10]
	s_cbranch_vccnz .LBB9_349
; %bb.348:                              ;   in Loop: Header=BB9_284 Depth=1
	global_load_dword v5, v[2:3], off offset:24
	s_waitcnt vmcnt(0)
	v_and_b32_e32 v2, 0x7fffff, v5
	s_waitcnt_vscnt null, 0x0
	global_store_dwordx2 v[9:10], v[5:6], off
	v_readfirstlane_b32 m0, v2
	s_sendmsg sendmsg(MSG_INTERRUPT)
.LBB9_349:                              ;   in Loop: Header=BB9_284 Depth=1
	s_or_b32 exec_lo, exec_lo, s5
	v_add_co_u32 v2, vcc_lo, v27, v68
	v_add_co_ci_u32_e32 v3, vcc_lo, 0, v28, vcc_lo
	s_branch .LBB9_353
	.p2align	6
.LBB9_350:                              ;   in Loop: Header=BB9_353 Depth=2
	s_or_b32 exec_lo, exec_lo, s5
	v_readfirstlane_b32 s5, v4
	s_cmp_eq_u32 s5, 0
	s_cbranch_scc1 .LBB9_352
; %bb.351:                              ;   in Loop: Header=BB9_353 Depth=2
	s_sleep 1
	s_cbranch_execnz .LBB9_353
	s_branch .LBB9_355
	.p2align	6
.LBB9_352:                              ;   in Loop: Header=BB9_284 Depth=1
	s_branch .LBB9_355
.LBB9_353:                              ;   Parent Loop BB9_284 Depth=1
                                        ; =>  This Inner Loop Header: Depth=2
	v_mov_b32_e32 v4, 1
	s_and_saveexec_b32 s5, s4
	s_cbranch_execz .LBB9_350
; %bb.354:                              ;   in Loop: Header=BB9_353 Depth=2
	global_load_dword v4, v[29:30], off offset:20 glc dlc
	s_waitcnt vmcnt(0)
	buffer_gl1_inv
	buffer_gl0_inv
	v_and_b32_e32 v4, 1, v4
	s_branch .LBB9_350
.LBB9_355:                              ;   in Loop: Header=BB9_284 Depth=1
	global_load_dwordx4 v[2:5], v[2:3], off
	s_and_saveexec_b32 s5, s4
	s_cbranch_execz .LBB9_283
; %bb.356:                              ;   in Loop: Header=BB9_284 Depth=1
	s_clause 0x2
	global_load_dwordx2 v[4:5], v6, s[40:41] offset:40
	global_load_dwordx2 v[13:14], v6, s[40:41] offset:24 glc dlc
	global_load_dwordx2 v[11:12], v6, s[40:41]
	s_waitcnt vmcnt(2)
	v_add_co_u32 v15, vcc_lo, v4, 1
	v_add_co_ci_u32_e32 v16, vcc_lo, 0, v5, vcc_lo
	v_add_co_u32 v9, vcc_lo, v15, s18
	v_add_co_ci_u32_e32 v10, vcc_lo, s19, v16, vcc_lo
	v_cmp_eq_u64_e32 vcc_lo, 0, v[9:10]
	v_cndmask_b32_e32 v10, v10, v16, vcc_lo
	v_cndmask_b32_e32 v9, v9, v15, vcc_lo
	v_and_b32_e32 v5, v10, v5
	v_and_b32_e32 v4, v9, v4
	v_mul_lo_u32 v5, v5, 24
	v_mul_hi_u32 v15, v4, 24
	v_mul_lo_u32 v4, v4, 24
	v_add_nc_u32_e32 v5, v15, v5
	s_waitcnt vmcnt(0)
	v_add_co_u32 v4, vcc_lo, v11, v4
	v_mov_b32_e32 v11, v13
	v_add_co_ci_u32_e32 v5, vcc_lo, v12, v5, vcc_lo
	v_mov_b32_e32 v12, v14
	global_store_dwordx2 v[4:5], v[13:14], off
	s_waitcnt_vscnt null, 0x0
	global_atomic_cmpswap_x2 v[11:12], v6, v[9:12], s[40:41] offset:24 glc
	s_waitcnt vmcnt(0)
	v_cmp_ne_u64_e32 vcc_lo, v[11:12], v[13:14]
	s_and_b32 exec_lo, exec_lo, vcc_lo
	s_cbranch_execz .LBB9_283
; %bb.357:                              ;   in Loop: Header=BB9_284 Depth=1
	s_mov_b32 s4, 0
.LBB9_358:                              ;   Parent Loop BB9_284 Depth=1
                                        ; =>  This Inner Loop Header: Depth=2
	s_sleep 1
	global_store_dwordx2 v[4:5], v[11:12], off
	s_waitcnt_vscnt null, 0x0
	global_atomic_cmpswap_x2 v[13:14], v6, v[9:12], s[40:41] offset:24 glc
	s_waitcnt vmcnt(0)
	v_cmp_eq_u64_e32 vcc_lo, v[13:14], v[11:12]
	v_mov_b32_e32 v11, v13
	v_mov_b32_e32 v12, v14
	s_or_b32 s4, vcc_lo, s4
	s_andn2_b32 exec_lo, exec_lo, s4
	s_cbranch_execnz .LBB9_358
	s_branch .LBB9_283
.LBB9_359:
	s_branch .LBB9_388
.LBB9_360:
                                        ; implicit-def: $vgpr2_vgpr3
	s_cbranch_execz .LBB9_388
; %bb.361:
	v_readfirstlane_b32 s4, v69
	v_mov_b32_e32 v8, 0
	v_mov_b32_e32 v9, 0
	v_cmp_eq_u32_e64 s4, s4, v69
	s_and_saveexec_b32 s5, s4
	s_cbranch_execz .LBB9_367
; %bb.362:
	s_waitcnt vmcnt(0)
	v_mov_b32_e32 v2, 0
	s_mov_b32 s6, exec_lo
	global_load_dwordx2 v[5:6], v2, s[40:41] offset:24 glc dlc
	s_waitcnt vmcnt(0)
	buffer_gl1_inv
	buffer_gl0_inv
	s_clause 0x1
	global_load_dwordx2 v[3:4], v2, s[40:41] offset:40
	global_load_dwordx2 v[7:8], v2, s[40:41]
	s_waitcnt vmcnt(1)
	v_and_b32_e32 v4, v4, v6
	v_and_b32_e32 v3, v3, v5
	v_mul_lo_u32 v4, v4, 24
	v_mul_hi_u32 v9, v3, 24
	v_mul_lo_u32 v3, v3, 24
	v_add_nc_u32_e32 v4, v9, v4
	s_waitcnt vmcnt(0)
	v_add_co_u32 v3, vcc_lo, v7, v3
	v_add_co_ci_u32_e32 v4, vcc_lo, v8, v4, vcc_lo
	global_load_dwordx2 v[3:4], v[3:4], off glc dlc
	s_waitcnt vmcnt(0)
	global_atomic_cmpswap_x2 v[8:9], v2, v[3:6], s[40:41] offset:24 glc
	s_waitcnt vmcnt(0)
	buffer_gl1_inv
	buffer_gl0_inv
	v_cmpx_ne_u64_e64 v[8:9], v[5:6]
	s_cbranch_execz .LBB9_366
; %bb.363:
	s_mov_b32 s7, 0
	.p2align	6
.LBB9_364:                              ; =>This Inner Loop Header: Depth=1
	s_sleep 1
	s_clause 0x1
	global_load_dwordx2 v[3:4], v2, s[40:41] offset:40
	global_load_dwordx2 v[10:11], v2, s[40:41]
	v_mov_b32_e32 v5, v8
	v_mov_b32_e32 v6, v9
	s_waitcnt vmcnt(1)
	v_and_b32_e32 v3, v3, v5
	v_and_b32_e32 v4, v4, v6
	s_waitcnt vmcnt(0)
	v_mad_u64_u32 v[7:8], null, v3, 24, v[10:11]
	v_mov_b32_e32 v3, v8
	v_mad_u64_u32 v[3:4], null, v4, 24, v[3:4]
	v_mov_b32_e32 v8, v3
	global_load_dwordx2 v[3:4], v[7:8], off glc dlc
	s_waitcnt vmcnt(0)
	global_atomic_cmpswap_x2 v[8:9], v2, v[3:6], s[40:41] offset:24 glc
	s_waitcnt vmcnt(0)
	buffer_gl1_inv
	buffer_gl0_inv
	v_cmp_eq_u64_e32 vcc_lo, v[8:9], v[5:6]
	s_or_b32 s7, vcc_lo, s7
	s_andn2_b32 exec_lo, exec_lo, s7
	s_cbranch_execnz .LBB9_364
; %bb.365:
	s_or_b32 exec_lo, exec_lo, s7
.LBB9_366:
	s_or_b32 exec_lo, exec_lo, s6
.LBB9_367:
	s_or_b32 exec_lo, exec_lo, s5
	s_waitcnt vmcnt(0)
	v_mov_b32_e32 v2, 0
	v_readfirstlane_b32 s6, v8
	v_readfirstlane_b32 s7, v9
	s_mov_b32 s5, exec_lo
	s_clause 0x1
	global_load_dwordx2 v[10:11], v2, s[40:41] offset:40
	global_load_dwordx4 v[4:7], v2, s[40:41]
	s_waitcnt vmcnt(1)
	v_readfirstlane_b32 s10, v10
	v_readfirstlane_b32 s11, v11
	s_and_b64 s[10:11], s[6:7], s[10:11]
	s_mul_i32 s16, s11, 24
	s_mul_hi_u32 s17, s10, 24
	s_mul_i32 s18, s10, 24
	s_add_i32 s17, s17, s16
	s_waitcnt vmcnt(0)
	v_add_co_u32 v8, vcc_lo, v4, s18
	v_add_co_ci_u32_e32 v9, vcc_lo, s17, v5, vcc_lo
	s_and_saveexec_b32 s16, s4
	s_cbranch_execz .LBB9_369
; %bb.368:
	v_mov_b32_e32 v10, s5
	v_mov_b32_e32 v11, v2
	;; [unrolled: 1-line block ×4, first 2 shown]
	global_store_dwordx4 v[8:9], v[10:13], off offset:8
.LBB9_369:
	s_or_b32 exec_lo, exec_lo, s16
	s_lshl_b64 s[10:11], s[10:11], 12
	s_mov_b32 s16, 0
	v_add_co_u32 v6, vcc_lo, v6, s10
	v_add_co_ci_u32_e32 v7, vcc_lo, s11, v7, vcc_lo
	s_mov_b32 s17, s16
	v_readfirstlane_b32 s10, v6
	v_add_co_u32 v6, vcc_lo, v6, v68
	s_mov_b32 s18, s16
	s_mov_b32 s19, s16
	v_and_or_b32 v0, 0xffffff1f, v0, 32
	v_mov_b32_e32 v3, v2
	v_readfirstlane_b32 s11, v7
	v_mov_b32_e32 v10, s16
	v_add_co_ci_u32_e32 v7, vcc_lo, 0, v7, vcc_lo
	v_mov_b32_e32 v11, s17
	v_mov_b32_e32 v12, s18
	;; [unrolled: 1-line block ×3, first 2 shown]
	global_store_dwordx4 v68, v[0:3], s[10:11]
	global_store_dwordx4 v68, v[10:13], s[10:11] offset:16
	global_store_dwordx4 v68, v[10:13], s[10:11] offset:32
	;; [unrolled: 1-line block ×3, first 2 shown]
	s_and_saveexec_b32 s5, s4
	s_cbranch_execz .LBB9_377
; %bb.370:
	v_mov_b32_e32 v10, 0
	v_mov_b32_e32 v11, s6
	;; [unrolled: 1-line block ×3, first 2 shown]
	s_clause 0x1
	global_load_dwordx2 v[13:14], v10, s[40:41] offset:32 glc dlc
	global_load_dwordx2 v[0:1], v10, s[40:41] offset:40
	s_waitcnt vmcnt(0)
	v_readfirstlane_b32 s10, v0
	v_readfirstlane_b32 s11, v1
	s_and_b64 s[10:11], s[10:11], s[6:7]
	s_mul_i32 s11, s11, 24
	s_mul_hi_u32 s16, s10, 24
	s_mul_i32 s10, s10, 24
	s_add_i32 s16, s16, s11
	v_add_co_u32 v4, vcc_lo, v4, s10
	v_add_co_ci_u32_e32 v5, vcc_lo, s16, v5, vcc_lo
	s_mov_b32 s10, exec_lo
	global_store_dwordx2 v[4:5], v[13:14], off
	s_waitcnt_vscnt null, 0x0
	global_atomic_cmpswap_x2 v[2:3], v10, v[11:14], s[40:41] offset:32 glc
	s_waitcnt vmcnt(0)
	v_cmpx_ne_u64_e64 v[2:3], v[13:14]
	s_cbranch_execz .LBB9_373
; %bb.371:
	s_mov_b32 s11, 0
.LBB9_372:                              ; =>This Inner Loop Header: Depth=1
	v_mov_b32_e32 v0, s6
	v_mov_b32_e32 v1, s7
	s_sleep 1
	global_store_dwordx2 v[4:5], v[2:3], off
	s_waitcnt_vscnt null, 0x0
	global_atomic_cmpswap_x2 v[0:1], v10, v[0:3], s[40:41] offset:32 glc
	s_waitcnt vmcnt(0)
	v_cmp_eq_u64_e32 vcc_lo, v[0:1], v[2:3]
	v_mov_b32_e32 v3, v1
	v_mov_b32_e32 v2, v0
	s_or_b32 s11, vcc_lo, s11
	s_andn2_b32 exec_lo, exec_lo, s11
	s_cbranch_execnz .LBB9_372
.LBB9_373:
	s_or_b32 exec_lo, exec_lo, s10
	v_mov_b32_e32 v3, 0
	s_mov_b32 s11, exec_lo
	s_mov_b32 s10, exec_lo
	v_mbcnt_lo_u32_b32 v2, s11, 0
	global_load_dwordx2 v[0:1], v3, s[40:41] offset:16
	v_cmpx_eq_u32_e32 0, v2
	s_cbranch_execz .LBB9_375
; %bb.374:
	s_bcnt1_i32_b32 s11, s11
	v_mov_b32_e32 v2, s11
	s_waitcnt vmcnt(0)
	global_atomic_add_x2 v[0:1], v[2:3], off offset:8
.LBB9_375:
	s_or_b32 exec_lo, exec_lo, s10
	s_waitcnt vmcnt(0)
	global_load_dwordx2 v[2:3], v[0:1], off offset:16
	s_waitcnt vmcnt(0)
	v_cmp_eq_u64_e32 vcc_lo, 0, v[2:3]
	s_cbranch_vccnz .LBB9_377
; %bb.376:
	global_load_dword v0, v[0:1], off offset:24
	v_mov_b32_e32 v1, 0
	s_waitcnt vmcnt(0)
	v_and_b32_e32 v4, 0x7fffff, v0
	s_waitcnt_vscnt null, 0x0
	global_store_dwordx2 v[2:3], v[0:1], off
	v_readfirstlane_b32 m0, v4
	s_sendmsg sendmsg(MSG_INTERRUPT)
.LBB9_377:
	s_or_b32 exec_lo, exec_lo, s5
	s_branch .LBB9_381
	.p2align	6
.LBB9_378:                              ;   in Loop: Header=BB9_381 Depth=1
	s_or_b32 exec_lo, exec_lo, s5
	v_readfirstlane_b32 s5, v0
	s_cmp_eq_u32 s5, 0
	s_cbranch_scc1 .LBB9_380
; %bb.379:                              ;   in Loop: Header=BB9_381 Depth=1
	s_sleep 1
	s_cbranch_execnz .LBB9_381
	s_branch .LBB9_383
	.p2align	6
.LBB9_380:
	s_branch .LBB9_383
.LBB9_381:                              ; =>This Inner Loop Header: Depth=1
	v_mov_b32_e32 v0, 1
	s_and_saveexec_b32 s5, s4
	s_cbranch_execz .LBB9_378
; %bb.382:                              ;   in Loop: Header=BB9_381 Depth=1
	global_load_dword v0, v[8:9], off offset:20 glc dlc
	s_waitcnt vmcnt(0)
	buffer_gl1_inv
	buffer_gl0_inv
	v_and_b32_e32 v0, 1, v0
	s_branch .LBB9_378
.LBB9_383:
	global_load_dwordx2 v[2:3], v[6:7], off
	s_and_saveexec_b32 s5, s4
	s_cbranch_execz .LBB9_387
; %bb.384:
	v_mov_b32_e32 v8, 0
	s_clause 0x2
	global_load_dwordx2 v[0:1], v8, s[40:41] offset:40
	global_load_dwordx2 v[9:10], v8, s[40:41] offset:24 glc dlc
	global_load_dwordx2 v[6:7], v8, s[40:41]
	s_waitcnt vmcnt(2)
	v_add_co_u32 v11, vcc_lo, v0, 1
	v_add_co_ci_u32_e32 v12, vcc_lo, 0, v1, vcc_lo
	v_add_co_u32 v4, vcc_lo, v11, s6
	v_add_co_ci_u32_e32 v5, vcc_lo, s7, v12, vcc_lo
	v_cmp_eq_u64_e32 vcc_lo, 0, v[4:5]
	v_cndmask_b32_e32 v5, v5, v12, vcc_lo
	v_cndmask_b32_e32 v4, v4, v11, vcc_lo
	v_and_b32_e32 v1, v5, v1
	v_and_b32_e32 v0, v4, v0
	v_mul_lo_u32 v1, v1, 24
	v_mul_hi_u32 v11, v0, 24
	v_mul_lo_u32 v0, v0, 24
	v_add_nc_u32_e32 v1, v11, v1
	s_waitcnt vmcnt(0)
	v_add_co_u32 v0, vcc_lo, v6, v0
	v_mov_b32_e32 v6, v9
	v_add_co_ci_u32_e32 v1, vcc_lo, v7, v1, vcc_lo
	v_mov_b32_e32 v7, v10
	global_store_dwordx2 v[0:1], v[9:10], off
	s_waitcnt_vscnt null, 0x0
	global_atomic_cmpswap_x2 v[6:7], v8, v[4:7], s[40:41] offset:24 glc
	s_waitcnt vmcnt(0)
	v_cmp_ne_u64_e32 vcc_lo, v[6:7], v[9:10]
	s_and_b32 exec_lo, exec_lo, vcc_lo
	s_cbranch_execz .LBB9_387
; %bb.385:
	s_mov_b32 s4, 0
.LBB9_386:                              ; =>This Inner Loop Header: Depth=1
	s_sleep 1
	global_store_dwordx2 v[0:1], v[6:7], off
	s_waitcnt_vscnt null, 0x0
	global_atomic_cmpswap_x2 v[9:10], v8, v[4:7], s[40:41] offset:24 glc
	s_waitcnt vmcnt(0)
	v_cmp_eq_u64_e32 vcc_lo, v[9:10], v[6:7]
	v_mov_b32_e32 v6, v9
	v_mov_b32_e32 v7, v10
	s_or_b32 s4, vcc_lo, s4
	s_andn2_b32 exec_lo, exec_lo, s4
	s_cbranch_execnz .LBB9_386
.LBB9_387:
	s_or_b32 exec_lo, exec_lo, s5
.LBB9_388:
	v_readfirstlane_b32 s4, v69
	s_waitcnt vmcnt(0)
	v_mov_b32_e32 v0, 0
	v_mov_b32_e32 v1, 0
	v_cmp_eq_u32_e64 s4, s4, v69
	s_and_saveexec_b32 s5, s4
	s_cbranch_execz .LBB9_394
; %bb.389:
	v_mov_b32_e32 v4, 0
	s_mov_b32 s6, exec_lo
	global_load_dwordx2 v[7:8], v4, s[40:41] offset:24 glc dlc
	s_waitcnt vmcnt(0)
	buffer_gl1_inv
	buffer_gl0_inv
	s_clause 0x1
	global_load_dwordx2 v[0:1], v4, s[40:41] offset:40
	global_load_dwordx2 v[5:6], v4, s[40:41]
	s_waitcnt vmcnt(1)
	v_and_b32_e32 v1, v1, v8
	v_and_b32_e32 v0, v0, v7
	v_mul_lo_u32 v1, v1, 24
	v_mul_hi_u32 v9, v0, 24
	v_mul_lo_u32 v0, v0, 24
	v_add_nc_u32_e32 v1, v9, v1
	s_waitcnt vmcnt(0)
	v_add_co_u32 v0, vcc_lo, v5, v0
	v_add_co_ci_u32_e32 v1, vcc_lo, v6, v1, vcc_lo
	global_load_dwordx2 v[5:6], v[0:1], off glc dlc
	s_waitcnt vmcnt(0)
	global_atomic_cmpswap_x2 v[0:1], v4, v[5:8], s[40:41] offset:24 glc
	s_waitcnt vmcnt(0)
	buffer_gl1_inv
	buffer_gl0_inv
	v_cmpx_ne_u64_e64 v[0:1], v[7:8]
	s_cbranch_execz .LBB9_393
; %bb.390:
	s_mov_b32 s7, 0
	.p2align	6
.LBB9_391:                              ; =>This Inner Loop Header: Depth=1
	s_sleep 1
	s_clause 0x1
	global_load_dwordx2 v[5:6], v4, s[40:41] offset:40
	global_load_dwordx2 v[9:10], v4, s[40:41]
	v_mov_b32_e32 v8, v1
	v_mov_b32_e32 v7, v0
	s_waitcnt vmcnt(1)
	v_and_b32_e32 v0, v5, v7
	v_and_b32_e32 v5, v6, v8
	s_waitcnt vmcnt(0)
	v_mad_u64_u32 v[0:1], null, v0, 24, v[9:10]
	v_mad_u64_u32 v[5:6], null, v5, 24, v[1:2]
	v_mov_b32_e32 v1, v5
	global_load_dwordx2 v[5:6], v[0:1], off glc dlc
	s_waitcnt vmcnt(0)
	global_atomic_cmpswap_x2 v[0:1], v4, v[5:8], s[40:41] offset:24 glc
	s_waitcnt vmcnt(0)
	buffer_gl1_inv
	buffer_gl0_inv
	v_cmp_eq_u64_e32 vcc_lo, v[0:1], v[7:8]
	s_or_b32 s7, vcc_lo, s7
	s_andn2_b32 exec_lo, exec_lo, s7
	s_cbranch_execnz .LBB9_391
; %bb.392:
	s_or_b32 exec_lo, exec_lo, s7
.LBB9_393:
	s_or_b32 exec_lo, exec_lo, s6
.LBB9_394:
	s_or_b32 exec_lo, exec_lo, s5
	v_mov_b32_e32 v5, 0
	v_readfirstlane_b32 s6, v0
	v_readfirstlane_b32 s7, v1
	s_mov_b32 s5, exec_lo
	s_clause 0x1
	global_load_dwordx2 v[10:11], v5, s[40:41] offset:40
	global_load_dwordx4 v[6:9], v5, s[40:41]
	s_waitcnt vmcnt(1)
	v_readfirstlane_b32 s10, v10
	v_readfirstlane_b32 s11, v11
	s_and_b64 s[10:11], s[6:7], s[10:11]
	s_mul_i32 s16, s11, 24
	s_mul_hi_u32 s17, s10, 24
	s_mul_i32 s18, s10, 24
	s_add_i32 s17, s17, s16
	s_waitcnt vmcnt(0)
	v_add_co_u32 v10, vcc_lo, v6, s18
	v_add_co_ci_u32_e32 v11, vcc_lo, s17, v7, vcc_lo
	s_and_saveexec_b32 s16, s4
	s_cbranch_execz .LBB9_396
; %bb.395:
	v_mov_b32_e32 v4, s5
	v_mov_b32_e32 v13, v5
	;; [unrolled: 1-line block ×5, first 2 shown]
	global_store_dwordx4 v[10:11], v[12:15], off offset:8
.LBB9_396:
	s_or_b32 exec_lo, exec_lo, s16
	s_lshl_b64 s[10:11], s[10:11], 12
	s_mov_b32 s16, 0
	v_add_co_u32 v0, vcc_lo, v8, s10
	v_add_co_ci_u32_e32 v1, vcc_lo, s11, v9, vcc_lo
	s_mov_b32 s17, s16
	s_mov_b32 s18, s16
	;; [unrolled: 1-line block ×3, first 2 shown]
	v_and_or_b32 v2, 0xffffff1d, v2, 34
	v_mov_b32_e32 v4, 10
	v_readfirstlane_b32 s10, v0
	v_readfirstlane_b32 s11, v1
	v_mov_b32_e32 v12, s16
	v_mov_b32_e32 v13, s17
	;; [unrolled: 1-line block ×4, first 2 shown]
	global_store_dwordx4 v68, v[2:5], s[10:11]
	global_store_dwordx4 v68, v[12:15], s[10:11] offset:16
	global_store_dwordx4 v68, v[12:15], s[10:11] offset:32
	;; [unrolled: 1-line block ×3, first 2 shown]
	s_and_saveexec_b32 s5, s4
	s_cbranch_execz .LBB9_404
; %bb.397:
	v_mov_b32_e32 v8, 0
	v_mov_b32_e32 v12, s6
	;; [unrolled: 1-line block ×3, first 2 shown]
	s_clause 0x1
	global_load_dwordx2 v[14:15], v8, s[40:41] offset:32 glc dlc
	global_load_dwordx2 v[0:1], v8, s[40:41] offset:40
	s_waitcnt vmcnt(0)
	v_readfirstlane_b32 s10, v0
	v_readfirstlane_b32 s11, v1
	s_and_b64 s[10:11], s[10:11], s[6:7]
	s_mul_i32 s11, s11, 24
	s_mul_hi_u32 s16, s10, 24
	s_mul_i32 s10, s10, 24
	s_add_i32 s16, s16, s11
	v_add_co_u32 v4, vcc_lo, v6, s10
	v_add_co_ci_u32_e32 v5, vcc_lo, s16, v7, vcc_lo
	s_mov_b32 s10, exec_lo
	global_store_dwordx2 v[4:5], v[14:15], off
	s_waitcnt_vscnt null, 0x0
	global_atomic_cmpswap_x2 v[2:3], v8, v[12:15], s[40:41] offset:32 glc
	s_waitcnt vmcnt(0)
	v_cmpx_ne_u64_e64 v[2:3], v[14:15]
	s_cbranch_execz .LBB9_400
; %bb.398:
	s_mov_b32 s11, 0
.LBB9_399:                              ; =>This Inner Loop Header: Depth=1
	v_mov_b32_e32 v0, s6
	v_mov_b32_e32 v1, s7
	s_sleep 1
	global_store_dwordx2 v[4:5], v[2:3], off
	s_waitcnt_vscnt null, 0x0
	global_atomic_cmpswap_x2 v[0:1], v8, v[0:3], s[40:41] offset:32 glc
	s_waitcnt vmcnt(0)
	v_cmp_eq_u64_e32 vcc_lo, v[0:1], v[2:3]
	v_mov_b32_e32 v3, v1
	v_mov_b32_e32 v2, v0
	s_or_b32 s11, vcc_lo, s11
	s_andn2_b32 exec_lo, exec_lo, s11
	s_cbranch_execnz .LBB9_399
.LBB9_400:
	s_or_b32 exec_lo, exec_lo, s10
	v_mov_b32_e32 v3, 0
	s_mov_b32 s11, exec_lo
	s_mov_b32 s10, exec_lo
	v_mbcnt_lo_u32_b32 v2, s11, 0
	global_load_dwordx2 v[0:1], v3, s[40:41] offset:16
	v_cmpx_eq_u32_e32 0, v2
	s_cbranch_execz .LBB9_402
; %bb.401:
	s_bcnt1_i32_b32 s11, s11
	v_mov_b32_e32 v2, s11
	s_waitcnt vmcnt(0)
	global_atomic_add_x2 v[0:1], v[2:3], off offset:8
.LBB9_402:
	s_or_b32 exec_lo, exec_lo, s10
	s_waitcnt vmcnt(0)
	global_load_dwordx2 v[2:3], v[0:1], off offset:16
	s_waitcnt vmcnt(0)
	v_cmp_eq_u64_e32 vcc_lo, 0, v[2:3]
	s_cbranch_vccnz .LBB9_404
; %bb.403:
	global_load_dword v0, v[0:1], off offset:24
	v_mov_b32_e32 v1, 0
	s_waitcnt vmcnt(0)
	v_and_b32_e32 v4, 0x7fffff, v0
	s_waitcnt_vscnt null, 0x0
	global_store_dwordx2 v[2:3], v[0:1], off
	v_readfirstlane_b32 m0, v4
	s_sendmsg sendmsg(MSG_INTERRUPT)
.LBB9_404:
	s_or_b32 exec_lo, exec_lo, s5
	s_branch .LBB9_408
	.p2align	6
.LBB9_405:                              ;   in Loop: Header=BB9_408 Depth=1
	s_or_b32 exec_lo, exec_lo, s5
	v_readfirstlane_b32 s5, v0
	s_cmp_eq_u32 s5, 0
	s_cbranch_scc1 .LBB9_407
; %bb.406:                              ;   in Loop: Header=BB9_408 Depth=1
	s_sleep 1
	s_cbranch_execnz .LBB9_408
	s_branch .LBB9_410
	.p2align	6
.LBB9_407:
	s_branch .LBB9_410
.LBB9_408:                              ; =>This Inner Loop Header: Depth=1
	v_mov_b32_e32 v0, 1
	s_and_saveexec_b32 s5, s4
	s_cbranch_execz .LBB9_405
; %bb.409:                              ;   in Loop: Header=BB9_408 Depth=1
	global_load_dword v0, v[10:11], off offset:20 glc dlc
	s_waitcnt vmcnt(0)
	buffer_gl1_inv
	buffer_gl0_inv
	v_and_b32_e32 v0, 1, v0
	s_branch .LBB9_405
.LBB9_410:
	s_and_saveexec_b32 s5, s4
	s_cbranch_execz .LBB9_414
; %bb.411:
	v_mov_b32_e32 v6, 0
	s_clause 0x2
	global_load_dwordx2 v[2:3], v6, s[40:41] offset:40
	global_load_dwordx2 v[7:8], v6, s[40:41] offset:24 glc dlc
	global_load_dwordx2 v[4:5], v6, s[40:41]
	s_waitcnt vmcnt(2)
	v_add_co_u32 v9, vcc_lo, v2, 1
	v_add_co_ci_u32_e32 v10, vcc_lo, 0, v3, vcc_lo
	v_add_co_u32 v0, vcc_lo, v9, s6
	v_add_co_ci_u32_e32 v1, vcc_lo, s7, v10, vcc_lo
	v_cmp_eq_u64_e32 vcc_lo, 0, v[0:1]
	v_cndmask_b32_e32 v1, v1, v10, vcc_lo
	v_cndmask_b32_e32 v0, v0, v9, vcc_lo
	v_and_b32_e32 v3, v1, v3
	v_and_b32_e32 v2, v0, v2
	v_mul_lo_u32 v3, v3, 24
	v_mul_hi_u32 v9, v2, 24
	v_mul_lo_u32 v2, v2, 24
	v_add_nc_u32_e32 v3, v9, v3
	s_waitcnt vmcnt(0)
	v_add_co_u32 v4, vcc_lo, v4, v2
	v_mov_b32_e32 v2, v7
	v_add_co_ci_u32_e32 v5, vcc_lo, v5, v3, vcc_lo
	v_mov_b32_e32 v3, v8
	global_store_dwordx2 v[4:5], v[7:8], off
	s_waitcnt_vscnt null, 0x0
	global_atomic_cmpswap_x2 v[2:3], v6, v[0:3], s[40:41] offset:24 glc
	s_waitcnt vmcnt(0)
	v_cmp_ne_u64_e32 vcc_lo, v[2:3], v[7:8]
	s_and_b32 exec_lo, exec_lo, vcc_lo
	s_cbranch_execz .LBB9_414
; %bb.412:
	s_mov_b32 s4, 0
.LBB9_413:                              ; =>This Inner Loop Header: Depth=1
	s_sleep 1
	global_store_dwordx2 v[4:5], v[2:3], off
	s_waitcnt_vscnt null, 0x0
	global_atomic_cmpswap_x2 v[7:8], v6, v[0:3], s[40:41] offset:24 glc
	s_waitcnt vmcnt(0)
	v_cmp_eq_u64_e32 vcc_lo, v[7:8], v[2:3]
	v_mov_b32_e32 v2, v7
	v_mov_b32_e32 v3, v8
	s_or_b32 s4, vcc_lo, s4
	s_andn2_b32 exec_lo, exec_lo, s4
	s_cbranch_execnz .LBB9_413
.LBB9_414:
	s_or_b32 exec_lo, exec_lo, s5
	v_readfirstlane_b32 s4, v69
	v_mov_b32_e32 v6, 0
	v_mov_b32_e32 v7, 0
	v_cmp_eq_u32_e64 s4, s4, v69
	s_and_saveexec_b32 s5, s4
	s_cbranch_execz .LBB9_420
; %bb.415:
	v_mov_b32_e32 v0, 0
	s_mov_b32 s6, exec_lo
	global_load_dwordx2 v[3:4], v0, s[40:41] offset:24 glc dlc
	s_waitcnt vmcnt(0)
	buffer_gl1_inv
	buffer_gl0_inv
	s_clause 0x1
	global_load_dwordx2 v[1:2], v0, s[40:41] offset:40
	global_load_dwordx2 v[5:6], v0, s[40:41]
	s_waitcnt vmcnt(1)
	v_and_b32_e32 v2, v2, v4
	v_and_b32_e32 v1, v1, v3
	v_mul_lo_u32 v2, v2, 24
	v_mul_hi_u32 v7, v1, 24
	v_mul_lo_u32 v1, v1, 24
	v_add_nc_u32_e32 v2, v7, v2
	s_waitcnt vmcnt(0)
	v_add_co_u32 v1, vcc_lo, v5, v1
	v_add_co_ci_u32_e32 v2, vcc_lo, v6, v2, vcc_lo
	global_load_dwordx2 v[1:2], v[1:2], off glc dlc
	s_waitcnt vmcnt(0)
	global_atomic_cmpswap_x2 v[6:7], v0, v[1:4], s[40:41] offset:24 glc
	s_waitcnt vmcnt(0)
	buffer_gl1_inv
	buffer_gl0_inv
	v_cmpx_ne_u64_e64 v[6:7], v[3:4]
	s_cbranch_execz .LBB9_419
; %bb.416:
	s_mov_b32 s7, 0
	.p2align	6
.LBB9_417:                              ; =>This Inner Loop Header: Depth=1
	s_sleep 1
	s_clause 0x1
	global_load_dwordx2 v[1:2], v0, s[40:41] offset:40
	global_load_dwordx2 v[8:9], v0, s[40:41]
	v_mov_b32_e32 v3, v6
	v_mov_b32_e32 v4, v7
	s_waitcnt vmcnt(1)
	v_and_b32_e32 v1, v1, v3
	v_and_b32_e32 v2, v2, v4
	s_waitcnt vmcnt(0)
	v_mad_u64_u32 v[5:6], null, v1, 24, v[8:9]
	v_mov_b32_e32 v1, v6
	v_mad_u64_u32 v[1:2], null, v2, 24, v[1:2]
	v_mov_b32_e32 v6, v1
	global_load_dwordx2 v[1:2], v[5:6], off glc dlc
	s_waitcnt vmcnt(0)
	global_atomic_cmpswap_x2 v[6:7], v0, v[1:4], s[40:41] offset:24 glc
	s_waitcnt vmcnt(0)
	buffer_gl1_inv
	buffer_gl0_inv
	v_cmp_eq_u64_e32 vcc_lo, v[6:7], v[3:4]
	s_or_b32 s7, vcc_lo, s7
	s_andn2_b32 exec_lo, exec_lo, s7
	s_cbranch_execnz .LBB9_417
; %bb.418:
	s_or_b32 exec_lo, exec_lo, s7
.LBB9_419:
	s_or_b32 exec_lo, exec_lo, s6
.LBB9_420:
	s_or_b32 exec_lo, exec_lo, s5
	v_mov_b32_e32 v5, 0
	v_readfirstlane_b32 s6, v6
	v_readfirstlane_b32 s7, v7
	s_mov_b32 s5, exec_lo
	s_clause 0x1
	global_load_dwordx2 v[8:9], v5, s[40:41] offset:40
	global_load_dwordx4 v[0:3], v5, s[40:41]
	s_waitcnt vmcnt(1)
	v_readfirstlane_b32 s10, v8
	v_readfirstlane_b32 s11, v9
	s_and_b64 s[10:11], s[6:7], s[10:11]
	s_mul_i32 s16, s11, 24
	s_mul_hi_u32 s17, s10, 24
	s_mul_i32 s18, s10, 24
	s_add_i32 s17, s17, s16
	s_waitcnt vmcnt(0)
	v_add_co_u32 v8, vcc_lo, v0, s18
	v_add_co_ci_u32_e32 v9, vcc_lo, s17, v1, vcc_lo
	s_and_saveexec_b32 s16, s4
	s_cbranch_execz .LBB9_422
; %bb.421:
	v_mov_b32_e32 v4, s5
	v_mov_b32_e32 v6, 2
	;; [unrolled: 1-line block ×3, first 2 shown]
	global_store_dwordx4 v[8:9], v[4:7], off offset:8
.LBB9_422:
	s_or_b32 exec_lo, exec_lo, s16
	s_lshl_b64 s[10:11], s[10:11], 12
	s_mov_b32 s16, 0
	v_add_co_u32 v2, vcc_lo, v2, s10
	v_add_co_ci_u32_e32 v3, vcc_lo, s11, v3, vcc_lo
	s_mov_b32 s17, s16
	v_add_co_u32 v10, vcc_lo, v2, v68
	s_mov_b32 s18, s16
	s_mov_b32 s19, s16
	v_mov_b32_e32 v4, 33
	v_mov_b32_e32 v6, v5
	;; [unrolled: 1-line block ×3, first 2 shown]
	v_readfirstlane_b32 s10, v2
	v_readfirstlane_b32 s11, v3
	v_mov_b32_e32 v12, s16
	v_add_co_ci_u32_e32 v11, vcc_lo, 0, v3, vcc_lo
	v_mov_b32_e32 v13, s17
	v_mov_b32_e32 v14, s18
	;; [unrolled: 1-line block ×3, first 2 shown]
	global_store_dwordx4 v68, v[4:7], s[10:11]
	global_store_dwordx4 v68, v[12:15], s[10:11] offset:16
	global_store_dwordx4 v68, v[12:15], s[10:11] offset:32
	global_store_dwordx4 v68, v[12:15], s[10:11] offset:48
	s_and_saveexec_b32 s5, s4
	s_cbranch_execz .LBB9_430
; %bb.423:
	v_mov_b32_e32 v6, 0
	v_mov_b32_e32 v12, s6
	;; [unrolled: 1-line block ×3, first 2 shown]
	s_clause 0x1
	global_load_dwordx2 v[14:15], v6, s[40:41] offset:32 glc dlc
	global_load_dwordx2 v[2:3], v6, s[40:41] offset:40
	s_waitcnt vmcnt(0)
	v_readfirstlane_b32 s10, v2
	v_readfirstlane_b32 s11, v3
	s_and_b64 s[10:11], s[10:11], s[6:7]
	s_mul_i32 s11, s11, 24
	s_mul_hi_u32 s16, s10, 24
	s_mul_i32 s10, s10, 24
	s_add_i32 s16, s16, s11
	v_add_co_u32 v4, vcc_lo, v0, s10
	v_add_co_ci_u32_e32 v5, vcc_lo, s16, v1, vcc_lo
	s_mov_b32 s10, exec_lo
	global_store_dwordx2 v[4:5], v[14:15], off
	s_waitcnt_vscnt null, 0x0
	global_atomic_cmpswap_x2 v[2:3], v6, v[12:15], s[40:41] offset:32 glc
	s_waitcnt vmcnt(0)
	v_cmpx_ne_u64_e64 v[2:3], v[14:15]
	s_cbranch_execz .LBB9_426
; %bb.424:
	s_mov_b32 s11, 0
.LBB9_425:                              ; =>This Inner Loop Header: Depth=1
	v_mov_b32_e32 v0, s6
	v_mov_b32_e32 v1, s7
	s_sleep 1
	global_store_dwordx2 v[4:5], v[2:3], off
	s_waitcnt_vscnt null, 0x0
	global_atomic_cmpswap_x2 v[0:1], v6, v[0:3], s[40:41] offset:32 glc
	s_waitcnt vmcnt(0)
	v_cmp_eq_u64_e32 vcc_lo, v[0:1], v[2:3]
	v_mov_b32_e32 v3, v1
	v_mov_b32_e32 v2, v0
	s_or_b32 s11, vcc_lo, s11
	s_andn2_b32 exec_lo, exec_lo, s11
	s_cbranch_execnz .LBB9_425
.LBB9_426:
	s_or_b32 exec_lo, exec_lo, s10
	v_mov_b32_e32 v3, 0
	s_mov_b32 s11, exec_lo
	s_mov_b32 s10, exec_lo
	v_mbcnt_lo_u32_b32 v2, s11, 0
	global_load_dwordx2 v[0:1], v3, s[40:41] offset:16
	v_cmpx_eq_u32_e32 0, v2
	s_cbranch_execz .LBB9_428
; %bb.427:
	s_bcnt1_i32_b32 s11, s11
	v_mov_b32_e32 v2, s11
	s_waitcnt vmcnt(0)
	global_atomic_add_x2 v[0:1], v[2:3], off offset:8
.LBB9_428:
	s_or_b32 exec_lo, exec_lo, s10
	s_waitcnt vmcnt(0)
	global_load_dwordx2 v[2:3], v[0:1], off offset:16
	s_waitcnt vmcnt(0)
	v_cmp_eq_u64_e32 vcc_lo, 0, v[2:3]
	s_cbranch_vccnz .LBB9_430
; %bb.429:
	global_load_dword v0, v[0:1], off offset:24
	v_mov_b32_e32 v1, 0
	s_waitcnt vmcnt(0)
	v_and_b32_e32 v4, 0x7fffff, v0
	s_waitcnt_vscnt null, 0x0
	global_store_dwordx2 v[2:3], v[0:1], off
	v_readfirstlane_b32 m0, v4
	s_sendmsg sendmsg(MSG_INTERRUPT)
.LBB9_430:
	s_or_b32 exec_lo, exec_lo, s5
	s_branch .LBB9_434
	.p2align	6
.LBB9_431:                              ;   in Loop: Header=BB9_434 Depth=1
	s_or_b32 exec_lo, exec_lo, s5
	v_readfirstlane_b32 s5, v0
	s_cmp_eq_u32 s5, 0
	s_cbranch_scc1 .LBB9_433
; %bb.432:                              ;   in Loop: Header=BB9_434 Depth=1
	s_sleep 1
	s_cbranch_execnz .LBB9_434
	s_branch .LBB9_436
	.p2align	6
.LBB9_433:
	s_branch .LBB9_436
.LBB9_434:                              ; =>This Inner Loop Header: Depth=1
	v_mov_b32_e32 v0, 1
	s_and_saveexec_b32 s5, s4
	s_cbranch_execz .LBB9_431
; %bb.435:                              ;   in Loop: Header=BB9_434 Depth=1
	global_load_dword v0, v[8:9], off offset:20 glc dlc
	s_waitcnt vmcnt(0)
	buffer_gl1_inv
	buffer_gl0_inv
	v_and_b32_e32 v0, 1, v0
	s_branch .LBB9_431
.LBB9_436:
	global_load_dwordx2 v[4:5], v[10:11], off
	s_and_saveexec_b32 s5, s4
	s_cbranch_execz .LBB9_440
; %bb.437:
	v_mov_b32_e32 v8, 0
	s_clause 0x2
	global_load_dwordx2 v[2:3], v8, s[40:41] offset:40
	global_load_dwordx2 v[9:10], v8, s[40:41] offset:24 glc dlc
	global_load_dwordx2 v[6:7], v8, s[40:41]
	s_waitcnt vmcnt(2)
	v_add_co_u32 v11, vcc_lo, v2, 1
	v_add_co_ci_u32_e32 v12, vcc_lo, 0, v3, vcc_lo
	v_add_co_u32 v0, vcc_lo, v11, s6
	v_add_co_ci_u32_e32 v1, vcc_lo, s7, v12, vcc_lo
	v_cmp_eq_u64_e32 vcc_lo, 0, v[0:1]
	v_cndmask_b32_e32 v1, v1, v12, vcc_lo
	v_cndmask_b32_e32 v0, v0, v11, vcc_lo
	v_and_b32_e32 v3, v1, v3
	v_and_b32_e32 v2, v0, v2
	v_mul_lo_u32 v3, v3, 24
	v_mul_hi_u32 v11, v2, 24
	v_mul_lo_u32 v2, v2, 24
	v_add_nc_u32_e32 v3, v11, v3
	s_waitcnt vmcnt(0)
	v_add_co_u32 v6, vcc_lo, v6, v2
	v_mov_b32_e32 v2, v9
	v_add_co_ci_u32_e32 v7, vcc_lo, v7, v3, vcc_lo
	v_mov_b32_e32 v3, v10
	global_store_dwordx2 v[6:7], v[9:10], off
	s_waitcnt_vscnt null, 0x0
	global_atomic_cmpswap_x2 v[2:3], v8, v[0:3], s[40:41] offset:24 glc
	s_waitcnt vmcnt(0)
	v_cmp_ne_u64_e32 vcc_lo, v[2:3], v[9:10]
	s_and_b32 exec_lo, exec_lo, vcc_lo
	s_cbranch_execz .LBB9_440
; %bb.438:
	s_mov_b32 s4, 0
.LBB9_439:                              ; =>This Inner Loop Header: Depth=1
	s_sleep 1
	global_store_dwordx2 v[6:7], v[2:3], off
	s_waitcnt_vscnt null, 0x0
	global_atomic_cmpswap_x2 v[9:10], v8, v[0:3], s[40:41] offset:24 glc
	s_waitcnt vmcnt(0)
	v_cmp_eq_u64_e32 vcc_lo, v[9:10], v[2:3]
	v_mov_b32_e32 v2, v9
	v_mov_b32_e32 v3, v10
	s_or_b32 s4, vcc_lo, s4
	s_andn2_b32 exec_lo, exec_lo, s4
	s_cbranch_execnz .LBB9_439
.LBB9_440:
	s_or_b32 exec_lo, exec_lo, s5
	s_and_b32 vcc_lo, exec_lo, s15
	s_cbranch_vccz .LBB9_519
; %bb.441:
	s_waitcnt vmcnt(0)
	v_and_b32_e32 v28, 2, v4
	v_mov_b32_e32 v7, 0
	v_and_b32_e32 v0, -3, v4
	v_mov_b32_e32 v1, v5
	v_mov_b32_e32 v8, 2
	;; [unrolled: 1-line block ×3, first 2 shown]
	s_mov_b64 s[10:11], 3
	s_getpc_b64 s[6:7]
	s_add_u32 s6, s6, .str.5@rel32@lo+4
	s_addc_u32 s7, s7, .str.5@rel32@hi+12
	s_branch .LBB9_443
.LBB9_442:                              ;   in Loop: Header=BB9_443 Depth=1
	s_or_b32 exec_lo, exec_lo, s5
	s_sub_u32 s10, s10, s16
	s_subb_u32 s11, s11, s17
	s_add_u32 s6, s6, s16
	s_addc_u32 s7, s7, s17
	s_cmp_lg_u64 s[10:11], 0
	s_cbranch_scc0 .LBB9_518
.LBB9_443:                              ; =>This Loop Header: Depth=1
                                        ;     Child Loop BB9_452 Depth 2
                                        ;     Child Loop BB9_448 Depth 2
                                        ;     Child Loop BB9_460 Depth 2
                                        ;     Child Loop BB9_467 Depth 2
                                        ;     Child Loop BB9_474 Depth 2
                                        ;     Child Loop BB9_481 Depth 2
                                        ;     Child Loop BB9_488 Depth 2
                                        ;     Child Loop BB9_495 Depth 2
                                        ;     Child Loop BB9_503 Depth 2
                                        ;     Child Loop BB9_512 Depth 2
                                        ;     Child Loop BB9_517 Depth 2
	v_cmp_lt_u64_e64 s4, s[10:11], 56
	v_cmp_gt_u64_e64 s5, s[10:11], 7
                                        ; implicit-def: $vgpr2_vgpr3
                                        ; implicit-def: $sgpr22
	s_and_b32 s4, s4, exec_lo
	s_cselect_b32 s17, s11, 0
	s_cselect_b32 s16, s10, 56
	s_and_b32 vcc_lo, exec_lo, s5
	s_mov_b32 s4, -1
	s_cbranch_vccz .LBB9_450
; %bb.444:                              ;   in Loop: Header=BB9_443 Depth=1
	s_andn2_b32 vcc_lo, exec_lo, s4
	s_mov_b64 s[4:5], s[6:7]
	s_cbranch_vccz .LBB9_454
.LBB9_445:                              ;   in Loop: Header=BB9_443 Depth=1
	s_cmp_gt_u32 s22, 7
	s_cbranch_scc1 .LBB9_455
.LBB9_446:                              ;   in Loop: Header=BB9_443 Depth=1
	v_mov_b32_e32 v10, 0
	v_mov_b32_e32 v11, 0
	s_cmp_eq_u32 s22, 0
	s_cbranch_scc1 .LBB9_449
; %bb.447:                              ;   in Loop: Header=BB9_443 Depth=1
	s_mov_b64 s[18:19], 0
	s_mov_b64 s[20:21], 0
.LBB9_448:                              ;   Parent Loop BB9_443 Depth=1
                                        ; =>  This Inner Loop Header: Depth=2
	s_add_u32 s24, s4, s20
	s_addc_u32 s25, s5, s21
	s_add_u32 s20, s20, 1
	global_load_ubyte v6, v7, s[24:25]
	s_addc_u32 s21, s21, 0
	s_waitcnt vmcnt(0)
	v_and_b32_e32 v6, 0xffff, v6
	v_lshlrev_b64 v[12:13], s18, v[6:7]
	s_add_u32 s18, s18, 8
	s_addc_u32 s19, s19, 0
	s_cmp_lg_u32 s22, s20
	v_or_b32_e32 v10, v12, v10
	v_or_b32_e32 v11, v13, v11
	s_cbranch_scc1 .LBB9_448
.LBB9_449:                              ;   in Loop: Header=BB9_443 Depth=1
	s_mov_b32 s23, 0
	s_cbranch_execz .LBB9_456
	s_branch .LBB9_457
.LBB9_450:                              ;   in Loop: Header=BB9_443 Depth=1
	s_waitcnt vmcnt(0)
	v_mov_b32_e32 v2, 0
	v_mov_b32_e32 v3, 0
	s_cmp_eq_u64 s[10:11], 0
	s_mov_b64 s[4:5], 0
	s_cbranch_scc1 .LBB9_453
; %bb.451:                              ;   in Loop: Header=BB9_443 Depth=1
	v_mov_b32_e32 v2, 0
	v_mov_b32_e32 v3, 0
	s_lshl_b64 s[18:19], s[16:17], 3
	s_mov_b64 s[20:21], s[6:7]
.LBB9_452:                              ;   Parent Loop BB9_443 Depth=1
                                        ; =>  This Inner Loop Header: Depth=2
	global_load_ubyte v6, v7, s[20:21]
	s_waitcnt vmcnt(0)
	v_and_b32_e32 v6, 0xffff, v6
	v_lshlrev_b64 v[10:11], s4, v[6:7]
	s_add_u32 s4, s4, 8
	s_addc_u32 s5, s5, 0
	s_add_u32 s20, s20, 1
	s_addc_u32 s21, s21, 0
	s_cmp_lg_u32 s18, s4
	v_or_b32_e32 v2, v10, v2
	v_or_b32_e32 v3, v11, v3
	s_cbranch_scc1 .LBB9_452
.LBB9_453:                              ;   in Loop: Header=BB9_443 Depth=1
	s_mov_b32 s22, 0
	s_mov_b64 s[4:5], s[6:7]
	s_cbranch_execnz .LBB9_445
.LBB9_454:                              ;   in Loop: Header=BB9_443 Depth=1
	global_load_dwordx2 v[2:3], v7, s[6:7]
	s_add_i32 s22, s16, -8
	s_add_u32 s4, s6, 8
	s_addc_u32 s5, s7, 0
	s_cmp_gt_u32 s22, 7
	s_cbranch_scc0 .LBB9_446
.LBB9_455:                              ;   in Loop: Header=BB9_443 Depth=1
                                        ; implicit-def: $vgpr10_vgpr11
                                        ; implicit-def: $sgpr23
.LBB9_456:                              ;   in Loop: Header=BB9_443 Depth=1
	global_load_dwordx2 v[10:11], v7, s[4:5]
	s_add_i32 s23, s22, -8
	s_add_u32 s4, s4, 8
	s_addc_u32 s5, s5, 0
.LBB9_457:                              ;   in Loop: Header=BB9_443 Depth=1
	s_cmp_gt_u32 s23, 7
	s_cbranch_scc1 .LBB9_462
; %bb.458:                              ;   in Loop: Header=BB9_443 Depth=1
	v_mov_b32_e32 v12, 0
	v_mov_b32_e32 v13, 0
	s_cmp_eq_u32 s23, 0
	s_cbranch_scc1 .LBB9_461
; %bb.459:                              ;   in Loop: Header=BB9_443 Depth=1
	s_mov_b64 s[18:19], 0
	s_mov_b64 s[20:21], 0
.LBB9_460:                              ;   Parent Loop BB9_443 Depth=1
                                        ; =>  This Inner Loop Header: Depth=2
	s_add_u32 s24, s4, s20
	s_addc_u32 s25, s5, s21
	s_add_u32 s20, s20, 1
	global_load_ubyte v6, v7, s[24:25]
	s_addc_u32 s21, s21, 0
	s_waitcnt vmcnt(0)
	v_and_b32_e32 v6, 0xffff, v6
	v_lshlrev_b64 v[14:15], s18, v[6:7]
	s_add_u32 s18, s18, 8
	s_addc_u32 s19, s19, 0
	s_cmp_lg_u32 s23, s20
	v_or_b32_e32 v12, v14, v12
	v_or_b32_e32 v13, v15, v13
	s_cbranch_scc1 .LBB9_460
.LBB9_461:                              ;   in Loop: Header=BB9_443 Depth=1
	s_mov_b32 s22, 0
	s_cbranch_execz .LBB9_463
	s_branch .LBB9_464
.LBB9_462:                              ;   in Loop: Header=BB9_443 Depth=1
                                        ; implicit-def: $sgpr22
.LBB9_463:                              ;   in Loop: Header=BB9_443 Depth=1
	global_load_dwordx2 v[12:13], v7, s[4:5]
	s_add_i32 s22, s23, -8
	s_add_u32 s4, s4, 8
	s_addc_u32 s5, s5, 0
.LBB9_464:                              ;   in Loop: Header=BB9_443 Depth=1
	s_cmp_gt_u32 s22, 7
	s_cbranch_scc1 .LBB9_469
; %bb.465:                              ;   in Loop: Header=BB9_443 Depth=1
	v_mov_b32_e32 v14, 0
	v_mov_b32_e32 v15, 0
	s_cmp_eq_u32 s22, 0
	s_cbranch_scc1 .LBB9_468
; %bb.466:                              ;   in Loop: Header=BB9_443 Depth=1
	s_mov_b64 s[18:19], 0
	s_mov_b64 s[20:21], 0
.LBB9_467:                              ;   Parent Loop BB9_443 Depth=1
                                        ; =>  This Inner Loop Header: Depth=2
	s_add_u32 s24, s4, s20
	s_addc_u32 s25, s5, s21
	s_add_u32 s20, s20, 1
	global_load_ubyte v6, v7, s[24:25]
	s_addc_u32 s21, s21, 0
	s_waitcnt vmcnt(0)
	v_and_b32_e32 v6, 0xffff, v6
	v_lshlrev_b64 v[16:17], s18, v[6:7]
	s_add_u32 s18, s18, 8
	s_addc_u32 s19, s19, 0
	s_cmp_lg_u32 s22, s20
	v_or_b32_e32 v14, v16, v14
	v_or_b32_e32 v15, v17, v15
	s_cbranch_scc1 .LBB9_467
.LBB9_468:                              ;   in Loop: Header=BB9_443 Depth=1
	s_mov_b32 s23, 0
	s_cbranch_execz .LBB9_470
	s_branch .LBB9_471
.LBB9_469:                              ;   in Loop: Header=BB9_443 Depth=1
                                        ; implicit-def: $vgpr14_vgpr15
                                        ; implicit-def: $sgpr23
.LBB9_470:                              ;   in Loop: Header=BB9_443 Depth=1
	global_load_dwordx2 v[14:15], v7, s[4:5]
	s_add_i32 s23, s22, -8
	s_add_u32 s4, s4, 8
	s_addc_u32 s5, s5, 0
.LBB9_471:                              ;   in Loop: Header=BB9_443 Depth=1
	s_cmp_gt_u32 s23, 7
	s_cbranch_scc1 .LBB9_476
; %bb.472:                              ;   in Loop: Header=BB9_443 Depth=1
	v_mov_b32_e32 v16, 0
	v_mov_b32_e32 v17, 0
	s_cmp_eq_u32 s23, 0
	s_cbranch_scc1 .LBB9_475
; %bb.473:                              ;   in Loop: Header=BB9_443 Depth=1
	s_mov_b64 s[18:19], 0
	s_mov_b64 s[20:21], 0
.LBB9_474:                              ;   Parent Loop BB9_443 Depth=1
                                        ; =>  This Inner Loop Header: Depth=2
	s_add_u32 s24, s4, s20
	s_addc_u32 s25, s5, s21
	s_add_u32 s20, s20, 1
	global_load_ubyte v6, v7, s[24:25]
	s_addc_u32 s21, s21, 0
	s_waitcnt vmcnt(0)
	v_and_b32_e32 v6, 0xffff, v6
	v_lshlrev_b64 v[18:19], s18, v[6:7]
	s_add_u32 s18, s18, 8
	s_addc_u32 s19, s19, 0
	s_cmp_lg_u32 s23, s20
	v_or_b32_e32 v16, v18, v16
	v_or_b32_e32 v17, v19, v17
	s_cbranch_scc1 .LBB9_474
.LBB9_475:                              ;   in Loop: Header=BB9_443 Depth=1
	s_mov_b32 s22, 0
	s_cbranch_execz .LBB9_477
	s_branch .LBB9_478
.LBB9_476:                              ;   in Loop: Header=BB9_443 Depth=1
                                        ; implicit-def: $sgpr22
.LBB9_477:                              ;   in Loop: Header=BB9_443 Depth=1
	global_load_dwordx2 v[16:17], v7, s[4:5]
	s_add_i32 s22, s23, -8
	s_add_u32 s4, s4, 8
	s_addc_u32 s5, s5, 0
.LBB9_478:                              ;   in Loop: Header=BB9_443 Depth=1
	s_cmp_gt_u32 s22, 7
	s_cbranch_scc1 .LBB9_483
; %bb.479:                              ;   in Loop: Header=BB9_443 Depth=1
	v_mov_b32_e32 v18, 0
	v_mov_b32_e32 v19, 0
	s_cmp_eq_u32 s22, 0
	s_cbranch_scc1 .LBB9_482
; %bb.480:                              ;   in Loop: Header=BB9_443 Depth=1
	s_mov_b64 s[18:19], 0
	s_mov_b64 s[20:21], 0
.LBB9_481:                              ;   Parent Loop BB9_443 Depth=1
                                        ; =>  This Inner Loop Header: Depth=2
	s_add_u32 s24, s4, s20
	s_addc_u32 s25, s5, s21
	s_add_u32 s20, s20, 1
	global_load_ubyte v6, v7, s[24:25]
	s_addc_u32 s21, s21, 0
	s_waitcnt vmcnt(0)
	v_and_b32_e32 v6, 0xffff, v6
	v_lshlrev_b64 v[20:21], s18, v[6:7]
	s_add_u32 s18, s18, 8
	s_addc_u32 s19, s19, 0
	s_cmp_lg_u32 s22, s20
	v_or_b32_e32 v18, v20, v18
	v_or_b32_e32 v19, v21, v19
	s_cbranch_scc1 .LBB9_481
.LBB9_482:                              ;   in Loop: Header=BB9_443 Depth=1
	s_mov_b32 s23, 0
	s_cbranch_execz .LBB9_484
	s_branch .LBB9_485
.LBB9_483:                              ;   in Loop: Header=BB9_443 Depth=1
                                        ; implicit-def: $vgpr18_vgpr19
                                        ; implicit-def: $sgpr23
.LBB9_484:                              ;   in Loop: Header=BB9_443 Depth=1
	global_load_dwordx2 v[18:19], v7, s[4:5]
	s_add_i32 s23, s22, -8
	s_add_u32 s4, s4, 8
	s_addc_u32 s5, s5, 0
.LBB9_485:                              ;   in Loop: Header=BB9_443 Depth=1
	s_cmp_gt_u32 s23, 7
	s_cbranch_scc1 .LBB9_490
; %bb.486:                              ;   in Loop: Header=BB9_443 Depth=1
	v_mov_b32_e32 v20, 0
	v_mov_b32_e32 v21, 0
	s_cmp_eq_u32 s23, 0
	s_cbranch_scc1 .LBB9_489
; %bb.487:                              ;   in Loop: Header=BB9_443 Depth=1
	s_mov_b64 s[18:19], 0
	s_mov_b64 s[20:21], s[4:5]
.LBB9_488:                              ;   Parent Loop BB9_443 Depth=1
                                        ; =>  This Inner Loop Header: Depth=2
	global_load_ubyte v6, v7, s[20:21]
	s_add_i32 s23, s23, -1
	s_waitcnt vmcnt(0)
	v_and_b32_e32 v6, 0xffff, v6
	v_lshlrev_b64 v[22:23], s18, v[6:7]
	s_add_u32 s18, s18, 8
	s_addc_u32 s19, s19, 0
	s_add_u32 s20, s20, 1
	s_addc_u32 s21, s21, 0
	s_cmp_lg_u32 s23, 0
	v_or_b32_e32 v20, v22, v20
	v_or_b32_e32 v21, v23, v21
	s_cbranch_scc1 .LBB9_488
.LBB9_489:                              ;   in Loop: Header=BB9_443 Depth=1
	s_cbranch_execz .LBB9_491
	s_branch .LBB9_492
.LBB9_490:                              ;   in Loop: Header=BB9_443 Depth=1
.LBB9_491:                              ;   in Loop: Header=BB9_443 Depth=1
	global_load_dwordx2 v[20:21], v7, s[4:5]
.LBB9_492:                              ;   in Loop: Header=BB9_443 Depth=1
	v_readfirstlane_b32 s4, v69
	v_mov_b32_e32 v26, 0
	v_mov_b32_e32 v27, 0
	v_cmp_eq_u32_e64 s4, s4, v69
	s_and_saveexec_b32 s5, s4
	s_cbranch_execz .LBB9_498
; %bb.493:                              ;   in Loop: Header=BB9_443 Depth=1
	global_load_dwordx2 v[24:25], v7, s[40:41] offset:24 glc dlc
	s_waitcnt vmcnt(0)
	buffer_gl1_inv
	buffer_gl0_inv
	s_clause 0x1
	global_load_dwordx2 v[22:23], v7, s[40:41] offset:40
	global_load_dwordx2 v[26:27], v7, s[40:41]
	s_mov_b32 s18, exec_lo
	s_waitcnt vmcnt(1)
	v_and_b32_e32 v6, v23, v25
	v_and_b32_e32 v22, v22, v24
	v_mul_lo_u32 v6, v6, 24
	v_mul_hi_u32 v23, v22, 24
	v_mul_lo_u32 v22, v22, 24
	v_add_nc_u32_e32 v6, v23, v6
	s_waitcnt vmcnt(0)
	v_add_co_u32 v22, vcc_lo, v26, v22
	v_add_co_ci_u32_e32 v23, vcc_lo, v27, v6, vcc_lo
	global_load_dwordx2 v[22:23], v[22:23], off glc dlc
	s_waitcnt vmcnt(0)
	global_atomic_cmpswap_x2 v[26:27], v7, v[22:25], s[40:41] offset:24 glc
	s_waitcnt vmcnt(0)
	buffer_gl1_inv
	buffer_gl0_inv
	v_cmpx_ne_u64_e64 v[26:27], v[24:25]
	s_cbranch_execz .LBB9_497
; %bb.494:                              ;   in Loop: Header=BB9_443 Depth=1
	s_mov_b32 s19, 0
	.p2align	6
.LBB9_495:                              ;   Parent Loop BB9_443 Depth=1
                                        ; =>  This Inner Loop Header: Depth=2
	s_sleep 1
	s_clause 0x1
	global_load_dwordx2 v[22:23], v7, s[40:41] offset:40
	global_load_dwordx2 v[29:30], v7, s[40:41]
	v_mov_b32_e32 v24, v26
	v_mov_b32_e32 v25, v27
	s_waitcnt vmcnt(1)
	v_and_b32_e32 v6, v22, v24
	v_and_b32_e32 v22, v23, v25
	s_waitcnt vmcnt(0)
	v_mad_u64_u32 v[26:27], null, v6, 24, v[29:30]
	v_mov_b32_e32 v6, v27
	v_mad_u64_u32 v[22:23], null, v22, 24, v[6:7]
	v_mov_b32_e32 v27, v22
	global_load_dwordx2 v[22:23], v[26:27], off glc dlc
	s_waitcnt vmcnt(0)
	global_atomic_cmpswap_x2 v[26:27], v7, v[22:25], s[40:41] offset:24 glc
	s_waitcnt vmcnt(0)
	buffer_gl1_inv
	buffer_gl0_inv
	v_cmp_eq_u64_e32 vcc_lo, v[26:27], v[24:25]
	s_or_b32 s19, vcc_lo, s19
	s_andn2_b32 exec_lo, exec_lo, s19
	s_cbranch_execnz .LBB9_495
; %bb.496:                              ;   in Loop: Header=BB9_443 Depth=1
	s_or_b32 exec_lo, exec_lo, s19
.LBB9_497:                              ;   in Loop: Header=BB9_443 Depth=1
	s_or_b32 exec_lo, exec_lo, s18
.LBB9_498:                              ;   in Loop: Header=BB9_443 Depth=1
	s_or_b32 exec_lo, exec_lo, s5
	s_clause 0x1
	global_load_dwordx2 v[29:30], v7, s[40:41] offset:40
	global_load_dwordx4 v[22:25], v7, s[40:41]
	v_readfirstlane_b32 s18, v26
	v_readfirstlane_b32 s19, v27
	s_mov_b32 s5, exec_lo
	s_waitcnt vmcnt(1)
	v_readfirstlane_b32 s20, v29
	v_readfirstlane_b32 s21, v30
	s_and_b64 s[20:21], s[18:19], s[20:21]
	s_mul_i32 s22, s21, 24
	s_mul_hi_u32 s23, s20, 24
	s_mul_i32 s24, s20, 24
	s_add_i32 s23, s23, s22
	s_waitcnt vmcnt(0)
	v_add_co_u32 v26, vcc_lo, v22, s24
	v_add_co_ci_u32_e32 v27, vcc_lo, s23, v23, vcc_lo
	s_and_saveexec_b32 s22, s4
	s_cbranch_execz .LBB9_500
; %bb.499:                              ;   in Loop: Header=BB9_443 Depth=1
	v_mov_b32_e32 v6, s5
	global_store_dwordx4 v[26:27], v[6:9], off offset:8
.LBB9_500:                              ;   in Loop: Header=BB9_443 Depth=1
	s_or_b32 exec_lo, exec_lo, s22
	s_lshl_b64 s[20:21], s[20:21], 12
	v_cmp_gt_u64_e64 vcc_lo, s[10:11], 56
	v_or_b32_e32 v29, v0, v28
	v_add_co_u32 v24, s5, v24, s20
	v_add_co_ci_u32_e64 v25, s5, s21, v25, s5
	s_lshl_b32 s5, s16, 2
	v_or_b32_e32 v6, 0, v1
	v_cndmask_b32_e32 v0, v29, v0, vcc_lo
	s_add_i32 s5, s5, 28
	v_readfirstlane_b32 s20, v24
	s_and_b32 s5, s5, 0x1e0
	v_cndmask_b32_e32 v1, v6, v1, vcc_lo
	v_readfirstlane_b32 s21, v25
	v_and_or_b32 v0, 0xffffff1f, v0, s5
	global_store_dwordx4 v68, v[0:3], s[20:21]
	global_store_dwordx4 v68, v[10:13], s[20:21] offset:16
	global_store_dwordx4 v68, v[14:17], s[20:21] offset:32
	;; [unrolled: 1-line block ×3, first 2 shown]
	s_and_saveexec_b32 s5, s4
	s_cbranch_execz .LBB9_508
; %bb.501:                              ;   in Loop: Header=BB9_443 Depth=1
	s_clause 0x1
	global_load_dwordx2 v[14:15], v7, s[40:41] offset:32 glc dlc
	global_load_dwordx2 v[0:1], v7, s[40:41] offset:40
	v_mov_b32_e32 v12, s18
	v_mov_b32_e32 v13, s19
	s_waitcnt vmcnt(0)
	v_readfirstlane_b32 s20, v0
	v_readfirstlane_b32 s21, v1
	s_and_b64 s[20:21], s[20:21], s[18:19]
	s_mul_i32 s21, s21, 24
	s_mul_hi_u32 s22, s20, 24
	s_mul_i32 s20, s20, 24
	s_add_i32 s22, s22, s21
	v_add_co_u32 v10, vcc_lo, v22, s20
	v_add_co_ci_u32_e32 v11, vcc_lo, s22, v23, vcc_lo
	s_mov_b32 s20, exec_lo
	global_store_dwordx2 v[10:11], v[14:15], off
	s_waitcnt_vscnt null, 0x0
	global_atomic_cmpswap_x2 v[2:3], v7, v[12:15], s[40:41] offset:32 glc
	s_waitcnt vmcnt(0)
	v_cmpx_ne_u64_e64 v[2:3], v[14:15]
	s_cbranch_execz .LBB9_504
; %bb.502:                              ;   in Loop: Header=BB9_443 Depth=1
	s_mov_b32 s21, 0
.LBB9_503:                              ;   Parent Loop BB9_443 Depth=1
                                        ; =>  This Inner Loop Header: Depth=2
	v_mov_b32_e32 v0, s18
	v_mov_b32_e32 v1, s19
	s_sleep 1
	global_store_dwordx2 v[10:11], v[2:3], off
	s_waitcnt_vscnt null, 0x0
	global_atomic_cmpswap_x2 v[0:1], v7, v[0:3], s[40:41] offset:32 glc
	s_waitcnt vmcnt(0)
	v_cmp_eq_u64_e32 vcc_lo, v[0:1], v[2:3]
	v_mov_b32_e32 v3, v1
	v_mov_b32_e32 v2, v0
	s_or_b32 s21, vcc_lo, s21
	s_andn2_b32 exec_lo, exec_lo, s21
	s_cbranch_execnz .LBB9_503
.LBB9_504:                              ;   in Loop: Header=BB9_443 Depth=1
	s_or_b32 exec_lo, exec_lo, s20
	global_load_dwordx2 v[0:1], v7, s[40:41] offset:16
	s_mov_b32 s21, exec_lo
	s_mov_b32 s20, exec_lo
	v_mbcnt_lo_u32_b32 v2, s21, 0
	v_cmpx_eq_u32_e32 0, v2
	s_cbranch_execz .LBB9_506
; %bb.505:                              ;   in Loop: Header=BB9_443 Depth=1
	s_bcnt1_i32_b32 s21, s21
	v_mov_b32_e32 v6, s21
	s_waitcnt vmcnt(0)
	global_atomic_add_x2 v[0:1], v[6:7], off offset:8
.LBB9_506:                              ;   in Loop: Header=BB9_443 Depth=1
	s_or_b32 exec_lo, exec_lo, s20
	s_waitcnt vmcnt(0)
	global_load_dwordx2 v[2:3], v[0:1], off offset:16
	s_waitcnt vmcnt(0)
	v_cmp_eq_u64_e32 vcc_lo, 0, v[2:3]
	s_cbranch_vccnz .LBB9_508
; %bb.507:                              ;   in Loop: Header=BB9_443 Depth=1
	global_load_dword v6, v[0:1], off offset:24
	s_waitcnt vmcnt(0)
	v_and_b32_e32 v0, 0x7fffff, v6
	s_waitcnt_vscnt null, 0x0
	global_store_dwordx2 v[2:3], v[6:7], off
	v_readfirstlane_b32 m0, v0
	s_sendmsg sendmsg(MSG_INTERRUPT)
.LBB9_508:                              ;   in Loop: Header=BB9_443 Depth=1
	s_or_b32 exec_lo, exec_lo, s5
	v_add_co_u32 v0, vcc_lo, v24, v68
	v_add_co_ci_u32_e32 v1, vcc_lo, 0, v25, vcc_lo
	s_branch .LBB9_512
	.p2align	6
.LBB9_509:                              ;   in Loop: Header=BB9_512 Depth=2
	s_or_b32 exec_lo, exec_lo, s5
	v_readfirstlane_b32 s5, v2
	s_cmp_eq_u32 s5, 0
	s_cbranch_scc1 .LBB9_511
; %bb.510:                              ;   in Loop: Header=BB9_512 Depth=2
	s_sleep 1
	s_cbranch_execnz .LBB9_512
	s_branch .LBB9_514
	.p2align	6
.LBB9_511:                              ;   in Loop: Header=BB9_443 Depth=1
	s_branch .LBB9_514
.LBB9_512:                              ;   Parent Loop BB9_443 Depth=1
                                        ; =>  This Inner Loop Header: Depth=2
	v_mov_b32_e32 v2, 1
	s_and_saveexec_b32 s5, s4
	s_cbranch_execz .LBB9_509
; %bb.513:                              ;   in Loop: Header=BB9_512 Depth=2
	global_load_dword v2, v[26:27], off offset:20 glc dlc
	s_waitcnt vmcnt(0)
	buffer_gl1_inv
	buffer_gl0_inv
	v_and_b32_e32 v2, 1, v2
	s_branch .LBB9_509
.LBB9_514:                              ;   in Loop: Header=BB9_443 Depth=1
	global_load_dwordx4 v[0:3], v[0:1], off
	s_and_saveexec_b32 s5, s4
	s_cbranch_execz .LBB9_442
; %bb.515:                              ;   in Loop: Header=BB9_443 Depth=1
	s_clause 0x2
	global_load_dwordx2 v[2:3], v7, s[40:41] offset:40
	global_load_dwordx2 v[14:15], v7, s[40:41] offset:24 glc dlc
	global_load_dwordx2 v[12:13], v7, s[40:41]
	s_waitcnt vmcnt(2)
	v_add_co_u32 v6, vcc_lo, v2, 1
	v_add_co_ci_u32_e32 v16, vcc_lo, 0, v3, vcc_lo
	v_add_co_u32 v10, vcc_lo, v6, s18
	v_add_co_ci_u32_e32 v11, vcc_lo, s19, v16, vcc_lo
	v_cmp_eq_u64_e32 vcc_lo, 0, v[10:11]
	v_cndmask_b32_e32 v11, v11, v16, vcc_lo
	v_cndmask_b32_e32 v10, v10, v6, vcc_lo
	v_and_b32_e32 v3, v11, v3
	v_and_b32_e32 v2, v10, v2
	v_mul_lo_u32 v3, v3, 24
	v_mul_hi_u32 v6, v2, 24
	v_mul_lo_u32 v2, v2, 24
	v_add_nc_u32_e32 v3, v6, v3
	s_waitcnt vmcnt(0)
	v_add_co_u32 v2, vcc_lo, v12, v2
	v_mov_b32_e32 v12, v14
	v_add_co_ci_u32_e32 v3, vcc_lo, v13, v3, vcc_lo
	v_mov_b32_e32 v13, v15
	global_store_dwordx2 v[2:3], v[14:15], off
	s_waitcnt_vscnt null, 0x0
	global_atomic_cmpswap_x2 v[12:13], v7, v[10:13], s[40:41] offset:24 glc
	s_waitcnt vmcnt(0)
	v_cmp_ne_u64_e32 vcc_lo, v[12:13], v[14:15]
	s_and_b32 exec_lo, exec_lo, vcc_lo
	s_cbranch_execz .LBB9_442
; %bb.516:                              ;   in Loop: Header=BB9_443 Depth=1
	s_mov_b32 s4, 0
.LBB9_517:                              ;   Parent Loop BB9_443 Depth=1
                                        ; =>  This Inner Loop Header: Depth=2
	s_sleep 1
	global_store_dwordx2 v[2:3], v[12:13], off
	s_waitcnt_vscnt null, 0x0
	global_atomic_cmpswap_x2 v[14:15], v7, v[10:13], s[40:41] offset:24 glc
	s_waitcnt vmcnt(0)
	v_cmp_eq_u64_e32 vcc_lo, v[14:15], v[12:13]
	v_mov_b32_e32 v12, v14
	v_mov_b32_e32 v13, v15
	s_or_b32 s4, vcc_lo, s4
	s_andn2_b32 exec_lo, exec_lo, s4
	s_cbranch_execnz .LBB9_517
	s_branch .LBB9_442
.LBB9_518:
	s_branch .LBB9_547
.LBB9_519:
                                        ; implicit-def: $vgpr0_vgpr1
	s_cbranch_execz .LBB9_547
; %bb.520:
	v_readfirstlane_b32 s4, v69
	v_mov_b32_e32 v7, 0
	v_mov_b32_e32 v8, 0
	v_cmp_eq_u32_e64 s4, s4, v69
	s_and_saveexec_b32 s5, s4
	s_cbranch_execz .LBB9_526
; %bb.521:
	s_waitcnt vmcnt(0)
	v_mov_b32_e32 v0, 0
	s_mov_b32 s6, exec_lo
	global_load_dwordx2 v[9:10], v0, s[40:41] offset:24 glc dlc
	s_waitcnt vmcnt(0)
	buffer_gl1_inv
	buffer_gl0_inv
	s_clause 0x1
	global_load_dwordx2 v[1:2], v0, s[40:41] offset:40
	global_load_dwordx2 v[6:7], v0, s[40:41]
	s_waitcnt vmcnt(1)
	v_and_b32_e32 v2, v2, v10
	v_and_b32_e32 v1, v1, v9
	v_mul_lo_u32 v2, v2, 24
	v_mul_hi_u32 v3, v1, 24
	v_mul_lo_u32 v1, v1, 24
	v_add_nc_u32_e32 v2, v3, v2
	s_waitcnt vmcnt(0)
	v_add_co_u32 v1, vcc_lo, v6, v1
	v_add_co_ci_u32_e32 v2, vcc_lo, v7, v2, vcc_lo
	global_load_dwordx2 v[7:8], v[1:2], off glc dlc
	s_waitcnt vmcnt(0)
	global_atomic_cmpswap_x2 v[7:8], v0, v[7:10], s[40:41] offset:24 glc
	s_waitcnt vmcnt(0)
	buffer_gl1_inv
	buffer_gl0_inv
	v_cmpx_ne_u64_e64 v[7:8], v[9:10]
	s_cbranch_execz .LBB9_525
; %bb.522:
	s_mov_b32 s7, 0
	.p2align	6
.LBB9_523:                              ; =>This Inner Loop Header: Depth=1
	s_sleep 1
	s_clause 0x1
	global_load_dwordx2 v[1:2], v0, s[40:41] offset:40
	global_load_dwordx2 v[11:12], v0, s[40:41]
	v_mov_b32_e32 v10, v8
	v_mov_b32_e32 v9, v7
	s_waitcnt vmcnt(1)
	v_and_b32_e32 v1, v1, v9
	v_and_b32_e32 v2, v2, v10
	s_waitcnt vmcnt(0)
	v_mad_u64_u32 v[6:7], null, v1, 24, v[11:12]
	v_mov_b32_e32 v1, v7
	v_mad_u64_u32 v[1:2], null, v2, 24, v[1:2]
	v_mov_b32_e32 v7, v1
	global_load_dwordx2 v[7:8], v[6:7], off glc dlc
	s_waitcnt vmcnt(0)
	global_atomic_cmpswap_x2 v[7:8], v0, v[7:10], s[40:41] offset:24 glc
	s_waitcnt vmcnt(0)
	buffer_gl1_inv
	buffer_gl0_inv
	v_cmp_eq_u64_e32 vcc_lo, v[7:8], v[9:10]
	s_or_b32 s7, vcc_lo, s7
	s_andn2_b32 exec_lo, exec_lo, s7
	s_cbranch_execnz .LBB9_523
; %bb.524:
	s_or_b32 exec_lo, exec_lo, s7
.LBB9_525:
	s_or_b32 exec_lo, exec_lo, s6
.LBB9_526:
	s_or_b32 exec_lo, exec_lo, s5
	v_mov_b32_e32 v6, 0
	v_readfirstlane_b32 s6, v7
	v_readfirstlane_b32 s7, v8
	s_mov_b32 s5, exec_lo
	s_clause 0x1
	global_load_dwordx2 v[9:10], v6, s[40:41] offset:40
	global_load_dwordx4 v[0:3], v6, s[40:41]
	s_waitcnt vmcnt(1)
	v_readfirstlane_b32 s10, v9
	v_readfirstlane_b32 s11, v10
	s_and_b64 s[10:11], s[6:7], s[10:11]
	s_mul_i32 s16, s11, 24
	s_mul_hi_u32 s17, s10, 24
	s_mul_i32 s18, s10, 24
	s_add_i32 s17, s17, s16
	s_waitcnt vmcnt(0)
	v_add_co_u32 v8, vcc_lo, v0, s18
	v_add_co_ci_u32_e32 v9, vcc_lo, s17, v1, vcc_lo
	s_and_saveexec_b32 s16, s4
	s_cbranch_execz .LBB9_528
; %bb.527:
	v_mov_b32_e32 v10, s5
	v_mov_b32_e32 v11, v6
	;; [unrolled: 1-line block ×4, first 2 shown]
	global_store_dwordx4 v[8:9], v[10:13], off offset:8
.LBB9_528:
	s_or_b32 exec_lo, exec_lo, s16
	s_lshl_b64 s[10:11], s[10:11], 12
	s_mov_b32 s16, 0
	v_add_co_u32 v2, vcc_lo, v2, s10
	v_add_co_ci_u32_e32 v3, vcc_lo, s11, v3, vcc_lo
	s_mov_b32 s17, s16
	v_add_co_u32 v10, vcc_lo, v2, v68
	s_mov_b32 s18, s16
	s_mov_b32 s19, s16
	v_and_or_b32 v4, 0xffffff1f, v4, 32
	v_mov_b32_e32 v7, v6
	v_readfirstlane_b32 s10, v2
	v_readfirstlane_b32 s11, v3
	v_mov_b32_e32 v12, s16
	v_add_co_ci_u32_e32 v11, vcc_lo, 0, v3, vcc_lo
	v_mov_b32_e32 v13, s17
	v_mov_b32_e32 v14, s18
	v_mov_b32_e32 v15, s19
	global_store_dwordx4 v68, v[4:7], s[10:11]
	global_store_dwordx4 v68, v[12:15], s[10:11] offset:16
	global_store_dwordx4 v68, v[12:15], s[10:11] offset:32
	;; [unrolled: 1-line block ×3, first 2 shown]
	s_and_saveexec_b32 s5, s4
	s_cbranch_execz .LBB9_536
; %bb.529:
	v_mov_b32_e32 v6, 0
	v_mov_b32_e32 v12, s6
	;; [unrolled: 1-line block ×3, first 2 shown]
	s_clause 0x1
	global_load_dwordx2 v[14:15], v6, s[40:41] offset:32 glc dlc
	global_load_dwordx2 v[2:3], v6, s[40:41] offset:40
	s_waitcnt vmcnt(0)
	v_readfirstlane_b32 s10, v2
	v_readfirstlane_b32 s11, v3
	s_and_b64 s[10:11], s[10:11], s[6:7]
	s_mul_i32 s11, s11, 24
	s_mul_hi_u32 s16, s10, 24
	s_mul_i32 s10, s10, 24
	s_add_i32 s16, s16, s11
	v_add_co_u32 v4, vcc_lo, v0, s10
	v_add_co_ci_u32_e32 v5, vcc_lo, s16, v1, vcc_lo
	s_mov_b32 s10, exec_lo
	global_store_dwordx2 v[4:5], v[14:15], off
	s_waitcnt_vscnt null, 0x0
	global_atomic_cmpswap_x2 v[2:3], v6, v[12:15], s[40:41] offset:32 glc
	s_waitcnt vmcnt(0)
	v_cmpx_ne_u64_e64 v[2:3], v[14:15]
	s_cbranch_execz .LBB9_532
; %bb.530:
	s_mov_b32 s11, 0
.LBB9_531:                              ; =>This Inner Loop Header: Depth=1
	v_mov_b32_e32 v0, s6
	v_mov_b32_e32 v1, s7
	s_sleep 1
	global_store_dwordx2 v[4:5], v[2:3], off
	s_waitcnt_vscnt null, 0x0
	global_atomic_cmpswap_x2 v[0:1], v6, v[0:3], s[40:41] offset:32 glc
	s_waitcnt vmcnt(0)
	v_cmp_eq_u64_e32 vcc_lo, v[0:1], v[2:3]
	v_mov_b32_e32 v3, v1
	v_mov_b32_e32 v2, v0
	s_or_b32 s11, vcc_lo, s11
	s_andn2_b32 exec_lo, exec_lo, s11
	s_cbranch_execnz .LBB9_531
.LBB9_532:
	s_or_b32 exec_lo, exec_lo, s10
	v_mov_b32_e32 v3, 0
	s_mov_b32 s11, exec_lo
	s_mov_b32 s10, exec_lo
	v_mbcnt_lo_u32_b32 v2, s11, 0
	global_load_dwordx2 v[0:1], v3, s[40:41] offset:16
	v_cmpx_eq_u32_e32 0, v2
	s_cbranch_execz .LBB9_534
; %bb.533:
	s_bcnt1_i32_b32 s11, s11
	v_mov_b32_e32 v2, s11
	s_waitcnt vmcnt(0)
	global_atomic_add_x2 v[0:1], v[2:3], off offset:8
.LBB9_534:
	s_or_b32 exec_lo, exec_lo, s10
	s_waitcnt vmcnt(0)
	global_load_dwordx2 v[2:3], v[0:1], off offset:16
	s_waitcnt vmcnt(0)
	v_cmp_eq_u64_e32 vcc_lo, 0, v[2:3]
	s_cbranch_vccnz .LBB9_536
; %bb.535:
	global_load_dword v0, v[0:1], off offset:24
	v_mov_b32_e32 v1, 0
	s_waitcnt vmcnt(0)
	v_and_b32_e32 v4, 0x7fffff, v0
	s_waitcnt_vscnt null, 0x0
	global_store_dwordx2 v[2:3], v[0:1], off
	v_readfirstlane_b32 m0, v4
	s_sendmsg sendmsg(MSG_INTERRUPT)
.LBB9_536:
	s_or_b32 exec_lo, exec_lo, s5
	s_branch .LBB9_540
	.p2align	6
.LBB9_537:                              ;   in Loop: Header=BB9_540 Depth=1
	s_or_b32 exec_lo, exec_lo, s5
	v_readfirstlane_b32 s5, v0
	s_cmp_eq_u32 s5, 0
	s_cbranch_scc1 .LBB9_539
; %bb.538:                              ;   in Loop: Header=BB9_540 Depth=1
	s_sleep 1
	s_cbranch_execnz .LBB9_540
	s_branch .LBB9_542
	.p2align	6
.LBB9_539:
	s_branch .LBB9_542
.LBB9_540:                              ; =>This Inner Loop Header: Depth=1
	v_mov_b32_e32 v0, 1
	s_and_saveexec_b32 s5, s4
	s_cbranch_execz .LBB9_537
; %bb.541:                              ;   in Loop: Header=BB9_540 Depth=1
	global_load_dword v0, v[8:9], off offset:20 glc dlc
	s_waitcnt vmcnt(0)
	buffer_gl1_inv
	buffer_gl0_inv
	v_and_b32_e32 v0, 1, v0
	s_branch .LBB9_537
.LBB9_542:
	global_load_dwordx2 v[0:1], v[10:11], off
	s_and_saveexec_b32 s5, s4
	s_cbranch_execz .LBB9_546
; %bb.543:
	v_mov_b32_e32 v8, 0
	s_clause 0x2
	global_load_dwordx2 v[4:5], v8, s[40:41] offset:40
	global_load_dwordx2 v[9:10], v8, s[40:41] offset:24 glc dlc
	global_load_dwordx2 v[6:7], v8, s[40:41]
	s_waitcnt vmcnt(2)
	v_add_co_u32 v11, vcc_lo, v4, 1
	v_add_co_ci_u32_e32 v12, vcc_lo, 0, v5, vcc_lo
	v_add_co_u32 v2, vcc_lo, v11, s6
	v_add_co_ci_u32_e32 v3, vcc_lo, s7, v12, vcc_lo
	v_cmp_eq_u64_e32 vcc_lo, 0, v[2:3]
	v_cndmask_b32_e32 v3, v3, v12, vcc_lo
	v_cndmask_b32_e32 v2, v2, v11, vcc_lo
	v_and_b32_e32 v5, v3, v5
	v_and_b32_e32 v4, v2, v4
	v_mul_lo_u32 v5, v5, 24
	v_mul_hi_u32 v11, v4, 24
	v_mul_lo_u32 v4, v4, 24
	v_add_nc_u32_e32 v5, v11, v5
	s_waitcnt vmcnt(0)
	v_add_co_u32 v6, vcc_lo, v6, v4
	v_mov_b32_e32 v4, v9
	v_add_co_ci_u32_e32 v7, vcc_lo, v7, v5, vcc_lo
	v_mov_b32_e32 v5, v10
	global_store_dwordx2 v[6:7], v[9:10], off
	s_waitcnt_vscnt null, 0x0
	global_atomic_cmpswap_x2 v[4:5], v8, v[2:5], s[40:41] offset:24 glc
	s_waitcnt vmcnt(0)
	v_cmp_ne_u64_e32 vcc_lo, v[4:5], v[9:10]
	s_and_b32 exec_lo, exec_lo, vcc_lo
	s_cbranch_execz .LBB9_546
; %bb.544:
	s_mov_b32 s4, 0
.LBB9_545:                              ; =>This Inner Loop Header: Depth=1
	s_sleep 1
	global_store_dwordx2 v[6:7], v[4:5], off
	s_waitcnt_vscnt null, 0x0
	global_atomic_cmpswap_x2 v[9:10], v8, v[2:5], s[40:41] offset:24 glc
	s_waitcnt vmcnt(0)
	v_cmp_eq_u64_e32 vcc_lo, v[9:10], v[4:5]
	v_mov_b32_e32 v4, v9
	v_mov_b32_e32 v5, v10
	s_or_b32 s4, vcc_lo, s4
	s_andn2_b32 exec_lo, exec_lo, s4
	s_cbranch_execnz .LBB9_545
.LBB9_546:
	s_or_b32 exec_lo, exec_lo, s5
.LBB9_547:
	s_getpc_b64 s[6:7]
	s_add_u32 s6, s6, .str.1@rel32@lo+4
	s_addc_u32 s7, s7, .str.1@rel32@hi+12
	s_cmp_lg_u64 s[6:7], 0
	s_cbranch_scc0 .LBB9_626
; %bb.548:
	s_waitcnt vmcnt(0)
	v_and_b32_e32 v6, -3, v0
	v_mov_b32_e32 v7, v1
	v_mov_b32_e32 v3, 0
	;; [unrolled: 1-line block ×4, first 2 shown]
	s_mov_b64 s[10:11], 0x53
	s_branch .LBB9_550
.LBB9_549:                              ;   in Loop: Header=BB9_550 Depth=1
	s_or_b32 exec_lo, exec_lo, s5
	s_sub_u32 s10, s10, s16
	s_subb_u32 s11, s11, s17
	s_add_u32 s6, s6, s16
	s_addc_u32 s7, s7, s17
	s_cmp_lg_u64 s[10:11], 0
	s_cbranch_scc0 .LBB9_625
.LBB9_550:                              ; =>This Loop Header: Depth=1
                                        ;     Child Loop BB9_559 Depth 2
                                        ;     Child Loop BB9_555 Depth 2
	;; [unrolled: 1-line block ×11, first 2 shown]
	v_cmp_lt_u64_e64 s4, s[10:11], 56
	v_cmp_gt_u64_e64 s5, s[10:11], 7
                                        ; implicit-def: $sgpr22
	s_and_b32 s4, s4, exec_lo
	s_cselect_b32 s17, s11, 0
	s_cselect_b32 s16, s10, 56
	s_and_b32 vcc_lo, exec_lo, s5
	s_mov_b32 s4, -1
	s_cbranch_vccz .LBB9_557
; %bb.551:                              ;   in Loop: Header=BB9_550 Depth=1
	s_andn2_b32 vcc_lo, exec_lo, s4
	s_mov_b64 s[4:5], s[6:7]
	s_cbranch_vccz .LBB9_561
.LBB9_552:                              ;   in Loop: Header=BB9_550 Depth=1
	s_cmp_gt_u32 s22, 7
	s_cbranch_scc1 .LBB9_562
.LBB9_553:                              ;   in Loop: Header=BB9_550 Depth=1
	v_mov_b32_e32 v10, 0
	v_mov_b32_e32 v11, 0
	s_cmp_eq_u32 s22, 0
	s_cbranch_scc1 .LBB9_556
; %bb.554:                              ;   in Loop: Header=BB9_550 Depth=1
	s_mov_b64 s[18:19], 0
	s_mov_b64 s[20:21], 0
.LBB9_555:                              ;   Parent Loop BB9_550 Depth=1
                                        ; =>  This Inner Loop Header: Depth=2
	s_add_u32 s24, s4, s20
	s_addc_u32 s25, s5, s21
	s_add_u32 s20, s20, 1
	global_load_ubyte v2, v3, s[24:25]
	s_addc_u32 s21, s21, 0
	s_waitcnt vmcnt(0)
	v_and_b32_e32 v2, 0xffff, v2
	v_lshlrev_b64 v[12:13], s18, v[2:3]
	s_add_u32 s18, s18, 8
	s_addc_u32 s19, s19, 0
	s_cmp_lg_u32 s22, s20
	v_or_b32_e32 v10, v12, v10
	v_or_b32_e32 v11, v13, v11
	s_cbranch_scc1 .LBB9_555
.LBB9_556:                              ;   in Loop: Header=BB9_550 Depth=1
	s_mov_b32 s23, 0
	s_cbranch_execz .LBB9_563
	s_branch .LBB9_564
.LBB9_557:                              ;   in Loop: Header=BB9_550 Depth=1
	s_waitcnt vmcnt(0)
	v_mov_b32_e32 v8, 0
	v_mov_b32_e32 v9, 0
	s_cmp_eq_u64 s[10:11], 0
	s_mov_b64 s[4:5], 0
	s_cbranch_scc1 .LBB9_560
; %bb.558:                              ;   in Loop: Header=BB9_550 Depth=1
	v_mov_b32_e32 v8, 0
	v_mov_b32_e32 v9, 0
	s_lshl_b64 s[18:19], s[16:17], 3
	s_mov_b64 s[20:21], s[6:7]
.LBB9_559:                              ;   Parent Loop BB9_550 Depth=1
                                        ; =>  This Inner Loop Header: Depth=2
	global_load_ubyte v2, v3, s[20:21]
	s_waitcnt vmcnt(0)
	v_and_b32_e32 v2, 0xffff, v2
	v_lshlrev_b64 v[10:11], s4, v[2:3]
	s_add_u32 s4, s4, 8
	s_addc_u32 s5, s5, 0
	s_add_u32 s20, s20, 1
	s_addc_u32 s21, s21, 0
	s_cmp_lg_u32 s18, s4
	v_or_b32_e32 v8, v10, v8
	v_or_b32_e32 v9, v11, v9
	s_cbranch_scc1 .LBB9_559
.LBB9_560:                              ;   in Loop: Header=BB9_550 Depth=1
	s_mov_b32 s22, 0
	s_mov_b64 s[4:5], s[6:7]
	s_cbranch_execnz .LBB9_552
.LBB9_561:                              ;   in Loop: Header=BB9_550 Depth=1
	global_load_dwordx2 v[8:9], v3, s[6:7]
	s_add_i32 s22, s16, -8
	s_add_u32 s4, s6, 8
	s_addc_u32 s5, s7, 0
	s_cmp_gt_u32 s22, 7
	s_cbranch_scc0 .LBB9_553
.LBB9_562:                              ;   in Loop: Header=BB9_550 Depth=1
                                        ; implicit-def: $vgpr10_vgpr11
                                        ; implicit-def: $sgpr23
.LBB9_563:                              ;   in Loop: Header=BB9_550 Depth=1
	global_load_dwordx2 v[10:11], v3, s[4:5]
	s_add_i32 s23, s22, -8
	s_add_u32 s4, s4, 8
	s_addc_u32 s5, s5, 0
.LBB9_564:                              ;   in Loop: Header=BB9_550 Depth=1
	s_cmp_gt_u32 s23, 7
	s_cbranch_scc1 .LBB9_569
; %bb.565:                              ;   in Loop: Header=BB9_550 Depth=1
	v_mov_b32_e32 v12, 0
	v_mov_b32_e32 v13, 0
	s_cmp_eq_u32 s23, 0
	s_cbranch_scc1 .LBB9_568
; %bb.566:                              ;   in Loop: Header=BB9_550 Depth=1
	s_mov_b64 s[18:19], 0
	s_mov_b64 s[20:21], 0
.LBB9_567:                              ;   Parent Loop BB9_550 Depth=1
                                        ; =>  This Inner Loop Header: Depth=2
	s_add_u32 s24, s4, s20
	s_addc_u32 s25, s5, s21
	s_add_u32 s20, s20, 1
	global_load_ubyte v2, v3, s[24:25]
	s_addc_u32 s21, s21, 0
	s_waitcnt vmcnt(0)
	v_and_b32_e32 v2, 0xffff, v2
	v_lshlrev_b64 v[14:15], s18, v[2:3]
	s_add_u32 s18, s18, 8
	s_addc_u32 s19, s19, 0
	s_cmp_lg_u32 s23, s20
	v_or_b32_e32 v12, v14, v12
	v_or_b32_e32 v13, v15, v13
	s_cbranch_scc1 .LBB9_567
.LBB9_568:                              ;   in Loop: Header=BB9_550 Depth=1
	s_mov_b32 s22, 0
	s_cbranch_execz .LBB9_570
	s_branch .LBB9_571
.LBB9_569:                              ;   in Loop: Header=BB9_550 Depth=1
                                        ; implicit-def: $sgpr22
.LBB9_570:                              ;   in Loop: Header=BB9_550 Depth=1
	global_load_dwordx2 v[12:13], v3, s[4:5]
	s_add_i32 s22, s23, -8
	s_add_u32 s4, s4, 8
	s_addc_u32 s5, s5, 0
.LBB9_571:                              ;   in Loop: Header=BB9_550 Depth=1
	s_cmp_gt_u32 s22, 7
	s_cbranch_scc1 .LBB9_576
; %bb.572:                              ;   in Loop: Header=BB9_550 Depth=1
	v_mov_b32_e32 v14, 0
	v_mov_b32_e32 v15, 0
	s_cmp_eq_u32 s22, 0
	s_cbranch_scc1 .LBB9_575
; %bb.573:                              ;   in Loop: Header=BB9_550 Depth=1
	s_mov_b64 s[18:19], 0
	s_mov_b64 s[20:21], 0
.LBB9_574:                              ;   Parent Loop BB9_550 Depth=1
                                        ; =>  This Inner Loop Header: Depth=2
	s_add_u32 s24, s4, s20
	s_addc_u32 s25, s5, s21
	s_add_u32 s20, s20, 1
	global_load_ubyte v2, v3, s[24:25]
	s_addc_u32 s21, s21, 0
	s_waitcnt vmcnt(0)
	v_and_b32_e32 v2, 0xffff, v2
	v_lshlrev_b64 v[16:17], s18, v[2:3]
	s_add_u32 s18, s18, 8
	s_addc_u32 s19, s19, 0
	s_cmp_lg_u32 s22, s20
	v_or_b32_e32 v14, v16, v14
	v_or_b32_e32 v15, v17, v15
	s_cbranch_scc1 .LBB9_574
.LBB9_575:                              ;   in Loop: Header=BB9_550 Depth=1
	s_mov_b32 s23, 0
	s_cbranch_execz .LBB9_577
	s_branch .LBB9_578
.LBB9_576:                              ;   in Loop: Header=BB9_550 Depth=1
                                        ; implicit-def: $vgpr14_vgpr15
                                        ; implicit-def: $sgpr23
.LBB9_577:                              ;   in Loop: Header=BB9_550 Depth=1
	global_load_dwordx2 v[14:15], v3, s[4:5]
	s_add_i32 s23, s22, -8
	s_add_u32 s4, s4, 8
	s_addc_u32 s5, s5, 0
.LBB9_578:                              ;   in Loop: Header=BB9_550 Depth=1
	s_cmp_gt_u32 s23, 7
	s_cbranch_scc1 .LBB9_583
; %bb.579:                              ;   in Loop: Header=BB9_550 Depth=1
	v_mov_b32_e32 v16, 0
	v_mov_b32_e32 v17, 0
	s_cmp_eq_u32 s23, 0
	s_cbranch_scc1 .LBB9_582
; %bb.580:                              ;   in Loop: Header=BB9_550 Depth=1
	s_mov_b64 s[18:19], 0
	s_mov_b64 s[20:21], 0
.LBB9_581:                              ;   Parent Loop BB9_550 Depth=1
                                        ; =>  This Inner Loop Header: Depth=2
	s_add_u32 s24, s4, s20
	s_addc_u32 s25, s5, s21
	s_add_u32 s20, s20, 1
	global_load_ubyte v2, v3, s[24:25]
	s_addc_u32 s21, s21, 0
	s_waitcnt vmcnt(0)
	v_and_b32_e32 v2, 0xffff, v2
	v_lshlrev_b64 v[18:19], s18, v[2:3]
	s_add_u32 s18, s18, 8
	s_addc_u32 s19, s19, 0
	s_cmp_lg_u32 s23, s20
	v_or_b32_e32 v16, v18, v16
	v_or_b32_e32 v17, v19, v17
	s_cbranch_scc1 .LBB9_581
.LBB9_582:                              ;   in Loop: Header=BB9_550 Depth=1
	s_mov_b32 s22, 0
	s_cbranch_execz .LBB9_584
	s_branch .LBB9_585
.LBB9_583:                              ;   in Loop: Header=BB9_550 Depth=1
                                        ; implicit-def: $sgpr22
.LBB9_584:                              ;   in Loop: Header=BB9_550 Depth=1
	global_load_dwordx2 v[16:17], v3, s[4:5]
	s_add_i32 s22, s23, -8
	s_add_u32 s4, s4, 8
	s_addc_u32 s5, s5, 0
.LBB9_585:                              ;   in Loop: Header=BB9_550 Depth=1
	s_cmp_gt_u32 s22, 7
	s_cbranch_scc1 .LBB9_590
; %bb.586:                              ;   in Loop: Header=BB9_550 Depth=1
	v_mov_b32_e32 v18, 0
	v_mov_b32_e32 v19, 0
	s_cmp_eq_u32 s22, 0
	s_cbranch_scc1 .LBB9_589
; %bb.587:                              ;   in Loop: Header=BB9_550 Depth=1
	s_mov_b64 s[18:19], 0
	s_mov_b64 s[20:21], 0
.LBB9_588:                              ;   Parent Loop BB9_550 Depth=1
                                        ; =>  This Inner Loop Header: Depth=2
	s_add_u32 s24, s4, s20
	s_addc_u32 s25, s5, s21
	s_add_u32 s20, s20, 1
	global_load_ubyte v2, v3, s[24:25]
	s_addc_u32 s21, s21, 0
	s_waitcnt vmcnt(0)
	v_and_b32_e32 v2, 0xffff, v2
	v_lshlrev_b64 v[20:21], s18, v[2:3]
	s_add_u32 s18, s18, 8
	s_addc_u32 s19, s19, 0
	s_cmp_lg_u32 s22, s20
	v_or_b32_e32 v18, v20, v18
	v_or_b32_e32 v19, v21, v19
	s_cbranch_scc1 .LBB9_588
.LBB9_589:                              ;   in Loop: Header=BB9_550 Depth=1
	s_mov_b32 s23, 0
	s_cbranch_execz .LBB9_591
	s_branch .LBB9_592
.LBB9_590:                              ;   in Loop: Header=BB9_550 Depth=1
                                        ; implicit-def: $vgpr18_vgpr19
                                        ; implicit-def: $sgpr23
.LBB9_591:                              ;   in Loop: Header=BB9_550 Depth=1
	global_load_dwordx2 v[18:19], v3, s[4:5]
	s_add_i32 s23, s22, -8
	s_add_u32 s4, s4, 8
	s_addc_u32 s5, s5, 0
.LBB9_592:                              ;   in Loop: Header=BB9_550 Depth=1
	s_cmp_gt_u32 s23, 7
	s_cbranch_scc1 .LBB9_597
; %bb.593:                              ;   in Loop: Header=BB9_550 Depth=1
	v_mov_b32_e32 v20, 0
	v_mov_b32_e32 v21, 0
	s_cmp_eq_u32 s23, 0
	s_cbranch_scc1 .LBB9_596
; %bb.594:                              ;   in Loop: Header=BB9_550 Depth=1
	s_mov_b64 s[18:19], 0
	s_mov_b64 s[20:21], s[4:5]
.LBB9_595:                              ;   Parent Loop BB9_550 Depth=1
                                        ; =>  This Inner Loop Header: Depth=2
	global_load_ubyte v2, v3, s[20:21]
	s_add_i32 s23, s23, -1
	s_waitcnt vmcnt(0)
	v_and_b32_e32 v2, 0xffff, v2
	v_lshlrev_b64 v[22:23], s18, v[2:3]
	s_add_u32 s18, s18, 8
	s_addc_u32 s19, s19, 0
	s_add_u32 s20, s20, 1
	s_addc_u32 s21, s21, 0
	s_cmp_lg_u32 s23, 0
	v_or_b32_e32 v20, v22, v20
	v_or_b32_e32 v21, v23, v21
	s_cbranch_scc1 .LBB9_595
.LBB9_596:                              ;   in Loop: Header=BB9_550 Depth=1
	s_cbranch_execz .LBB9_598
	s_branch .LBB9_599
.LBB9_597:                              ;   in Loop: Header=BB9_550 Depth=1
.LBB9_598:                              ;   in Loop: Header=BB9_550 Depth=1
	global_load_dwordx2 v[20:21], v3, s[4:5]
.LBB9_599:                              ;   in Loop: Header=BB9_550 Depth=1
	v_readfirstlane_b32 s4, v69
	v_mov_b32_e32 v26, 0
	v_mov_b32_e32 v27, 0
	v_cmp_eq_u32_e64 s4, s4, v69
	s_and_saveexec_b32 s5, s4
	s_cbranch_execz .LBB9_605
; %bb.600:                              ;   in Loop: Header=BB9_550 Depth=1
	global_load_dwordx2 v[24:25], v3, s[40:41] offset:24 glc dlc
	s_waitcnt vmcnt(0)
	buffer_gl1_inv
	buffer_gl0_inv
	s_clause 0x1
	global_load_dwordx2 v[22:23], v3, s[40:41] offset:40
	global_load_dwordx2 v[26:27], v3, s[40:41]
	s_mov_b32 s18, exec_lo
	s_waitcnt vmcnt(1)
	v_and_b32_e32 v2, v23, v25
	v_and_b32_e32 v22, v22, v24
	v_mul_lo_u32 v2, v2, 24
	v_mul_hi_u32 v23, v22, 24
	v_mul_lo_u32 v22, v22, 24
	v_add_nc_u32_e32 v2, v23, v2
	s_waitcnt vmcnt(0)
	v_add_co_u32 v22, vcc_lo, v26, v22
	v_add_co_ci_u32_e32 v23, vcc_lo, v27, v2, vcc_lo
	global_load_dwordx2 v[22:23], v[22:23], off glc dlc
	s_waitcnt vmcnt(0)
	global_atomic_cmpswap_x2 v[26:27], v3, v[22:25], s[40:41] offset:24 glc
	s_waitcnt vmcnt(0)
	buffer_gl1_inv
	buffer_gl0_inv
	v_cmpx_ne_u64_e64 v[26:27], v[24:25]
	s_cbranch_execz .LBB9_604
; %bb.601:                              ;   in Loop: Header=BB9_550 Depth=1
	s_mov_b32 s19, 0
	.p2align	6
.LBB9_602:                              ;   Parent Loop BB9_550 Depth=1
                                        ; =>  This Inner Loop Header: Depth=2
	s_sleep 1
	s_clause 0x1
	global_load_dwordx2 v[22:23], v3, s[40:41] offset:40
	global_load_dwordx2 v[28:29], v3, s[40:41]
	v_mov_b32_e32 v24, v26
	v_mov_b32_e32 v25, v27
	s_waitcnt vmcnt(1)
	v_and_b32_e32 v2, v22, v24
	v_and_b32_e32 v22, v23, v25
	s_waitcnt vmcnt(0)
	v_mad_u64_u32 v[26:27], null, v2, 24, v[28:29]
	v_mov_b32_e32 v2, v27
	v_mad_u64_u32 v[22:23], null, v22, 24, v[2:3]
	v_mov_b32_e32 v27, v22
	global_load_dwordx2 v[22:23], v[26:27], off glc dlc
	s_waitcnt vmcnt(0)
	global_atomic_cmpswap_x2 v[26:27], v3, v[22:25], s[40:41] offset:24 glc
	s_waitcnt vmcnt(0)
	buffer_gl1_inv
	buffer_gl0_inv
	v_cmp_eq_u64_e32 vcc_lo, v[26:27], v[24:25]
	s_or_b32 s19, vcc_lo, s19
	s_andn2_b32 exec_lo, exec_lo, s19
	s_cbranch_execnz .LBB9_602
; %bb.603:                              ;   in Loop: Header=BB9_550 Depth=1
	s_or_b32 exec_lo, exec_lo, s19
.LBB9_604:                              ;   in Loop: Header=BB9_550 Depth=1
	s_or_b32 exec_lo, exec_lo, s18
.LBB9_605:                              ;   in Loop: Header=BB9_550 Depth=1
	s_or_b32 exec_lo, exec_lo, s5
	s_clause 0x1
	global_load_dwordx2 v[28:29], v3, s[40:41] offset:40
	global_load_dwordx4 v[22:25], v3, s[40:41]
	v_readfirstlane_b32 s18, v26
	v_readfirstlane_b32 s19, v27
	s_mov_b32 s5, exec_lo
	s_waitcnt vmcnt(1)
	v_readfirstlane_b32 s20, v28
	v_readfirstlane_b32 s21, v29
	s_and_b64 s[20:21], s[18:19], s[20:21]
	s_mul_i32 s22, s21, 24
	s_mul_hi_u32 s23, s20, 24
	s_mul_i32 s24, s20, 24
	s_add_i32 s23, s23, s22
	s_waitcnt vmcnt(0)
	v_add_co_u32 v26, vcc_lo, v22, s24
	v_add_co_ci_u32_e32 v27, vcc_lo, s23, v23, vcc_lo
	s_and_saveexec_b32 s22, s4
	s_cbranch_execz .LBB9_607
; %bb.606:                              ;   in Loop: Header=BB9_550 Depth=1
	v_mov_b32_e32 v2, s5
	global_store_dwordx4 v[26:27], v[2:5], off offset:8
.LBB9_607:                              ;   in Loop: Header=BB9_550 Depth=1
	s_or_b32 exec_lo, exec_lo, s22
	s_lshl_b64 s[20:21], s[20:21], 12
	v_or_b32_e32 v2, 2, v6
	v_add_co_u32 v24, vcc_lo, v24, s20
	v_add_co_ci_u32_e32 v25, vcc_lo, s21, v25, vcc_lo
	v_cmp_gt_u64_e64 vcc_lo, s[10:11], 56
	s_lshl_b32 s5, s16, 2
	v_readfirstlane_b32 s20, v24
	s_add_i32 s5, s5, 28
	v_readfirstlane_b32 s21, v25
	s_and_b32 s5, s5, 0x1e0
	v_cndmask_b32_e32 v2, v2, v6, vcc_lo
	v_and_or_b32 v6, 0xffffff1f, v2, s5
	global_store_dwordx4 v68, v[10:13], s[20:21] offset:16
	global_store_dwordx4 v68, v[6:9], s[20:21]
	global_store_dwordx4 v68, v[14:17], s[20:21] offset:32
	global_store_dwordx4 v68, v[18:21], s[20:21] offset:48
	s_and_saveexec_b32 s5, s4
	s_cbranch_execz .LBB9_615
; %bb.608:                              ;   in Loop: Header=BB9_550 Depth=1
	s_clause 0x1
	global_load_dwordx2 v[14:15], v3, s[40:41] offset:32 glc dlc
	global_load_dwordx2 v[6:7], v3, s[40:41] offset:40
	v_mov_b32_e32 v12, s18
	v_mov_b32_e32 v13, s19
	s_waitcnt vmcnt(0)
	v_readfirstlane_b32 s20, v6
	v_readfirstlane_b32 s21, v7
	s_and_b64 s[20:21], s[20:21], s[18:19]
	s_mul_i32 s21, s21, 24
	s_mul_hi_u32 s22, s20, 24
	s_mul_i32 s20, s20, 24
	s_add_i32 s22, s22, s21
	v_add_co_u32 v10, vcc_lo, v22, s20
	v_add_co_ci_u32_e32 v11, vcc_lo, s22, v23, vcc_lo
	s_mov_b32 s20, exec_lo
	global_store_dwordx2 v[10:11], v[14:15], off
	s_waitcnt_vscnt null, 0x0
	global_atomic_cmpswap_x2 v[8:9], v3, v[12:15], s[40:41] offset:32 glc
	s_waitcnt vmcnt(0)
	v_cmpx_ne_u64_e64 v[8:9], v[14:15]
	s_cbranch_execz .LBB9_611
; %bb.609:                              ;   in Loop: Header=BB9_550 Depth=1
	s_mov_b32 s21, 0
.LBB9_610:                              ;   Parent Loop BB9_550 Depth=1
                                        ; =>  This Inner Loop Header: Depth=2
	v_mov_b32_e32 v6, s18
	v_mov_b32_e32 v7, s19
	s_sleep 1
	global_store_dwordx2 v[10:11], v[8:9], off
	s_waitcnt_vscnt null, 0x0
	global_atomic_cmpswap_x2 v[6:7], v3, v[6:9], s[40:41] offset:32 glc
	s_waitcnt vmcnt(0)
	v_cmp_eq_u64_e32 vcc_lo, v[6:7], v[8:9]
	v_mov_b32_e32 v9, v7
	v_mov_b32_e32 v8, v6
	s_or_b32 s21, vcc_lo, s21
	s_andn2_b32 exec_lo, exec_lo, s21
	s_cbranch_execnz .LBB9_610
.LBB9_611:                              ;   in Loop: Header=BB9_550 Depth=1
	s_or_b32 exec_lo, exec_lo, s20
	global_load_dwordx2 v[6:7], v3, s[40:41] offset:16
	s_mov_b32 s21, exec_lo
	s_mov_b32 s20, exec_lo
	v_mbcnt_lo_u32_b32 v2, s21, 0
	v_cmpx_eq_u32_e32 0, v2
	s_cbranch_execz .LBB9_613
; %bb.612:                              ;   in Loop: Header=BB9_550 Depth=1
	s_bcnt1_i32_b32 s21, s21
	v_mov_b32_e32 v2, s21
	s_waitcnt vmcnt(0)
	global_atomic_add_x2 v[6:7], v[2:3], off offset:8
.LBB9_613:                              ;   in Loop: Header=BB9_550 Depth=1
	s_or_b32 exec_lo, exec_lo, s20
	s_waitcnt vmcnt(0)
	global_load_dwordx2 v[8:9], v[6:7], off offset:16
	s_waitcnt vmcnt(0)
	v_cmp_eq_u64_e32 vcc_lo, 0, v[8:9]
	s_cbranch_vccnz .LBB9_615
; %bb.614:                              ;   in Loop: Header=BB9_550 Depth=1
	global_load_dword v2, v[6:7], off offset:24
	s_waitcnt vmcnt(0)
	v_and_b32_e32 v6, 0x7fffff, v2
	s_waitcnt_vscnt null, 0x0
	global_store_dwordx2 v[8:9], v[2:3], off
	v_readfirstlane_b32 m0, v6
	s_sendmsg sendmsg(MSG_INTERRUPT)
.LBB9_615:                              ;   in Loop: Header=BB9_550 Depth=1
	s_or_b32 exec_lo, exec_lo, s5
	v_add_co_u32 v6, vcc_lo, v24, v68
	v_add_co_ci_u32_e32 v7, vcc_lo, 0, v25, vcc_lo
	s_branch .LBB9_619
	.p2align	6
.LBB9_616:                              ;   in Loop: Header=BB9_619 Depth=2
	s_or_b32 exec_lo, exec_lo, s5
	v_readfirstlane_b32 s5, v2
	s_cmp_eq_u32 s5, 0
	s_cbranch_scc1 .LBB9_618
; %bb.617:                              ;   in Loop: Header=BB9_619 Depth=2
	s_sleep 1
	s_cbranch_execnz .LBB9_619
	s_branch .LBB9_621
	.p2align	6
.LBB9_618:                              ;   in Loop: Header=BB9_550 Depth=1
	s_branch .LBB9_621
.LBB9_619:                              ;   Parent Loop BB9_550 Depth=1
                                        ; =>  This Inner Loop Header: Depth=2
	v_mov_b32_e32 v2, 1
	s_and_saveexec_b32 s5, s4
	s_cbranch_execz .LBB9_616
; %bb.620:                              ;   in Loop: Header=BB9_619 Depth=2
	global_load_dword v2, v[26:27], off offset:20 glc dlc
	s_waitcnt vmcnt(0)
	buffer_gl1_inv
	buffer_gl0_inv
	v_and_b32_e32 v2, 1, v2
	s_branch .LBB9_616
.LBB9_621:                              ;   in Loop: Header=BB9_550 Depth=1
	global_load_dwordx4 v[6:9], v[6:7], off
	s_and_saveexec_b32 s5, s4
	s_cbranch_execz .LBB9_549
; %bb.622:                              ;   in Loop: Header=BB9_550 Depth=1
	s_clause 0x2
	global_load_dwordx2 v[10:11], v3, s[40:41] offset:40
	global_load_dwordx2 v[14:15], v3, s[40:41] offset:24 glc dlc
	global_load_dwordx2 v[12:13], v3, s[40:41]
	s_waitcnt vmcnt(2)
	v_add_co_u32 v2, vcc_lo, v10, 1
	v_add_co_ci_u32_e32 v16, vcc_lo, 0, v11, vcc_lo
	v_add_co_u32 v8, vcc_lo, v2, s18
	v_add_co_ci_u32_e32 v9, vcc_lo, s19, v16, vcc_lo
	v_cmp_eq_u64_e32 vcc_lo, 0, v[8:9]
	v_cndmask_b32_e32 v9, v9, v16, vcc_lo
	v_cndmask_b32_e32 v8, v8, v2, vcc_lo
	v_and_b32_e32 v2, v9, v11
	v_and_b32_e32 v10, v8, v10
	v_mul_lo_u32 v2, v2, 24
	v_mul_hi_u32 v11, v10, 24
	v_mul_lo_u32 v10, v10, 24
	v_add_nc_u32_e32 v2, v11, v2
	s_waitcnt vmcnt(0)
	v_add_co_u32 v12, vcc_lo, v12, v10
	v_mov_b32_e32 v10, v14
	v_mov_b32_e32 v11, v15
	v_add_co_ci_u32_e32 v13, vcc_lo, v13, v2, vcc_lo
	global_store_dwordx2 v[12:13], v[14:15], off
	s_waitcnt_vscnt null, 0x0
	global_atomic_cmpswap_x2 v[10:11], v3, v[8:11], s[40:41] offset:24 glc
	s_waitcnt vmcnt(0)
	v_cmp_ne_u64_e32 vcc_lo, v[10:11], v[14:15]
	s_and_b32 exec_lo, exec_lo, vcc_lo
	s_cbranch_execz .LBB9_549
; %bb.623:                              ;   in Loop: Header=BB9_550 Depth=1
	s_mov_b32 s4, 0
.LBB9_624:                              ;   Parent Loop BB9_550 Depth=1
                                        ; =>  This Inner Loop Header: Depth=2
	s_sleep 1
	global_store_dwordx2 v[12:13], v[10:11], off
	s_waitcnt_vscnt null, 0x0
	global_atomic_cmpswap_x2 v[14:15], v3, v[8:11], s[40:41] offset:24 glc
	s_waitcnt vmcnt(0)
	v_cmp_eq_u64_e32 vcc_lo, v[14:15], v[10:11]
	v_mov_b32_e32 v10, v14
	v_mov_b32_e32 v11, v15
	s_or_b32 s4, vcc_lo, s4
	s_andn2_b32 exec_lo, exec_lo, s4
	s_cbranch_execnz .LBB9_624
	s_branch .LBB9_549
.LBB9_625:
	s_branch .LBB9_654
.LBB9_626:
	s_cbranch_execz .LBB9_654
; %bb.627:
	v_readfirstlane_b32 s4, v69
	s_waitcnt vmcnt(0)
	v_mov_b32_e32 v8, 0
	v_mov_b32_e32 v9, 0
	v_cmp_eq_u32_e64 s4, s4, v69
	s_and_saveexec_b32 s5, s4
	s_cbranch_execz .LBB9_633
; %bb.628:
	v_mov_b32_e32 v2, 0
	s_mov_b32 s6, exec_lo
	global_load_dwordx2 v[5:6], v2, s[40:41] offset:24 glc dlc
	s_waitcnt vmcnt(0)
	buffer_gl1_inv
	buffer_gl0_inv
	s_clause 0x1
	global_load_dwordx2 v[3:4], v2, s[40:41] offset:40
	global_load_dwordx2 v[7:8], v2, s[40:41]
	s_waitcnt vmcnt(1)
	v_and_b32_e32 v4, v4, v6
	v_and_b32_e32 v3, v3, v5
	v_mul_lo_u32 v4, v4, 24
	v_mul_hi_u32 v9, v3, 24
	v_mul_lo_u32 v3, v3, 24
	v_add_nc_u32_e32 v4, v9, v4
	s_waitcnt vmcnt(0)
	v_add_co_u32 v3, vcc_lo, v7, v3
	v_add_co_ci_u32_e32 v4, vcc_lo, v8, v4, vcc_lo
	global_load_dwordx2 v[3:4], v[3:4], off glc dlc
	s_waitcnt vmcnt(0)
	global_atomic_cmpswap_x2 v[8:9], v2, v[3:6], s[40:41] offset:24 glc
	s_waitcnt vmcnt(0)
	buffer_gl1_inv
	buffer_gl0_inv
	v_cmpx_ne_u64_e64 v[8:9], v[5:6]
	s_cbranch_execz .LBB9_632
; %bb.629:
	s_mov_b32 s7, 0
	.p2align	6
.LBB9_630:                              ; =>This Inner Loop Header: Depth=1
	s_sleep 1
	s_clause 0x1
	global_load_dwordx2 v[3:4], v2, s[40:41] offset:40
	global_load_dwordx2 v[10:11], v2, s[40:41]
	v_mov_b32_e32 v5, v8
	v_mov_b32_e32 v6, v9
	s_waitcnt vmcnt(1)
	v_and_b32_e32 v3, v3, v5
	v_and_b32_e32 v4, v4, v6
	s_waitcnt vmcnt(0)
	v_mad_u64_u32 v[7:8], null, v3, 24, v[10:11]
	v_mov_b32_e32 v3, v8
	v_mad_u64_u32 v[3:4], null, v4, 24, v[3:4]
	v_mov_b32_e32 v8, v3
	global_load_dwordx2 v[3:4], v[7:8], off glc dlc
	s_waitcnt vmcnt(0)
	global_atomic_cmpswap_x2 v[8:9], v2, v[3:6], s[40:41] offset:24 glc
	s_waitcnt vmcnt(0)
	buffer_gl1_inv
	buffer_gl0_inv
	v_cmp_eq_u64_e32 vcc_lo, v[8:9], v[5:6]
	s_or_b32 s7, vcc_lo, s7
	s_andn2_b32 exec_lo, exec_lo, s7
	s_cbranch_execnz .LBB9_630
; %bb.631:
	s_or_b32 exec_lo, exec_lo, s7
.LBB9_632:
	s_or_b32 exec_lo, exec_lo, s6
.LBB9_633:
	s_or_b32 exec_lo, exec_lo, s5
	v_mov_b32_e32 v2, 0
	v_readfirstlane_b32 s6, v8
	v_readfirstlane_b32 s7, v9
	s_mov_b32 s5, exec_lo
	s_clause 0x1
	global_load_dwordx2 v[10:11], v2, s[40:41] offset:40
	global_load_dwordx4 v[4:7], v2, s[40:41]
	s_waitcnt vmcnt(1)
	v_readfirstlane_b32 s10, v10
	v_readfirstlane_b32 s11, v11
	s_and_b64 s[10:11], s[6:7], s[10:11]
	s_mul_i32 s16, s11, 24
	s_mul_hi_u32 s17, s10, 24
	s_mul_i32 s18, s10, 24
	s_add_i32 s17, s17, s16
	s_waitcnt vmcnt(0)
	v_add_co_u32 v8, vcc_lo, v4, s18
	v_add_co_ci_u32_e32 v9, vcc_lo, s17, v5, vcc_lo
	s_and_saveexec_b32 s16, s4
	s_cbranch_execz .LBB9_635
; %bb.634:
	v_mov_b32_e32 v10, s5
	v_mov_b32_e32 v11, v2
	;; [unrolled: 1-line block ×4, first 2 shown]
	global_store_dwordx4 v[8:9], v[10:13], off offset:8
.LBB9_635:
	s_or_b32 exec_lo, exec_lo, s16
	s_lshl_b64 s[10:11], s[10:11], 12
	s_mov_b32 s16, 0
	v_add_co_u32 v6, vcc_lo, v6, s10
	v_add_co_ci_u32_e32 v7, vcc_lo, s11, v7, vcc_lo
	s_mov_b32 s17, s16
	s_mov_b32 s18, s16
	;; [unrolled: 1-line block ×3, first 2 shown]
	v_and_or_b32 v0, 0xffffff1d, v0, 34
	v_mov_b32_e32 v3, v2
	v_readfirstlane_b32 s10, v6
	v_readfirstlane_b32 s11, v7
	v_mov_b32_e32 v10, s16
	v_mov_b32_e32 v11, s17
	;; [unrolled: 1-line block ×4, first 2 shown]
	global_store_dwordx4 v68, v[0:3], s[10:11]
	global_store_dwordx4 v68, v[10:13], s[10:11] offset:16
	global_store_dwordx4 v68, v[10:13], s[10:11] offset:32
	;; [unrolled: 1-line block ×3, first 2 shown]
	s_and_saveexec_b32 s5, s4
	s_cbranch_execz .LBB9_643
; %bb.636:
	v_mov_b32_e32 v6, 0
	v_mov_b32_e32 v10, s6
	;; [unrolled: 1-line block ×3, first 2 shown]
	s_clause 0x1
	global_load_dwordx2 v[12:13], v6, s[40:41] offset:32 glc dlc
	global_load_dwordx2 v[0:1], v6, s[40:41] offset:40
	s_waitcnt vmcnt(0)
	v_readfirstlane_b32 s10, v0
	v_readfirstlane_b32 s11, v1
	s_and_b64 s[10:11], s[10:11], s[6:7]
	s_mul_i32 s11, s11, 24
	s_mul_hi_u32 s16, s10, 24
	s_mul_i32 s10, s10, 24
	s_add_i32 s16, s16, s11
	v_add_co_u32 v4, vcc_lo, v4, s10
	v_add_co_ci_u32_e32 v5, vcc_lo, s16, v5, vcc_lo
	s_mov_b32 s10, exec_lo
	global_store_dwordx2 v[4:5], v[12:13], off
	s_waitcnt_vscnt null, 0x0
	global_atomic_cmpswap_x2 v[2:3], v6, v[10:13], s[40:41] offset:32 glc
	s_waitcnt vmcnt(0)
	v_cmpx_ne_u64_e64 v[2:3], v[12:13]
	s_cbranch_execz .LBB9_639
; %bb.637:
	s_mov_b32 s11, 0
.LBB9_638:                              ; =>This Inner Loop Header: Depth=1
	v_mov_b32_e32 v0, s6
	v_mov_b32_e32 v1, s7
	s_sleep 1
	global_store_dwordx2 v[4:5], v[2:3], off
	s_waitcnt_vscnt null, 0x0
	global_atomic_cmpswap_x2 v[0:1], v6, v[0:3], s[40:41] offset:32 glc
	s_waitcnt vmcnt(0)
	v_cmp_eq_u64_e32 vcc_lo, v[0:1], v[2:3]
	v_mov_b32_e32 v3, v1
	v_mov_b32_e32 v2, v0
	s_or_b32 s11, vcc_lo, s11
	s_andn2_b32 exec_lo, exec_lo, s11
	s_cbranch_execnz .LBB9_638
.LBB9_639:
	s_or_b32 exec_lo, exec_lo, s10
	v_mov_b32_e32 v3, 0
	s_mov_b32 s11, exec_lo
	s_mov_b32 s10, exec_lo
	v_mbcnt_lo_u32_b32 v2, s11, 0
	global_load_dwordx2 v[0:1], v3, s[40:41] offset:16
	v_cmpx_eq_u32_e32 0, v2
	s_cbranch_execz .LBB9_641
; %bb.640:
	s_bcnt1_i32_b32 s11, s11
	v_mov_b32_e32 v2, s11
	s_waitcnt vmcnt(0)
	global_atomic_add_x2 v[0:1], v[2:3], off offset:8
.LBB9_641:
	s_or_b32 exec_lo, exec_lo, s10
	s_waitcnt vmcnt(0)
	global_load_dwordx2 v[2:3], v[0:1], off offset:16
	s_waitcnt vmcnt(0)
	v_cmp_eq_u64_e32 vcc_lo, 0, v[2:3]
	s_cbranch_vccnz .LBB9_643
; %bb.642:
	global_load_dword v0, v[0:1], off offset:24
	v_mov_b32_e32 v1, 0
	s_waitcnt vmcnt(0)
	v_and_b32_e32 v4, 0x7fffff, v0
	s_waitcnt_vscnt null, 0x0
	global_store_dwordx2 v[2:3], v[0:1], off
	v_readfirstlane_b32 m0, v4
	s_sendmsg sendmsg(MSG_INTERRUPT)
.LBB9_643:
	s_or_b32 exec_lo, exec_lo, s5
	s_branch .LBB9_647
	.p2align	6
.LBB9_644:                              ;   in Loop: Header=BB9_647 Depth=1
	s_or_b32 exec_lo, exec_lo, s5
	v_readfirstlane_b32 s5, v0
	s_cmp_eq_u32 s5, 0
	s_cbranch_scc1 .LBB9_646
; %bb.645:                              ;   in Loop: Header=BB9_647 Depth=1
	s_sleep 1
	s_cbranch_execnz .LBB9_647
	s_branch .LBB9_649
	.p2align	6
.LBB9_646:
	s_branch .LBB9_649
.LBB9_647:                              ; =>This Inner Loop Header: Depth=1
	v_mov_b32_e32 v0, 1
	s_and_saveexec_b32 s5, s4
	s_cbranch_execz .LBB9_644
; %bb.648:                              ;   in Loop: Header=BB9_647 Depth=1
	global_load_dword v0, v[8:9], off offset:20 glc dlc
	s_waitcnt vmcnt(0)
	buffer_gl1_inv
	buffer_gl0_inv
	v_and_b32_e32 v0, 1, v0
	s_branch .LBB9_644
.LBB9_649:
	s_and_saveexec_b32 s5, s4
	s_cbranch_execz .LBB9_653
; %bb.650:
	v_mov_b32_e32 v6, 0
	s_clause 0x2
	global_load_dwordx2 v[2:3], v6, s[40:41] offset:40
	global_load_dwordx2 v[7:8], v6, s[40:41] offset:24 glc dlc
	global_load_dwordx2 v[4:5], v6, s[40:41]
	s_waitcnt vmcnt(2)
	v_add_co_u32 v9, vcc_lo, v2, 1
	v_add_co_ci_u32_e32 v10, vcc_lo, 0, v3, vcc_lo
	v_add_co_u32 v0, vcc_lo, v9, s6
	v_add_co_ci_u32_e32 v1, vcc_lo, s7, v10, vcc_lo
	v_cmp_eq_u64_e32 vcc_lo, 0, v[0:1]
	v_cndmask_b32_e32 v1, v1, v10, vcc_lo
	v_cndmask_b32_e32 v0, v0, v9, vcc_lo
	v_and_b32_e32 v3, v1, v3
	v_and_b32_e32 v2, v0, v2
	v_mul_lo_u32 v3, v3, 24
	v_mul_hi_u32 v9, v2, 24
	v_mul_lo_u32 v2, v2, 24
	v_add_nc_u32_e32 v3, v9, v3
	s_waitcnt vmcnt(0)
	v_add_co_u32 v4, vcc_lo, v4, v2
	v_mov_b32_e32 v2, v7
	v_add_co_ci_u32_e32 v5, vcc_lo, v5, v3, vcc_lo
	v_mov_b32_e32 v3, v8
	global_store_dwordx2 v[4:5], v[7:8], off
	s_waitcnt_vscnt null, 0x0
	global_atomic_cmpswap_x2 v[2:3], v6, v[0:3], s[40:41] offset:24 glc
	s_waitcnt vmcnt(0)
	v_cmp_ne_u64_e32 vcc_lo, v[2:3], v[7:8]
	s_and_b32 exec_lo, exec_lo, vcc_lo
	s_cbranch_execz .LBB9_653
; %bb.651:
	s_mov_b32 s4, 0
.LBB9_652:                              ; =>This Inner Loop Header: Depth=1
	s_sleep 1
	global_store_dwordx2 v[4:5], v[2:3], off
	s_waitcnt_vscnt null, 0x0
	global_atomic_cmpswap_x2 v[7:8], v6, v[0:3], s[40:41] offset:24 glc
	s_waitcnt vmcnt(0)
	v_cmp_eq_u64_e32 vcc_lo, v[7:8], v[2:3]
	v_mov_b32_e32 v2, v7
	v_mov_b32_e32 v3, v8
	s_or_b32 s4, vcc_lo, s4
	s_andn2_b32 exec_lo, exec_lo, s4
	s_cbranch_execnz .LBB9_652
.LBB9_653:
	s_or_b32 exec_lo, exec_lo, s5
.LBB9_654:
	v_readfirstlane_b32 s4, v69
	s_waitcnt vmcnt(0)
	v_mov_b32_e32 v6, 0
	v_mov_b32_e32 v7, 0
	v_cmp_eq_u32_e64 s4, s4, v69
	s_and_saveexec_b32 s5, s4
	s_cbranch_execz .LBB9_660
; %bb.655:
	v_mov_b32_e32 v0, 0
	s_mov_b32 s6, exec_lo
	global_load_dwordx2 v[3:4], v0, s[40:41] offset:24 glc dlc
	s_waitcnt vmcnt(0)
	buffer_gl1_inv
	buffer_gl0_inv
	s_clause 0x1
	global_load_dwordx2 v[1:2], v0, s[40:41] offset:40
	global_load_dwordx2 v[5:6], v0, s[40:41]
	s_waitcnt vmcnt(1)
	v_and_b32_e32 v2, v2, v4
	v_and_b32_e32 v1, v1, v3
	v_mul_lo_u32 v2, v2, 24
	v_mul_hi_u32 v7, v1, 24
	v_mul_lo_u32 v1, v1, 24
	v_add_nc_u32_e32 v2, v7, v2
	s_waitcnt vmcnt(0)
	v_add_co_u32 v1, vcc_lo, v5, v1
	v_add_co_ci_u32_e32 v2, vcc_lo, v6, v2, vcc_lo
	global_load_dwordx2 v[1:2], v[1:2], off glc dlc
	s_waitcnt vmcnt(0)
	global_atomic_cmpswap_x2 v[6:7], v0, v[1:4], s[40:41] offset:24 glc
	s_waitcnt vmcnt(0)
	buffer_gl1_inv
	buffer_gl0_inv
	v_cmpx_ne_u64_e64 v[6:7], v[3:4]
	s_cbranch_execz .LBB9_659
; %bb.656:
	s_mov_b32 s7, 0
	.p2align	6
.LBB9_657:                              ; =>This Inner Loop Header: Depth=1
	s_sleep 1
	s_clause 0x1
	global_load_dwordx2 v[1:2], v0, s[40:41] offset:40
	global_load_dwordx2 v[8:9], v0, s[40:41]
	v_mov_b32_e32 v3, v6
	v_mov_b32_e32 v4, v7
	s_waitcnt vmcnt(1)
	v_and_b32_e32 v1, v1, v3
	v_and_b32_e32 v2, v2, v4
	s_waitcnt vmcnt(0)
	v_mad_u64_u32 v[5:6], null, v1, 24, v[8:9]
	v_mov_b32_e32 v1, v6
	v_mad_u64_u32 v[1:2], null, v2, 24, v[1:2]
	v_mov_b32_e32 v6, v1
	global_load_dwordx2 v[1:2], v[5:6], off glc dlc
	s_waitcnt vmcnt(0)
	global_atomic_cmpswap_x2 v[6:7], v0, v[1:4], s[40:41] offset:24 glc
	s_waitcnt vmcnt(0)
	buffer_gl1_inv
	buffer_gl0_inv
	v_cmp_eq_u64_e32 vcc_lo, v[6:7], v[3:4]
	s_or_b32 s7, vcc_lo, s7
	s_andn2_b32 exec_lo, exec_lo, s7
	s_cbranch_execnz .LBB9_657
; %bb.658:
	s_or_b32 exec_lo, exec_lo, s7
.LBB9_659:
	s_or_b32 exec_lo, exec_lo, s6
.LBB9_660:
	s_or_b32 exec_lo, exec_lo, s5
	v_mov_b32_e32 v5, 0
	v_readfirstlane_b32 s6, v6
	v_readfirstlane_b32 s7, v7
	s_mov_b32 s5, exec_lo
	s_clause 0x1
	global_load_dwordx2 v[8:9], v5, s[40:41] offset:40
	global_load_dwordx4 v[0:3], v5, s[40:41]
	s_waitcnt vmcnt(1)
	v_readfirstlane_b32 s10, v8
	v_readfirstlane_b32 s11, v9
	s_and_b64 s[10:11], s[6:7], s[10:11]
	s_mul_i32 s16, s11, 24
	s_mul_hi_u32 s17, s10, 24
	s_mul_i32 s18, s10, 24
	s_add_i32 s17, s17, s16
	s_waitcnt vmcnt(0)
	v_add_co_u32 v8, vcc_lo, v0, s18
	v_add_co_ci_u32_e32 v9, vcc_lo, s17, v1, vcc_lo
	s_and_saveexec_b32 s16, s4
	s_cbranch_execz .LBB9_662
; %bb.661:
	v_mov_b32_e32 v4, s5
	v_mov_b32_e32 v6, 2
	;; [unrolled: 1-line block ×3, first 2 shown]
	global_store_dwordx4 v[8:9], v[4:7], off offset:8
.LBB9_662:
	s_or_b32 exec_lo, exec_lo, s16
	s_lshl_b64 s[10:11], s[10:11], 12
	s_mov_b32 s16, 0
	v_add_co_u32 v2, vcc_lo, v2, s10
	v_add_co_ci_u32_e32 v3, vcc_lo, s11, v3, vcc_lo
	s_mov_b32 s17, s16
	v_add_co_u32 v10, vcc_lo, v2, v68
	s_mov_b32 s18, s16
	s_mov_b32 s19, s16
	v_mov_b32_e32 v4, 33
	v_mov_b32_e32 v6, v5
	v_mov_b32_e32 v7, v5
	v_readfirstlane_b32 s10, v2
	v_readfirstlane_b32 s11, v3
	v_mov_b32_e32 v12, s16
	v_add_co_ci_u32_e32 v11, vcc_lo, 0, v3, vcc_lo
	v_mov_b32_e32 v13, s17
	v_mov_b32_e32 v14, s18
	;; [unrolled: 1-line block ×3, first 2 shown]
	global_store_dwordx4 v68, v[4:7], s[10:11]
	global_store_dwordx4 v68, v[12:15], s[10:11] offset:16
	global_store_dwordx4 v68, v[12:15], s[10:11] offset:32
	;; [unrolled: 1-line block ×3, first 2 shown]
	s_and_saveexec_b32 s5, s4
	s_cbranch_execz .LBB9_670
; %bb.663:
	v_mov_b32_e32 v6, 0
	v_mov_b32_e32 v12, s6
	;; [unrolled: 1-line block ×3, first 2 shown]
	s_clause 0x1
	global_load_dwordx2 v[14:15], v6, s[40:41] offset:32 glc dlc
	global_load_dwordx2 v[2:3], v6, s[40:41] offset:40
	s_waitcnt vmcnt(0)
	v_readfirstlane_b32 s10, v2
	v_readfirstlane_b32 s11, v3
	s_and_b64 s[10:11], s[10:11], s[6:7]
	s_mul_i32 s11, s11, 24
	s_mul_hi_u32 s16, s10, 24
	s_mul_i32 s10, s10, 24
	s_add_i32 s16, s16, s11
	v_add_co_u32 v4, vcc_lo, v0, s10
	v_add_co_ci_u32_e32 v5, vcc_lo, s16, v1, vcc_lo
	s_mov_b32 s10, exec_lo
	global_store_dwordx2 v[4:5], v[14:15], off
	s_waitcnt_vscnt null, 0x0
	global_atomic_cmpswap_x2 v[2:3], v6, v[12:15], s[40:41] offset:32 glc
	s_waitcnt vmcnt(0)
	v_cmpx_ne_u64_e64 v[2:3], v[14:15]
	s_cbranch_execz .LBB9_666
; %bb.664:
	s_mov_b32 s11, 0
.LBB9_665:                              ; =>This Inner Loop Header: Depth=1
	v_mov_b32_e32 v0, s6
	v_mov_b32_e32 v1, s7
	s_sleep 1
	global_store_dwordx2 v[4:5], v[2:3], off
	s_waitcnt_vscnt null, 0x0
	global_atomic_cmpswap_x2 v[0:1], v6, v[0:3], s[40:41] offset:32 glc
	s_waitcnt vmcnt(0)
	v_cmp_eq_u64_e32 vcc_lo, v[0:1], v[2:3]
	v_mov_b32_e32 v3, v1
	v_mov_b32_e32 v2, v0
	s_or_b32 s11, vcc_lo, s11
	s_andn2_b32 exec_lo, exec_lo, s11
	s_cbranch_execnz .LBB9_665
.LBB9_666:
	s_or_b32 exec_lo, exec_lo, s10
	v_mov_b32_e32 v3, 0
	s_mov_b32 s11, exec_lo
	s_mov_b32 s10, exec_lo
	v_mbcnt_lo_u32_b32 v2, s11, 0
	global_load_dwordx2 v[0:1], v3, s[40:41] offset:16
	v_cmpx_eq_u32_e32 0, v2
	s_cbranch_execz .LBB9_668
; %bb.667:
	s_bcnt1_i32_b32 s11, s11
	v_mov_b32_e32 v2, s11
	s_waitcnt vmcnt(0)
	global_atomic_add_x2 v[0:1], v[2:3], off offset:8
.LBB9_668:
	s_or_b32 exec_lo, exec_lo, s10
	s_waitcnt vmcnt(0)
	global_load_dwordx2 v[2:3], v[0:1], off offset:16
	s_waitcnt vmcnt(0)
	v_cmp_eq_u64_e32 vcc_lo, 0, v[2:3]
	s_cbranch_vccnz .LBB9_670
; %bb.669:
	global_load_dword v0, v[0:1], off offset:24
	v_mov_b32_e32 v1, 0
	s_waitcnt vmcnt(0)
	v_and_b32_e32 v4, 0x7fffff, v0
	s_waitcnt_vscnt null, 0x0
	global_store_dwordx2 v[2:3], v[0:1], off
	v_readfirstlane_b32 m0, v4
	s_sendmsg sendmsg(MSG_INTERRUPT)
.LBB9_670:
	s_or_b32 exec_lo, exec_lo, s5
	s_branch .LBB9_674
	.p2align	6
.LBB9_671:                              ;   in Loop: Header=BB9_674 Depth=1
	s_or_b32 exec_lo, exec_lo, s5
	v_readfirstlane_b32 s5, v0
	s_cmp_eq_u32 s5, 0
	s_cbranch_scc1 .LBB9_673
; %bb.672:                              ;   in Loop: Header=BB9_674 Depth=1
	s_sleep 1
	s_cbranch_execnz .LBB9_674
	s_branch .LBB9_676
	.p2align	6
.LBB9_673:
	s_branch .LBB9_676
.LBB9_674:                              ; =>This Inner Loop Header: Depth=1
	v_mov_b32_e32 v0, 1
	s_and_saveexec_b32 s5, s4
	s_cbranch_execz .LBB9_671
; %bb.675:                              ;   in Loop: Header=BB9_674 Depth=1
	global_load_dword v0, v[8:9], off offset:20 glc dlc
	s_waitcnt vmcnt(0)
	buffer_gl1_inv
	buffer_gl0_inv
	v_and_b32_e32 v0, 1, v0
	s_branch .LBB9_671
.LBB9_676:
	global_load_dwordx2 v[0:1], v[10:11], off
	s_and_saveexec_b32 s5, s4
	s_cbranch_execz .LBB9_680
; %bb.677:
	v_mov_b32_e32 v8, 0
	s_clause 0x2
	global_load_dwordx2 v[4:5], v8, s[40:41] offset:40
	global_load_dwordx2 v[9:10], v8, s[40:41] offset:24 glc dlc
	global_load_dwordx2 v[6:7], v8, s[40:41]
	s_waitcnt vmcnt(2)
	v_add_co_u32 v11, vcc_lo, v4, 1
	v_add_co_ci_u32_e32 v12, vcc_lo, 0, v5, vcc_lo
	v_add_co_u32 v2, vcc_lo, v11, s6
	v_add_co_ci_u32_e32 v3, vcc_lo, s7, v12, vcc_lo
	v_cmp_eq_u64_e32 vcc_lo, 0, v[2:3]
	v_cndmask_b32_e32 v3, v3, v12, vcc_lo
	v_cndmask_b32_e32 v2, v2, v11, vcc_lo
	v_and_b32_e32 v5, v3, v5
	v_and_b32_e32 v4, v2, v4
	v_mul_lo_u32 v5, v5, 24
	v_mul_hi_u32 v11, v4, 24
	v_mul_lo_u32 v4, v4, 24
	v_add_nc_u32_e32 v5, v11, v5
	s_waitcnt vmcnt(0)
	v_add_co_u32 v6, vcc_lo, v6, v4
	v_mov_b32_e32 v4, v9
	v_add_co_ci_u32_e32 v7, vcc_lo, v7, v5, vcc_lo
	v_mov_b32_e32 v5, v10
	global_store_dwordx2 v[6:7], v[9:10], off
	s_waitcnt_vscnt null, 0x0
	global_atomic_cmpswap_x2 v[4:5], v8, v[2:5], s[40:41] offset:24 glc
	s_waitcnt vmcnt(0)
	v_cmp_ne_u64_e32 vcc_lo, v[4:5], v[9:10]
	s_and_b32 exec_lo, exec_lo, vcc_lo
	s_cbranch_execz .LBB9_680
; %bb.678:
	s_mov_b32 s4, 0
.LBB9_679:                              ; =>This Inner Loop Header: Depth=1
	s_sleep 1
	global_store_dwordx2 v[6:7], v[4:5], off
	s_waitcnt_vscnt null, 0x0
	global_atomic_cmpswap_x2 v[9:10], v8, v[2:5], s[40:41] offset:24 glc
	s_waitcnt vmcnt(0)
	v_cmp_eq_u64_e32 vcc_lo, v[9:10], v[4:5]
	v_mov_b32_e32 v4, v9
	v_mov_b32_e32 v5, v10
	s_or_b32 s4, vcc_lo, s4
	s_andn2_b32 exec_lo, exec_lo, s4
	s_cbranch_execnz .LBB9_679
.LBB9_680:
	s_or_b32 exec_lo, exec_lo, s5
	s_and_b32 vcc_lo, exec_lo, s43
	s_cbranch_vccz .LBB9_759
; %bb.681:
	s_waitcnt vmcnt(0)
	v_and_b32_e32 v31, 2, v0
	v_mov_b32_e32 v6, 0
	v_and_b32_e32 v2, -3, v0
	v_mov_b32_e32 v3, v1
	v_mov_b32_e32 v7, 2
	;; [unrolled: 1-line block ×3, first 2 shown]
	s_mov_b64 s[10:11], 3
	s_getpc_b64 s[6:7]
	s_add_u32 s6, s6, .str.6@rel32@lo+4
	s_addc_u32 s7, s7, .str.6@rel32@hi+12
	s_branch .LBB9_683
.LBB9_682:                              ;   in Loop: Header=BB9_683 Depth=1
	s_or_b32 exec_lo, exec_lo, s5
	s_sub_u32 s10, s10, s16
	s_subb_u32 s11, s11, s17
	s_add_u32 s6, s6, s16
	s_addc_u32 s7, s7, s17
	s_cmp_lg_u64 s[10:11], 0
	s_cbranch_scc0 .LBB9_758
.LBB9_683:                              ; =>This Loop Header: Depth=1
                                        ;     Child Loop BB9_692 Depth 2
                                        ;     Child Loop BB9_688 Depth 2
	;; [unrolled: 1-line block ×11, first 2 shown]
	v_cmp_lt_u64_e64 s4, s[10:11], 56
	v_cmp_gt_u64_e64 s5, s[10:11], 7
                                        ; implicit-def: $vgpr11_vgpr12
                                        ; implicit-def: $sgpr22
	s_and_b32 s4, s4, exec_lo
	s_cselect_b32 s17, s11, 0
	s_cselect_b32 s16, s10, 56
	s_and_b32 vcc_lo, exec_lo, s5
	s_mov_b32 s4, -1
	s_cbranch_vccz .LBB9_690
; %bb.684:                              ;   in Loop: Header=BB9_683 Depth=1
	s_andn2_b32 vcc_lo, exec_lo, s4
	s_mov_b64 s[4:5], s[6:7]
	s_cbranch_vccz .LBB9_694
.LBB9_685:                              ;   in Loop: Header=BB9_683 Depth=1
	s_cmp_gt_u32 s22, 7
	s_cbranch_scc1 .LBB9_695
.LBB9_686:                              ;   in Loop: Header=BB9_683 Depth=1
	v_mov_b32_e32 v13, 0
	v_mov_b32_e32 v14, 0
	s_cmp_eq_u32 s22, 0
	s_cbranch_scc1 .LBB9_689
; %bb.687:                              ;   in Loop: Header=BB9_683 Depth=1
	s_mov_b64 s[18:19], 0
	s_mov_b64 s[20:21], 0
.LBB9_688:                              ;   Parent Loop BB9_683 Depth=1
                                        ; =>  This Inner Loop Header: Depth=2
	s_add_u32 s24, s4, s20
	s_addc_u32 s25, s5, s21
	s_add_u32 s20, s20, 1
	global_load_ubyte v4, v6, s[24:25]
	s_addc_u32 s21, s21, 0
	s_waitcnt vmcnt(0)
	v_and_b32_e32 v5, 0xffff, v4
	v_lshlrev_b64 v[4:5], s18, v[5:6]
	s_add_u32 s18, s18, 8
	s_addc_u32 s19, s19, 0
	s_cmp_lg_u32 s22, s20
	v_or_b32_e32 v13, v4, v13
	v_or_b32_e32 v14, v5, v14
	s_cbranch_scc1 .LBB9_688
.LBB9_689:                              ;   in Loop: Header=BB9_683 Depth=1
	s_mov_b32 s23, 0
	s_cbranch_execz .LBB9_696
	s_branch .LBB9_697
.LBB9_690:                              ;   in Loop: Header=BB9_683 Depth=1
	v_mov_b32_e32 v11, 0
	v_mov_b32_e32 v12, 0
	s_cmp_eq_u64 s[10:11], 0
	s_mov_b64 s[4:5], 0
	s_cbranch_scc1 .LBB9_693
; %bb.691:                              ;   in Loop: Header=BB9_683 Depth=1
	v_mov_b32_e32 v11, 0
	v_mov_b32_e32 v12, 0
	s_lshl_b64 s[18:19], s[16:17], 3
	s_mov_b64 s[20:21], s[6:7]
.LBB9_692:                              ;   Parent Loop BB9_683 Depth=1
                                        ; =>  This Inner Loop Header: Depth=2
	global_load_ubyte v4, v6, s[20:21]
	s_waitcnt vmcnt(0)
	v_and_b32_e32 v5, 0xffff, v4
	v_lshlrev_b64 v[4:5], s4, v[5:6]
	s_add_u32 s4, s4, 8
	s_addc_u32 s5, s5, 0
	s_add_u32 s20, s20, 1
	s_addc_u32 s21, s21, 0
	s_cmp_lg_u32 s18, s4
	v_or_b32_e32 v11, v4, v11
	v_or_b32_e32 v12, v5, v12
	s_cbranch_scc1 .LBB9_692
.LBB9_693:                              ;   in Loop: Header=BB9_683 Depth=1
	s_mov_b32 s22, 0
	s_mov_b64 s[4:5], s[6:7]
	s_cbranch_execnz .LBB9_685
.LBB9_694:                              ;   in Loop: Header=BB9_683 Depth=1
	global_load_dwordx2 v[11:12], v6, s[6:7]
	s_add_i32 s22, s16, -8
	s_add_u32 s4, s6, 8
	s_addc_u32 s5, s7, 0
	s_cmp_gt_u32 s22, 7
	s_cbranch_scc0 .LBB9_686
.LBB9_695:                              ;   in Loop: Header=BB9_683 Depth=1
                                        ; implicit-def: $vgpr13_vgpr14
                                        ; implicit-def: $sgpr23
.LBB9_696:                              ;   in Loop: Header=BB9_683 Depth=1
	global_load_dwordx2 v[13:14], v6, s[4:5]
	s_add_i32 s23, s22, -8
	s_add_u32 s4, s4, 8
	s_addc_u32 s5, s5, 0
.LBB9_697:                              ;   in Loop: Header=BB9_683 Depth=1
	s_cmp_gt_u32 s23, 7
	s_cbranch_scc1 .LBB9_702
; %bb.698:                              ;   in Loop: Header=BB9_683 Depth=1
	v_mov_b32_e32 v15, 0
	v_mov_b32_e32 v16, 0
	s_cmp_eq_u32 s23, 0
	s_cbranch_scc1 .LBB9_701
; %bb.699:                              ;   in Loop: Header=BB9_683 Depth=1
	s_mov_b64 s[18:19], 0
	s_mov_b64 s[20:21], 0
.LBB9_700:                              ;   Parent Loop BB9_683 Depth=1
                                        ; =>  This Inner Loop Header: Depth=2
	s_add_u32 s24, s4, s20
	s_addc_u32 s25, s5, s21
	s_add_u32 s20, s20, 1
	global_load_ubyte v4, v6, s[24:25]
	s_addc_u32 s21, s21, 0
	s_waitcnt vmcnt(0)
	v_and_b32_e32 v5, 0xffff, v4
	v_lshlrev_b64 v[4:5], s18, v[5:6]
	s_add_u32 s18, s18, 8
	s_addc_u32 s19, s19, 0
	s_cmp_lg_u32 s23, s20
	v_or_b32_e32 v15, v4, v15
	v_or_b32_e32 v16, v5, v16
	s_cbranch_scc1 .LBB9_700
.LBB9_701:                              ;   in Loop: Header=BB9_683 Depth=1
	s_mov_b32 s22, 0
	s_cbranch_execz .LBB9_703
	s_branch .LBB9_704
.LBB9_702:                              ;   in Loop: Header=BB9_683 Depth=1
                                        ; implicit-def: $sgpr22
.LBB9_703:                              ;   in Loop: Header=BB9_683 Depth=1
	global_load_dwordx2 v[15:16], v6, s[4:5]
	s_add_i32 s22, s23, -8
	s_add_u32 s4, s4, 8
	s_addc_u32 s5, s5, 0
.LBB9_704:                              ;   in Loop: Header=BB9_683 Depth=1
	s_cmp_gt_u32 s22, 7
	s_cbranch_scc1 .LBB9_709
; %bb.705:                              ;   in Loop: Header=BB9_683 Depth=1
	v_mov_b32_e32 v17, 0
	v_mov_b32_e32 v18, 0
	s_cmp_eq_u32 s22, 0
	s_cbranch_scc1 .LBB9_708
; %bb.706:                              ;   in Loop: Header=BB9_683 Depth=1
	s_mov_b64 s[18:19], 0
	s_mov_b64 s[20:21], 0
.LBB9_707:                              ;   Parent Loop BB9_683 Depth=1
                                        ; =>  This Inner Loop Header: Depth=2
	s_add_u32 s24, s4, s20
	s_addc_u32 s25, s5, s21
	s_add_u32 s20, s20, 1
	global_load_ubyte v4, v6, s[24:25]
	s_addc_u32 s21, s21, 0
	s_waitcnt vmcnt(0)
	v_and_b32_e32 v5, 0xffff, v4
	v_lshlrev_b64 v[4:5], s18, v[5:6]
	s_add_u32 s18, s18, 8
	s_addc_u32 s19, s19, 0
	s_cmp_lg_u32 s22, s20
	v_or_b32_e32 v17, v4, v17
	v_or_b32_e32 v18, v5, v18
	s_cbranch_scc1 .LBB9_707
.LBB9_708:                              ;   in Loop: Header=BB9_683 Depth=1
	s_mov_b32 s23, 0
	s_cbranch_execz .LBB9_710
	s_branch .LBB9_711
.LBB9_709:                              ;   in Loop: Header=BB9_683 Depth=1
                                        ; implicit-def: $vgpr17_vgpr18
                                        ; implicit-def: $sgpr23
.LBB9_710:                              ;   in Loop: Header=BB9_683 Depth=1
	global_load_dwordx2 v[17:18], v6, s[4:5]
	s_add_i32 s23, s22, -8
	s_add_u32 s4, s4, 8
	s_addc_u32 s5, s5, 0
.LBB9_711:                              ;   in Loop: Header=BB9_683 Depth=1
	s_cmp_gt_u32 s23, 7
	s_cbranch_scc1 .LBB9_716
; %bb.712:                              ;   in Loop: Header=BB9_683 Depth=1
	v_mov_b32_e32 v19, 0
	v_mov_b32_e32 v20, 0
	s_cmp_eq_u32 s23, 0
	s_cbranch_scc1 .LBB9_715
; %bb.713:                              ;   in Loop: Header=BB9_683 Depth=1
	s_mov_b64 s[18:19], 0
	s_mov_b64 s[20:21], 0
.LBB9_714:                              ;   Parent Loop BB9_683 Depth=1
                                        ; =>  This Inner Loop Header: Depth=2
	s_add_u32 s24, s4, s20
	s_addc_u32 s25, s5, s21
	s_add_u32 s20, s20, 1
	global_load_ubyte v4, v6, s[24:25]
	s_addc_u32 s21, s21, 0
	s_waitcnt vmcnt(0)
	v_and_b32_e32 v5, 0xffff, v4
	v_lshlrev_b64 v[4:5], s18, v[5:6]
	s_add_u32 s18, s18, 8
	s_addc_u32 s19, s19, 0
	s_cmp_lg_u32 s23, s20
	v_or_b32_e32 v19, v4, v19
	v_or_b32_e32 v20, v5, v20
	s_cbranch_scc1 .LBB9_714
.LBB9_715:                              ;   in Loop: Header=BB9_683 Depth=1
	s_mov_b32 s22, 0
	s_cbranch_execz .LBB9_717
	s_branch .LBB9_718
.LBB9_716:                              ;   in Loop: Header=BB9_683 Depth=1
                                        ; implicit-def: $sgpr22
.LBB9_717:                              ;   in Loop: Header=BB9_683 Depth=1
	global_load_dwordx2 v[19:20], v6, s[4:5]
	s_add_i32 s22, s23, -8
	s_add_u32 s4, s4, 8
	s_addc_u32 s5, s5, 0
.LBB9_718:                              ;   in Loop: Header=BB9_683 Depth=1
	s_cmp_gt_u32 s22, 7
	s_cbranch_scc1 .LBB9_723
; %bb.719:                              ;   in Loop: Header=BB9_683 Depth=1
	v_mov_b32_e32 v21, 0
	v_mov_b32_e32 v22, 0
	s_cmp_eq_u32 s22, 0
	s_cbranch_scc1 .LBB9_722
; %bb.720:                              ;   in Loop: Header=BB9_683 Depth=1
	s_mov_b64 s[18:19], 0
	s_mov_b64 s[20:21], 0
.LBB9_721:                              ;   Parent Loop BB9_683 Depth=1
                                        ; =>  This Inner Loop Header: Depth=2
	s_add_u32 s24, s4, s20
	s_addc_u32 s25, s5, s21
	s_add_u32 s20, s20, 1
	global_load_ubyte v4, v6, s[24:25]
	s_addc_u32 s21, s21, 0
	s_waitcnt vmcnt(0)
	v_and_b32_e32 v5, 0xffff, v4
	v_lshlrev_b64 v[4:5], s18, v[5:6]
	s_add_u32 s18, s18, 8
	s_addc_u32 s19, s19, 0
	s_cmp_lg_u32 s22, s20
	v_or_b32_e32 v21, v4, v21
	v_or_b32_e32 v22, v5, v22
	s_cbranch_scc1 .LBB9_721
.LBB9_722:                              ;   in Loop: Header=BB9_683 Depth=1
	s_mov_b32 s23, 0
	s_cbranch_execz .LBB9_724
	s_branch .LBB9_725
.LBB9_723:                              ;   in Loop: Header=BB9_683 Depth=1
                                        ; implicit-def: $vgpr21_vgpr22
                                        ; implicit-def: $sgpr23
.LBB9_724:                              ;   in Loop: Header=BB9_683 Depth=1
	global_load_dwordx2 v[21:22], v6, s[4:5]
	s_add_i32 s23, s22, -8
	s_add_u32 s4, s4, 8
	s_addc_u32 s5, s5, 0
.LBB9_725:                              ;   in Loop: Header=BB9_683 Depth=1
	s_cmp_gt_u32 s23, 7
	s_cbranch_scc1 .LBB9_730
; %bb.726:                              ;   in Loop: Header=BB9_683 Depth=1
	v_mov_b32_e32 v23, 0
	v_mov_b32_e32 v24, 0
	s_cmp_eq_u32 s23, 0
	s_cbranch_scc1 .LBB9_729
; %bb.727:                              ;   in Loop: Header=BB9_683 Depth=1
	s_mov_b64 s[18:19], 0
	s_mov_b64 s[20:21], s[4:5]
.LBB9_728:                              ;   Parent Loop BB9_683 Depth=1
                                        ; =>  This Inner Loop Header: Depth=2
	global_load_ubyte v4, v6, s[20:21]
	s_add_i32 s23, s23, -1
	s_waitcnt vmcnt(0)
	v_and_b32_e32 v5, 0xffff, v4
	v_lshlrev_b64 v[4:5], s18, v[5:6]
	s_add_u32 s18, s18, 8
	s_addc_u32 s19, s19, 0
	s_add_u32 s20, s20, 1
	s_addc_u32 s21, s21, 0
	s_cmp_lg_u32 s23, 0
	v_or_b32_e32 v23, v4, v23
	v_or_b32_e32 v24, v5, v24
	s_cbranch_scc1 .LBB9_728
.LBB9_729:                              ;   in Loop: Header=BB9_683 Depth=1
	s_cbranch_execz .LBB9_731
	s_branch .LBB9_732
.LBB9_730:                              ;   in Loop: Header=BB9_683 Depth=1
.LBB9_731:                              ;   in Loop: Header=BB9_683 Depth=1
	global_load_dwordx2 v[23:24], v6, s[4:5]
.LBB9_732:                              ;   in Loop: Header=BB9_683 Depth=1
	v_readfirstlane_b32 s4, v69
	s_waitcnt vmcnt(0)
	v_mov_b32_e32 v4, 0
	v_mov_b32_e32 v5, 0
	v_cmp_eq_u32_e64 s4, s4, v69
	s_and_saveexec_b32 s5, s4
	s_cbranch_execz .LBB9_738
; %bb.733:                              ;   in Loop: Header=BB9_683 Depth=1
	global_load_dwordx2 v[27:28], v6, s[40:41] offset:24 glc dlc
	s_waitcnt vmcnt(0)
	buffer_gl1_inv
	buffer_gl0_inv
	s_clause 0x1
	global_load_dwordx2 v[4:5], v6, s[40:41] offset:40
	global_load_dwordx2 v[9:10], v6, s[40:41]
	s_mov_b32 s18, exec_lo
	s_waitcnt vmcnt(1)
	v_and_b32_e32 v5, v5, v28
	v_and_b32_e32 v4, v4, v27
	v_mul_lo_u32 v5, v5, 24
	v_mul_hi_u32 v25, v4, 24
	v_mul_lo_u32 v4, v4, 24
	v_add_nc_u32_e32 v5, v25, v5
	s_waitcnt vmcnt(0)
	v_add_co_u32 v4, vcc_lo, v9, v4
	v_add_co_ci_u32_e32 v5, vcc_lo, v10, v5, vcc_lo
	global_load_dwordx2 v[25:26], v[4:5], off glc dlc
	s_waitcnt vmcnt(0)
	global_atomic_cmpswap_x2 v[4:5], v6, v[25:28], s[40:41] offset:24 glc
	s_waitcnt vmcnt(0)
	buffer_gl1_inv
	buffer_gl0_inv
	v_cmpx_ne_u64_e64 v[4:5], v[27:28]
	s_cbranch_execz .LBB9_737
; %bb.734:                              ;   in Loop: Header=BB9_683 Depth=1
	s_mov_b32 s19, 0
	.p2align	6
.LBB9_735:                              ;   Parent Loop BB9_683 Depth=1
                                        ; =>  This Inner Loop Header: Depth=2
	s_sleep 1
	s_clause 0x1
	global_load_dwordx2 v[9:10], v6, s[40:41] offset:40
	global_load_dwordx2 v[25:26], v6, s[40:41]
	v_mov_b32_e32 v28, v5
	v_mov_b32_e32 v27, v4
	s_waitcnt vmcnt(1)
	v_and_b32_e32 v4, v9, v27
	v_and_b32_e32 v9, v10, v28
	s_waitcnt vmcnt(0)
	v_mad_u64_u32 v[4:5], null, v4, 24, v[25:26]
	v_mad_u64_u32 v[9:10], null, v9, 24, v[5:6]
	v_mov_b32_e32 v5, v9
	global_load_dwordx2 v[25:26], v[4:5], off glc dlc
	s_waitcnt vmcnt(0)
	global_atomic_cmpswap_x2 v[4:5], v6, v[25:28], s[40:41] offset:24 glc
	s_waitcnt vmcnt(0)
	buffer_gl1_inv
	buffer_gl0_inv
	v_cmp_eq_u64_e32 vcc_lo, v[4:5], v[27:28]
	s_or_b32 s19, vcc_lo, s19
	s_andn2_b32 exec_lo, exec_lo, s19
	s_cbranch_execnz .LBB9_735
; %bb.736:                              ;   in Loop: Header=BB9_683 Depth=1
	s_or_b32 exec_lo, exec_lo, s19
.LBB9_737:                              ;   in Loop: Header=BB9_683 Depth=1
	s_or_b32 exec_lo, exec_lo, s18
.LBB9_738:                              ;   in Loop: Header=BB9_683 Depth=1
	s_or_b32 exec_lo, exec_lo, s5
	s_clause 0x1
	global_load_dwordx2 v[9:10], v6, s[40:41] offset:40
	global_load_dwordx4 v[25:28], v6, s[40:41]
	v_readfirstlane_b32 s18, v4
	v_readfirstlane_b32 s19, v5
	s_mov_b32 s5, exec_lo
	s_waitcnt vmcnt(1)
	v_readfirstlane_b32 s20, v9
	v_readfirstlane_b32 s21, v10
	s_and_b64 s[20:21], s[18:19], s[20:21]
	s_mul_i32 s22, s21, 24
	s_mul_hi_u32 s23, s20, 24
	s_mul_i32 s24, s20, 24
	s_add_i32 s23, s23, s22
	s_waitcnt vmcnt(0)
	v_add_co_u32 v29, vcc_lo, v25, s24
	v_add_co_ci_u32_e32 v30, vcc_lo, s23, v26, vcc_lo
	s_and_saveexec_b32 s22, s4
	s_cbranch_execz .LBB9_740
; %bb.739:                              ;   in Loop: Header=BB9_683 Depth=1
	v_mov_b32_e32 v5, s5
	global_store_dwordx4 v[29:30], v[5:8], off offset:8
.LBB9_740:                              ;   in Loop: Header=BB9_683 Depth=1
	s_or_b32 exec_lo, exec_lo, s22
	s_lshl_b64 s[20:21], s[20:21], 12
	v_cmp_gt_u64_e64 vcc_lo, s[10:11], 56
	v_or_b32_e32 v5, v2, v31
	v_add_co_u32 v27, s5, v27, s20
	v_add_co_ci_u32_e64 v28, s5, s21, v28, s5
	s_lshl_b32 s5, s16, 2
	v_or_b32_e32 v4, 0, v3
	v_cndmask_b32_e32 v2, v5, v2, vcc_lo
	s_add_i32 s5, s5, 28
	v_readfirstlane_b32 s20, v27
	s_and_b32 s5, s5, 0x1e0
	v_cndmask_b32_e32 v10, v4, v3, vcc_lo
	v_readfirstlane_b32 s21, v28
	v_and_or_b32 v9, 0xffffff1f, v2, s5
	global_store_dwordx4 v68, v[9:12], s[20:21]
	global_store_dwordx4 v68, v[13:16], s[20:21] offset:16
	global_store_dwordx4 v68, v[17:20], s[20:21] offset:32
	;; [unrolled: 1-line block ×3, first 2 shown]
	s_and_saveexec_b32 s5, s4
	s_cbranch_execz .LBB9_748
; %bb.741:                              ;   in Loop: Header=BB9_683 Depth=1
	s_clause 0x1
	global_load_dwordx2 v[13:14], v6, s[40:41] offset:32 glc dlc
	global_load_dwordx2 v[2:3], v6, s[40:41] offset:40
	v_mov_b32_e32 v11, s18
	v_mov_b32_e32 v12, s19
	s_waitcnt vmcnt(0)
	v_readfirstlane_b32 s20, v2
	v_readfirstlane_b32 s21, v3
	s_and_b64 s[20:21], s[20:21], s[18:19]
	s_mul_i32 s21, s21, 24
	s_mul_hi_u32 s22, s20, 24
	s_mul_i32 s20, s20, 24
	s_add_i32 s22, s22, s21
	v_add_co_u32 v9, vcc_lo, v25, s20
	v_add_co_ci_u32_e32 v10, vcc_lo, s22, v26, vcc_lo
	s_mov_b32 s20, exec_lo
	global_store_dwordx2 v[9:10], v[13:14], off
	s_waitcnt_vscnt null, 0x0
	global_atomic_cmpswap_x2 v[4:5], v6, v[11:14], s[40:41] offset:32 glc
	s_waitcnt vmcnt(0)
	v_cmpx_ne_u64_e64 v[4:5], v[13:14]
	s_cbranch_execz .LBB9_744
; %bb.742:                              ;   in Loop: Header=BB9_683 Depth=1
	s_mov_b32 s21, 0
.LBB9_743:                              ;   Parent Loop BB9_683 Depth=1
                                        ; =>  This Inner Loop Header: Depth=2
	v_mov_b32_e32 v2, s18
	v_mov_b32_e32 v3, s19
	s_sleep 1
	global_store_dwordx2 v[9:10], v[4:5], off
	s_waitcnt_vscnt null, 0x0
	global_atomic_cmpswap_x2 v[2:3], v6, v[2:5], s[40:41] offset:32 glc
	s_waitcnt vmcnt(0)
	v_cmp_eq_u64_e32 vcc_lo, v[2:3], v[4:5]
	v_mov_b32_e32 v5, v3
	v_mov_b32_e32 v4, v2
	s_or_b32 s21, vcc_lo, s21
	s_andn2_b32 exec_lo, exec_lo, s21
	s_cbranch_execnz .LBB9_743
.LBB9_744:                              ;   in Loop: Header=BB9_683 Depth=1
	s_or_b32 exec_lo, exec_lo, s20
	global_load_dwordx2 v[2:3], v6, s[40:41] offset:16
	s_mov_b32 s21, exec_lo
	s_mov_b32 s20, exec_lo
	v_mbcnt_lo_u32_b32 v4, s21, 0
	v_cmpx_eq_u32_e32 0, v4
	s_cbranch_execz .LBB9_746
; %bb.745:                              ;   in Loop: Header=BB9_683 Depth=1
	s_bcnt1_i32_b32 s21, s21
	v_mov_b32_e32 v5, s21
	s_waitcnt vmcnt(0)
	global_atomic_add_x2 v[2:3], v[5:6], off offset:8
.LBB9_746:                              ;   in Loop: Header=BB9_683 Depth=1
	s_or_b32 exec_lo, exec_lo, s20
	s_waitcnt vmcnt(0)
	global_load_dwordx2 v[9:10], v[2:3], off offset:16
	s_waitcnt vmcnt(0)
	v_cmp_eq_u64_e32 vcc_lo, 0, v[9:10]
	s_cbranch_vccnz .LBB9_748
; %bb.747:                              ;   in Loop: Header=BB9_683 Depth=1
	global_load_dword v5, v[2:3], off offset:24
	s_waitcnt vmcnt(0)
	v_and_b32_e32 v2, 0x7fffff, v5
	s_waitcnt_vscnt null, 0x0
	global_store_dwordx2 v[9:10], v[5:6], off
	v_readfirstlane_b32 m0, v2
	s_sendmsg sendmsg(MSG_INTERRUPT)
.LBB9_748:                              ;   in Loop: Header=BB9_683 Depth=1
	s_or_b32 exec_lo, exec_lo, s5
	v_add_co_u32 v2, vcc_lo, v27, v68
	v_add_co_ci_u32_e32 v3, vcc_lo, 0, v28, vcc_lo
	s_branch .LBB9_752
	.p2align	6
.LBB9_749:                              ;   in Loop: Header=BB9_752 Depth=2
	s_or_b32 exec_lo, exec_lo, s5
	v_readfirstlane_b32 s5, v4
	s_cmp_eq_u32 s5, 0
	s_cbranch_scc1 .LBB9_751
; %bb.750:                              ;   in Loop: Header=BB9_752 Depth=2
	s_sleep 1
	s_cbranch_execnz .LBB9_752
	s_branch .LBB9_754
	.p2align	6
.LBB9_751:                              ;   in Loop: Header=BB9_683 Depth=1
	s_branch .LBB9_754
.LBB9_752:                              ;   Parent Loop BB9_683 Depth=1
                                        ; =>  This Inner Loop Header: Depth=2
	v_mov_b32_e32 v4, 1
	s_and_saveexec_b32 s5, s4
	s_cbranch_execz .LBB9_749
; %bb.753:                              ;   in Loop: Header=BB9_752 Depth=2
	global_load_dword v4, v[29:30], off offset:20 glc dlc
	s_waitcnt vmcnt(0)
	buffer_gl1_inv
	buffer_gl0_inv
	v_and_b32_e32 v4, 1, v4
	s_branch .LBB9_749
.LBB9_754:                              ;   in Loop: Header=BB9_683 Depth=1
	global_load_dwordx4 v[2:5], v[2:3], off
	s_and_saveexec_b32 s5, s4
	s_cbranch_execz .LBB9_682
; %bb.755:                              ;   in Loop: Header=BB9_683 Depth=1
	s_clause 0x2
	global_load_dwordx2 v[4:5], v6, s[40:41] offset:40
	global_load_dwordx2 v[13:14], v6, s[40:41] offset:24 glc dlc
	global_load_dwordx2 v[11:12], v6, s[40:41]
	s_waitcnt vmcnt(2)
	v_add_co_u32 v15, vcc_lo, v4, 1
	v_add_co_ci_u32_e32 v16, vcc_lo, 0, v5, vcc_lo
	v_add_co_u32 v9, vcc_lo, v15, s18
	v_add_co_ci_u32_e32 v10, vcc_lo, s19, v16, vcc_lo
	v_cmp_eq_u64_e32 vcc_lo, 0, v[9:10]
	v_cndmask_b32_e32 v10, v10, v16, vcc_lo
	v_cndmask_b32_e32 v9, v9, v15, vcc_lo
	v_and_b32_e32 v5, v10, v5
	v_and_b32_e32 v4, v9, v4
	v_mul_lo_u32 v5, v5, 24
	v_mul_hi_u32 v15, v4, 24
	v_mul_lo_u32 v4, v4, 24
	v_add_nc_u32_e32 v5, v15, v5
	s_waitcnt vmcnt(0)
	v_add_co_u32 v4, vcc_lo, v11, v4
	v_mov_b32_e32 v11, v13
	v_add_co_ci_u32_e32 v5, vcc_lo, v12, v5, vcc_lo
	v_mov_b32_e32 v12, v14
	global_store_dwordx2 v[4:5], v[13:14], off
	s_waitcnt_vscnt null, 0x0
	global_atomic_cmpswap_x2 v[11:12], v6, v[9:12], s[40:41] offset:24 glc
	s_waitcnt vmcnt(0)
	v_cmp_ne_u64_e32 vcc_lo, v[11:12], v[13:14]
	s_and_b32 exec_lo, exec_lo, vcc_lo
	s_cbranch_execz .LBB9_682
; %bb.756:                              ;   in Loop: Header=BB9_683 Depth=1
	s_mov_b32 s4, 0
.LBB9_757:                              ;   Parent Loop BB9_683 Depth=1
                                        ; =>  This Inner Loop Header: Depth=2
	s_sleep 1
	global_store_dwordx2 v[4:5], v[11:12], off
	s_waitcnt_vscnt null, 0x0
	global_atomic_cmpswap_x2 v[13:14], v6, v[9:12], s[40:41] offset:24 glc
	s_waitcnt vmcnt(0)
	v_cmp_eq_u64_e32 vcc_lo, v[13:14], v[11:12]
	v_mov_b32_e32 v11, v13
	v_mov_b32_e32 v12, v14
	s_or_b32 s4, vcc_lo, s4
	s_andn2_b32 exec_lo, exec_lo, s4
	s_cbranch_execnz .LBB9_757
	s_branch .LBB9_682
.LBB9_758:
	s_branch .LBB9_787
.LBB9_759:
                                        ; implicit-def: $vgpr2_vgpr3
	s_cbranch_execz .LBB9_787
; %bb.760:
	v_readfirstlane_b32 s4, v69
	v_mov_b32_e32 v8, 0
	v_mov_b32_e32 v9, 0
	v_cmp_eq_u32_e64 s4, s4, v69
	s_and_saveexec_b32 s5, s4
	s_cbranch_execz .LBB9_766
; %bb.761:
	s_waitcnt vmcnt(0)
	v_mov_b32_e32 v2, 0
	s_mov_b32 s6, exec_lo
	global_load_dwordx2 v[5:6], v2, s[40:41] offset:24 glc dlc
	s_waitcnt vmcnt(0)
	buffer_gl1_inv
	buffer_gl0_inv
	s_clause 0x1
	global_load_dwordx2 v[3:4], v2, s[40:41] offset:40
	global_load_dwordx2 v[7:8], v2, s[40:41]
	s_waitcnt vmcnt(1)
	v_and_b32_e32 v4, v4, v6
	v_and_b32_e32 v3, v3, v5
	v_mul_lo_u32 v4, v4, 24
	v_mul_hi_u32 v9, v3, 24
	v_mul_lo_u32 v3, v3, 24
	v_add_nc_u32_e32 v4, v9, v4
	s_waitcnt vmcnt(0)
	v_add_co_u32 v3, vcc_lo, v7, v3
	v_add_co_ci_u32_e32 v4, vcc_lo, v8, v4, vcc_lo
	global_load_dwordx2 v[3:4], v[3:4], off glc dlc
	s_waitcnt vmcnt(0)
	global_atomic_cmpswap_x2 v[8:9], v2, v[3:6], s[40:41] offset:24 glc
	s_waitcnt vmcnt(0)
	buffer_gl1_inv
	buffer_gl0_inv
	v_cmpx_ne_u64_e64 v[8:9], v[5:6]
	s_cbranch_execz .LBB9_765
; %bb.762:
	s_mov_b32 s7, 0
	.p2align	6
.LBB9_763:                              ; =>This Inner Loop Header: Depth=1
	s_sleep 1
	s_clause 0x1
	global_load_dwordx2 v[3:4], v2, s[40:41] offset:40
	global_load_dwordx2 v[10:11], v2, s[40:41]
	v_mov_b32_e32 v5, v8
	v_mov_b32_e32 v6, v9
	s_waitcnt vmcnt(1)
	v_and_b32_e32 v3, v3, v5
	v_and_b32_e32 v4, v4, v6
	s_waitcnt vmcnt(0)
	v_mad_u64_u32 v[7:8], null, v3, 24, v[10:11]
	v_mov_b32_e32 v3, v8
	v_mad_u64_u32 v[3:4], null, v4, 24, v[3:4]
	v_mov_b32_e32 v8, v3
	global_load_dwordx2 v[3:4], v[7:8], off glc dlc
	s_waitcnt vmcnt(0)
	global_atomic_cmpswap_x2 v[8:9], v2, v[3:6], s[40:41] offset:24 glc
	s_waitcnt vmcnt(0)
	buffer_gl1_inv
	buffer_gl0_inv
	v_cmp_eq_u64_e32 vcc_lo, v[8:9], v[5:6]
	s_or_b32 s7, vcc_lo, s7
	s_andn2_b32 exec_lo, exec_lo, s7
	s_cbranch_execnz .LBB9_763
; %bb.764:
	s_or_b32 exec_lo, exec_lo, s7
.LBB9_765:
	s_or_b32 exec_lo, exec_lo, s6
.LBB9_766:
	s_or_b32 exec_lo, exec_lo, s5
	s_waitcnt vmcnt(0)
	v_mov_b32_e32 v2, 0
	v_readfirstlane_b32 s6, v8
	v_readfirstlane_b32 s7, v9
	s_mov_b32 s5, exec_lo
	s_clause 0x1
	global_load_dwordx2 v[10:11], v2, s[40:41] offset:40
	global_load_dwordx4 v[4:7], v2, s[40:41]
	s_waitcnt vmcnt(1)
	v_readfirstlane_b32 s10, v10
	v_readfirstlane_b32 s11, v11
	s_and_b64 s[10:11], s[6:7], s[10:11]
	s_mul_i32 s16, s11, 24
	s_mul_hi_u32 s17, s10, 24
	s_mul_i32 s18, s10, 24
	s_add_i32 s17, s17, s16
	s_waitcnt vmcnt(0)
	v_add_co_u32 v8, vcc_lo, v4, s18
	v_add_co_ci_u32_e32 v9, vcc_lo, s17, v5, vcc_lo
	s_and_saveexec_b32 s16, s4
	s_cbranch_execz .LBB9_768
; %bb.767:
	v_mov_b32_e32 v10, s5
	v_mov_b32_e32 v11, v2
	;; [unrolled: 1-line block ×4, first 2 shown]
	global_store_dwordx4 v[8:9], v[10:13], off offset:8
.LBB9_768:
	s_or_b32 exec_lo, exec_lo, s16
	s_lshl_b64 s[10:11], s[10:11], 12
	s_mov_b32 s16, 0
	v_add_co_u32 v6, vcc_lo, v6, s10
	v_add_co_ci_u32_e32 v7, vcc_lo, s11, v7, vcc_lo
	s_mov_b32 s17, s16
	v_readfirstlane_b32 s10, v6
	v_add_co_u32 v6, vcc_lo, v6, v68
	s_mov_b32 s18, s16
	s_mov_b32 s19, s16
	v_and_or_b32 v0, 0xffffff1f, v0, 32
	v_mov_b32_e32 v3, v2
	v_readfirstlane_b32 s11, v7
	v_mov_b32_e32 v10, s16
	v_add_co_ci_u32_e32 v7, vcc_lo, 0, v7, vcc_lo
	v_mov_b32_e32 v11, s17
	v_mov_b32_e32 v12, s18
	;; [unrolled: 1-line block ×3, first 2 shown]
	global_store_dwordx4 v68, v[0:3], s[10:11]
	global_store_dwordx4 v68, v[10:13], s[10:11] offset:16
	global_store_dwordx4 v68, v[10:13], s[10:11] offset:32
	;; [unrolled: 1-line block ×3, first 2 shown]
	s_and_saveexec_b32 s5, s4
	s_cbranch_execz .LBB9_776
; %bb.769:
	v_mov_b32_e32 v10, 0
	v_mov_b32_e32 v11, s6
	;; [unrolled: 1-line block ×3, first 2 shown]
	s_clause 0x1
	global_load_dwordx2 v[13:14], v10, s[40:41] offset:32 glc dlc
	global_load_dwordx2 v[0:1], v10, s[40:41] offset:40
	s_waitcnt vmcnt(0)
	v_readfirstlane_b32 s10, v0
	v_readfirstlane_b32 s11, v1
	s_and_b64 s[10:11], s[10:11], s[6:7]
	s_mul_i32 s11, s11, 24
	s_mul_hi_u32 s16, s10, 24
	s_mul_i32 s10, s10, 24
	s_add_i32 s16, s16, s11
	v_add_co_u32 v4, vcc_lo, v4, s10
	v_add_co_ci_u32_e32 v5, vcc_lo, s16, v5, vcc_lo
	s_mov_b32 s10, exec_lo
	global_store_dwordx2 v[4:5], v[13:14], off
	s_waitcnt_vscnt null, 0x0
	global_atomic_cmpswap_x2 v[2:3], v10, v[11:14], s[40:41] offset:32 glc
	s_waitcnt vmcnt(0)
	v_cmpx_ne_u64_e64 v[2:3], v[13:14]
	s_cbranch_execz .LBB9_772
; %bb.770:
	s_mov_b32 s11, 0
.LBB9_771:                              ; =>This Inner Loop Header: Depth=1
	v_mov_b32_e32 v0, s6
	v_mov_b32_e32 v1, s7
	s_sleep 1
	global_store_dwordx2 v[4:5], v[2:3], off
	s_waitcnt_vscnt null, 0x0
	global_atomic_cmpswap_x2 v[0:1], v10, v[0:3], s[40:41] offset:32 glc
	s_waitcnt vmcnt(0)
	v_cmp_eq_u64_e32 vcc_lo, v[0:1], v[2:3]
	v_mov_b32_e32 v3, v1
	v_mov_b32_e32 v2, v0
	s_or_b32 s11, vcc_lo, s11
	s_andn2_b32 exec_lo, exec_lo, s11
	s_cbranch_execnz .LBB9_771
.LBB9_772:
	s_or_b32 exec_lo, exec_lo, s10
	v_mov_b32_e32 v3, 0
	s_mov_b32 s11, exec_lo
	s_mov_b32 s10, exec_lo
	v_mbcnt_lo_u32_b32 v2, s11, 0
	global_load_dwordx2 v[0:1], v3, s[40:41] offset:16
	v_cmpx_eq_u32_e32 0, v2
	s_cbranch_execz .LBB9_774
; %bb.773:
	s_bcnt1_i32_b32 s11, s11
	v_mov_b32_e32 v2, s11
	s_waitcnt vmcnt(0)
	global_atomic_add_x2 v[0:1], v[2:3], off offset:8
.LBB9_774:
	s_or_b32 exec_lo, exec_lo, s10
	s_waitcnt vmcnt(0)
	global_load_dwordx2 v[2:3], v[0:1], off offset:16
	s_waitcnt vmcnt(0)
	v_cmp_eq_u64_e32 vcc_lo, 0, v[2:3]
	s_cbranch_vccnz .LBB9_776
; %bb.775:
	global_load_dword v0, v[0:1], off offset:24
	v_mov_b32_e32 v1, 0
	s_waitcnt vmcnt(0)
	v_and_b32_e32 v4, 0x7fffff, v0
	s_waitcnt_vscnt null, 0x0
	global_store_dwordx2 v[2:3], v[0:1], off
	v_readfirstlane_b32 m0, v4
	s_sendmsg sendmsg(MSG_INTERRUPT)
.LBB9_776:
	s_or_b32 exec_lo, exec_lo, s5
	s_branch .LBB9_780
	.p2align	6
.LBB9_777:                              ;   in Loop: Header=BB9_780 Depth=1
	s_or_b32 exec_lo, exec_lo, s5
	v_readfirstlane_b32 s5, v0
	s_cmp_eq_u32 s5, 0
	s_cbranch_scc1 .LBB9_779
; %bb.778:                              ;   in Loop: Header=BB9_780 Depth=1
	s_sleep 1
	s_cbranch_execnz .LBB9_780
	s_branch .LBB9_782
	.p2align	6
.LBB9_779:
	s_branch .LBB9_782
.LBB9_780:                              ; =>This Inner Loop Header: Depth=1
	v_mov_b32_e32 v0, 1
	s_and_saveexec_b32 s5, s4
	s_cbranch_execz .LBB9_777
; %bb.781:                              ;   in Loop: Header=BB9_780 Depth=1
	global_load_dword v0, v[8:9], off offset:20 glc dlc
	s_waitcnt vmcnt(0)
	buffer_gl1_inv
	buffer_gl0_inv
	v_and_b32_e32 v0, 1, v0
	s_branch .LBB9_777
.LBB9_782:
	global_load_dwordx2 v[2:3], v[6:7], off
	s_and_saveexec_b32 s5, s4
	s_cbranch_execz .LBB9_786
; %bb.783:
	v_mov_b32_e32 v8, 0
	s_clause 0x2
	global_load_dwordx2 v[0:1], v8, s[40:41] offset:40
	global_load_dwordx2 v[9:10], v8, s[40:41] offset:24 glc dlc
	global_load_dwordx2 v[6:7], v8, s[40:41]
	s_waitcnt vmcnt(2)
	v_add_co_u32 v11, vcc_lo, v0, 1
	v_add_co_ci_u32_e32 v12, vcc_lo, 0, v1, vcc_lo
	v_add_co_u32 v4, vcc_lo, v11, s6
	v_add_co_ci_u32_e32 v5, vcc_lo, s7, v12, vcc_lo
	v_cmp_eq_u64_e32 vcc_lo, 0, v[4:5]
	v_cndmask_b32_e32 v5, v5, v12, vcc_lo
	v_cndmask_b32_e32 v4, v4, v11, vcc_lo
	v_and_b32_e32 v1, v5, v1
	v_and_b32_e32 v0, v4, v0
	v_mul_lo_u32 v1, v1, 24
	v_mul_hi_u32 v11, v0, 24
	v_mul_lo_u32 v0, v0, 24
	v_add_nc_u32_e32 v1, v11, v1
	s_waitcnt vmcnt(0)
	v_add_co_u32 v0, vcc_lo, v6, v0
	v_mov_b32_e32 v6, v9
	v_add_co_ci_u32_e32 v1, vcc_lo, v7, v1, vcc_lo
	v_mov_b32_e32 v7, v10
	global_store_dwordx2 v[0:1], v[9:10], off
	s_waitcnt_vscnt null, 0x0
	global_atomic_cmpswap_x2 v[6:7], v8, v[4:7], s[40:41] offset:24 glc
	s_waitcnt vmcnt(0)
	v_cmp_ne_u64_e32 vcc_lo, v[6:7], v[9:10]
	s_and_b32 exec_lo, exec_lo, vcc_lo
	s_cbranch_execz .LBB9_786
; %bb.784:
	s_mov_b32 s4, 0
.LBB9_785:                              ; =>This Inner Loop Header: Depth=1
	s_sleep 1
	global_store_dwordx2 v[0:1], v[6:7], off
	s_waitcnt_vscnt null, 0x0
	global_atomic_cmpswap_x2 v[9:10], v8, v[4:7], s[40:41] offset:24 glc
	s_waitcnt vmcnt(0)
	v_cmp_eq_u64_e32 vcc_lo, v[9:10], v[6:7]
	v_mov_b32_e32 v6, v9
	v_mov_b32_e32 v7, v10
	s_or_b32 s4, vcc_lo, s4
	s_andn2_b32 exec_lo, exec_lo, s4
	s_cbranch_execnz .LBB9_785
.LBB9_786:
	s_or_b32 exec_lo, exec_lo, s5
.LBB9_787:
	v_readfirstlane_b32 s4, v69
	s_waitcnt vmcnt(0)
	v_mov_b32_e32 v0, 0
	v_mov_b32_e32 v1, 0
	v_cmp_eq_u32_e64 s4, s4, v69
	s_and_saveexec_b32 s5, s4
	s_cbranch_execz .LBB9_793
; %bb.788:
	v_mov_b32_e32 v4, 0
	s_mov_b32 s6, exec_lo
	global_load_dwordx2 v[7:8], v4, s[40:41] offset:24 glc dlc
	s_waitcnt vmcnt(0)
	buffer_gl1_inv
	buffer_gl0_inv
	s_clause 0x1
	global_load_dwordx2 v[0:1], v4, s[40:41] offset:40
	global_load_dwordx2 v[5:6], v4, s[40:41]
	s_waitcnt vmcnt(1)
	v_and_b32_e32 v1, v1, v8
	v_and_b32_e32 v0, v0, v7
	v_mul_lo_u32 v1, v1, 24
	v_mul_hi_u32 v9, v0, 24
	v_mul_lo_u32 v0, v0, 24
	v_add_nc_u32_e32 v1, v9, v1
	s_waitcnt vmcnt(0)
	v_add_co_u32 v0, vcc_lo, v5, v0
	v_add_co_ci_u32_e32 v1, vcc_lo, v6, v1, vcc_lo
	global_load_dwordx2 v[5:6], v[0:1], off glc dlc
	s_waitcnt vmcnt(0)
	global_atomic_cmpswap_x2 v[0:1], v4, v[5:8], s[40:41] offset:24 glc
	s_waitcnt vmcnt(0)
	buffer_gl1_inv
	buffer_gl0_inv
	v_cmpx_ne_u64_e64 v[0:1], v[7:8]
	s_cbranch_execz .LBB9_792
; %bb.789:
	s_mov_b32 s7, 0
	.p2align	6
.LBB9_790:                              ; =>This Inner Loop Header: Depth=1
	s_sleep 1
	s_clause 0x1
	global_load_dwordx2 v[5:6], v4, s[40:41] offset:40
	global_load_dwordx2 v[9:10], v4, s[40:41]
	v_mov_b32_e32 v8, v1
	v_mov_b32_e32 v7, v0
	s_waitcnt vmcnt(1)
	v_and_b32_e32 v0, v5, v7
	v_and_b32_e32 v5, v6, v8
	s_waitcnt vmcnt(0)
	v_mad_u64_u32 v[0:1], null, v0, 24, v[9:10]
	v_mad_u64_u32 v[5:6], null, v5, 24, v[1:2]
	v_mov_b32_e32 v1, v5
	global_load_dwordx2 v[5:6], v[0:1], off glc dlc
	s_waitcnt vmcnt(0)
	global_atomic_cmpswap_x2 v[0:1], v4, v[5:8], s[40:41] offset:24 glc
	s_waitcnt vmcnt(0)
	buffer_gl1_inv
	buffer_gl0_inv
	v_cmp_eq_u64_e32 vcc_lo, v[0:1], v[7:8]
	s_or_b32 s7, vcc_lo, s7
	s_andn2_b32 exec_lo, exec_lo, s7
	s_cbranch_execnz .LBB9_790
; %bb.791:
	s_or_b32 exec_lo, exec_lo, s7
.LBB9_792:
	s_or_b32 exec_lo, exec_lo, s6
.LBB9_793:
	s_or_b32 exec_lo, exec_lo, s5
	v_mov_b32_e32 v5, 0
	v_readfirstlane_b32 s6, v0
	v_readfirstlane_b32 s7, v1
	s_mov_b32 s5, exec_lo
	s_clause 0x1
	global_load_dwordx2 v[10:11], v5, s[40:41] offset:40
	global_load_dwordx4 v[6:9], v5, s[40:41]
	s_waitcnt vmcnt(1)
	v_readfirstlane_b32 s10, v10
	v_readfirstlane_b32 s11, v11
	s_and_b64 s[10:11], s[6:7], s[10:11]
	s_mul_i32 s16, s11, 24
	s_mul_hi_u32 s17, s10, 24
	s_mul_i32 s18, s10, 24
	s_add_i32 s17, s17, s16
	s_waitcnt vmcnt(0)
	v_add_co_u32 v10, vcc_lo, v6, s18
	v_add_co_ci_u32_e32 v11, vcc_lo, s17, v7, vcc_lo
	s_and_saveexec_b32 s16, s4
	s_cbranch_execz .LBB9_795
; %bb.794:
	v_mov_b32_e32 v4, s5
	v_mov_b32_e32 v13, v5
	;; [unrolled: 1-line block ×5, first 2 shown]
	global_store_dwordx4 v[10:11], v[12:15], off offset:8
.LBB9_795:
	s_or_b32 exec_lo, exec_lo, s16
	s_lshl_b64 s[10:11], s[10:11], 12
	s_mov_b32 s16, 0
	v_add_co_u32 v0, vcc_lo, v8, s10
	v_add_co_ci_u32_e32 v1, vcc_lo, s11, v9, vcc_lo
	s_mov_b32 s17, s16
	s_mov_b32 s18, s16
	;; [unrolled: 1-line block ×3, first 2 shown]
	v_and_or_b32 v2, 0xffffff1d, v2, 34
	v_mov_b32_e32 v4, 58
	v_readfirstlane_b32 s10, v0
	v_readfirstlane_b32 s11, v1
	v_mov_b32_e32 v12, s16
	v_mov_b32_e32 v13, s17
	;; [unrolled: 1-line block ×4, first 2 shown]
	global_store_dwordx4 v68, v[2:5], s[10:11]
	global_store_dwordx4 v68, v[12:15], s[10:11] offset:16
	global_store_dwordx4 v68, v[12:15], s[10:11] offset:32
	;; [unrolled: 1-line block ×3, first 2 shown]
	s_and_saveexec_b32 s5, s4
	s_cbranch_execz .LBB9_803
; %bb.796:
	v_mov_b32_e32 v8, 0
	v_mov_b32_e32 v12, s6
	;; [unrolled: 1-line block ×3, first 2 shown]
	s_clause 0x1
	global_load_dwordx2 v[14:15], v8, s[40:41] offset:32 glc dlc
	global_load_dwordx2 v[0:1], v8, s[40:41] offset:40
	s_waitcnt vmcnt(0)
	v_readfirstlane_b32 s10, v0
	v_readfirstlane_b32 s11, v1
	s_and_b64 s[10:11], s[10:11], s[6:7]
	s_mul_i32 s11, s11, 24
	s_mul_hi_u32 s16, s10, 24
	s_mul_i32 s10, s10, 24
	s_add_i32 s16, s16, s11
	v_add_co_u32 v4, vcc_lo, v6, s10
	v_add_co_ci_u32_e32 v5, vcc_lo, s16, v7, vcc_lo
	s_mov_b32 s10, exec_lo
	global_store_dwordx2 v[4:5], v[14:15], off
	s_waitcnt_vscnt null, 0x0
	global_atomic_cmpswap_x2 v[2:3], v8, v[12:15], s[40:41] offset:32 glc
	s_waitcnt vmcnt(0)
	v_cmpx_ne_u64_e64 v[2:3], v[14:15]
	s_cbranch_execz .LBB9_799
; %bb.797:
	s_mov_b32 s11, 0
.LBB9_798:                              ; =>This Inner Loop Header: Depth=1
	v_mov_b32_e32 v0, s6
	v_mov_b32_e32 v1, s7
	s_sleep 1
	global_store_dwordx2 v[4:5], v[2:3], off
	s_waitcnt_vscnt null, 0x0
	global_atomic_cmpswap_x2 v[0:1], v8, v[0:3], s[40:41] offset:32 glc
	s_waitcnt vmcnt(0)
	v_cmp_eq_u64_e32 vcc_lo, v[0:1], v[2:3]
	v_mov_b32_e32 v3, v1
	v_mov_b32_e32 v2, v0
	s_or_b32 s11, vcc_lo, s11
	s_andn2_b32 exec_lo, exec_lo, s11
	s_cbranch_execnz .LBB9_798
.LBB9_799:
	s_or_b32 exec_lo, exec_lo, s10
	v_mov_b32_e32 v3, 0
	s_mov_b32 s11, exec_lo
	s_mov_b32 s10, exec_lo
	v_mbcnt_lo_u32_b32 v2, s11, 0
	global_load_dwordx2 v[0:1], v3, s[40:41] offset:16
	v_cmpx_eq_u32_e32 0, v2
	s_cbranch_execz .LBB9_801
; %bb.800:
	s_bcnt1_i32_b32 s11, s11
	v_mov_b32_e32 v2, s11
	s_waitcnt vmcnt(0)
	global_atomic_add_x2 v[0:1], v[2:3], off offset:8
.LBB9_801:
	s_or_b32 exec_lo, exec_lo, s10
	s_waitcnt vmcnt(0)
	global_load_dwordx2 v[2:3], v[0:1], off offset:16
	s_waitcnt vmcnt(0)
	v_cmp_eq_u64_e32 vcc_lo, 0, v[2:3]
	s_cbranch_vccnz .LBB9_803
; %bb.802:
	global_load_dword v0, v[0:1], off offset:24
	v_mov_b32_e32 v1, 0
	s_waitcnt vmcnt(0)
	v_and_b32_e32 v4, 0x7fffff, v0
	s_waitcnt_vscnt null, 0x0
	global_store_dwordx2 v[2:3], v[0:1], off
	v_readfirstlane_b32 m0, v4
	s_sendmsg sendmsg(MSG_INTERRUPT)
.LBB9_803:
	s_or_b32 exec_lo, exec_lo, s5
	s_branch .LBB9_807
	.p2align	6
.LBB9_804:                              ;   in Loop: Header=BB9_807 Depth=1
	s_or_b32 exec_lo, exec_lo, s5
	v_readfirstlane_b32 s5, v0
	s_cmp_eq_u32 s5, 0
	s_cbranch_scc1 .LBB9_806
; %bb.805:                              ;   in Loop: Header=BB9_807 Depth=1
	s_sleep 1
	s_cbranch_execnz .LBB9_807
	s_branch .LBB9_809
	.p2align	6
.LBB9_806:
	s_branch .LBB9_809
.LBB9_807:                              ; =>This Inner Loop Header: Depth=1
	v_mov_b32_e32 v0, 1
	s_and_saveexec_b32 s5, s4
	s_cbranch_execz .LBB9_804
; %bb.808:                              ;   in Loop: Header=BB9_807 Depth=1
	global_load_dword v0, v[10:11], off offset:20 glc dlc
	s_waitcnt vmcnt(0)
	buffer_gl1_inv
	buffer_gl0_inv
	v_and_b32_e32 v0, 1, v0
	s_branch .LBB9_804
.LBB9_809:
	s_and_saveexec_b32 s5, s4
	s_cbranch_execz .LBB9_813
; %bb.810:
	v_mov_b32_e32 v6, 0
	s_clause 0x2
	global_load_dwordx2 v[2:3], v6, s[40:41] offset:40
	global_load_dwordx2 v[7:8], v6, s[40:41] offset:24 glc dlc
	global_load_dwordx2 v[4:5], v6, s[40:41]
	s_waitcnt vmcnt(2)
	v_add_co_u32 v9, vcc_lo, v2, 1
	v_add_co_ci_u32_e32 v10, vcc_lo, 0, v3, vcc_lo
	v_add_co_u32 v0, vcc_lo, v9, s6
	v_add_co_ci_u32_e32 v1, vcc_lo, s7, v10, vcc_lo
	v_cmp_eq_u64_e32 vcc_lo, 0, v[0:1]
	v_cndmask_b32_e32 v1, v1, v10, vcc_lo
	v_cndmask_b32_e32 v0, v0, v9, vcc_lo
	v_and_b32_e32 v3, v1, v3
	v_and_b32_e32 v2, v0, v2
	v_mul_lo_u32 v3, v3, 24
	v_mul_hi_u32 v9, v2, 24
	v_mul_lo_u32 v2, v2, 24
	v_add_nc_u32_e32 v3, v9, v3
	s_waitcnt vmcnt(0)
	v_add_co_u32 v4, vcc_lo, v4, v2
	v_mov_b32_e32 v2, v7
	v_add_co_ci_u32_e32 v5, vcc_lo, v5, v3, vcc_lo
	v_mov_b32_e32 v3, v8
	global_store_dwordx2 v[4:5], v[7:8], off
	s_waitcnt_vscnt null, 0x0
	global_atomic_cmpswap_x2 v[2:3], v6, v[0:3], s[40:41] offset:24 glc
	s_waitcnt vmcnt(0)
	v_cmp_ne_u64_e32 vcc_lo, v[2:3], v[7:8]
	s_and_b32 exec_lo, exec_lo, vcc_lo
	s_cbranch_execz .LBB9_813
; %bb.811:
	s_mov_b32 s4, 0
.LBB9_812:                              ; =>This Inner Loop Header: Depth=1
	s_sleep 1
	global_store_dwordx2 v[4:5], v[2:3], off
	s_waitcnt_vscnt null, 0x0
	global_atomic_cmpswap_x2 v[7:8], v6, v[0:3], s[40:41] offset:24 glc
	s_waitcnt vmcnt(0)
	v_cmp_eq_u64_e32 vcc_lo, v[7:8], v[2:3]
	v_mov_b32_e32 v2, v7
	v_mov_b32_e32 v3, v8
	s_or_b32 s4, vcc_lo, s4
	s_andn2_b32 exec_lo, exec_lo, s4
	s_cbranch_execnz .LBB9_812
.LBB9_813:
	s_or_b32 exec_lo, exec_lo, s5
	v_readfirstlane_b32 s4, v69
	v_mov_b32_e32 v6, 0
	v_mov_b32_e32 v7, 0
	v_cmp_eq_u32_e64 s4, s4, v69
	s_and_saveexec_b32 s5, s4
	s_cbranch_execz .LBB9_819
; %bb.814:
	v_mov_b32_e32 v0, 0
	s_mov_b32 s6, exec_lo
	global_load_dwordx2 v[3:4], v0, s[40:41] offset:24 glc dlc
	s_waitcnt vmcnt(0)
	buffer_gl1_inv
	buffer_gl0_inv
	s_clause 0x1
	global_load_dwordx2 v[1:2], v0, s[40:41] offset:40
	global_load_dwordx2 v[5:6], v0, s[40:41]
	s_waitcnt vmcnt(1)
	v_and_b32_e32 v2, v2, v4
	v_and_b32_e32 v1, v1, v3
	v_mul_lo_u32 v2, v2, 24
	v_mul_hi_u32 v7, v1, 24
	v_mul_lo_u32 v1, v1, 24
	v_add_nc_u32_e32 v2, v7, v2
	s_waitcnt vmcnt(0)
	v_add_co_u32 v1, vcc_lo, v5, v1
	v_add_co_ci_u32_e32 v2, vcc_lo, v6, v2, vcc_lo
	global_load_dwordx2 v[1:2], v[1:2], off glc dlc
	s_waitcnt vmcnt(0)
	global_atomic_cmpswap_x2 v[6:7], v0, v[1:4], s[40:41] offset:24 glc
	s_waitcnt vmcnt(0)
	buffer_gl1_inv
	buffer_gl0_inv
	v_cmpx_ne_u64_e64 v[6:7], v[3:4]
	s_cbranch_execz .LBB9_818
; %bb.815:
	s_mov_b32 s7, 0
	.p2align	6
.LBB9_816:                              ; =>This Inner Loop Header: Depth=1
	s_sleep 1
	s_clause 0x1
	global_load_dwordx2 v[1:2], v0, s[40:41] offset:40
	global_load_dwordx2 v[8:9], v0, s[40:41]
	v_mov_b32_e32 v3, v6
	v_mov_b32_e32 v4, v7
	s_waitcnt vmcnt(1)
	v_and_b32_e32 v1, v1, v3
	v_and_b32_e32 v2, v2, v4
	s_waitcnt vmcnt(0)
	v_mad_u64_u32 v[5:6], null, v1, 24, v[8:9]
	v_mov_b32_e32 v1, v6
	v_mad_u64_u32 v[1:2], null, v2, 24, v[1:2]
	v_mov_b32_e32 v6, v1
	global_load_dwordx2 v[1:2], v[5:6], off glc dlc
	s_waitcnt vmcnt(0)
	global_atomic_cmpswap_x2 v[6:7], v0, v[1:4], s[40:41] offset:24 glc
	s_waitcnt vmcnt(0)
	buffer_gl1_inv
	buffer_gl0_inv
	v_cmp_eq_u64_e32 vcc_lo, v[6:7], v[3:4]
	s_or_b32 s7, vcc_lo, s7
	s_andn2_b32 exec_lo, exec_lo, s7
	s_cbranch_execnz .LBB9_816
; %bb.817:
	s_or_b32 exec_lo, exec_lo, s7
.LBB9_818:
	s_or_b32 exec_lo, exec_lo, s6
.LBB9_819:
	s_or_b32 exec_lo, exec_lo, s5
	v_mov_b32_e32 v5, 0
	v_readfirstlane_b32 s6, v6
	v_readfirstlane_b32 s7, v7
	s_mov_b32 s5, exec_lo
	s_clause 0x1
	global_load_dwordx2 v[8:9], v5, s[40:41] offset:40
	global_load_dwordx4 v[0:3], v5, s[40:41]
	s_waitcnt vmcnt(1)
	v_readfirstlane_b32 s10, v8
	v_readfirstlane_b32 s11, v9
	s_and_b64 s[10:11], s[6:7], s[10:11]
	s_mul_i32 s16, s11, 24
	s_mul_hi_u32 s17, s10, 24
	s_mul_i32 s18, s10, 24
	s_add_i32 s17, s17, s16
	s_waitcnt vmcnt(0)
	v_add_co_u32 v8, vcc_lo, v0, s18
	v_add_co_ci_u32_e32 v9, vcc_lo, s17, v1, vcc_lo
	s_and_saveexec_b32 s16, s4
	s_cbranch_execz .LBB9_821
; %bb.820:
	v_mov_b32_e32 v4, s5
	v_mov_b32_e32 v6, 2
	v_mov_b32_e32 v7, 1
	global_store_dwordx4 v[8:9], v[4:7], off offset:8
.LBB9_821:
	s_or_b32 exec_lo, exec_lo, s16
	s_lshl_b64 s[10:11], s[10:11], 12
	s_mov_b32 s16, 0
	v_add_co_u32 v2, vcc_lo, v2, s10
	v_add_co_ci_u32_e32 v3, vcc_lo, s11, v3, vcc_lo
	s_mov_b32 s17, s16
	v_add_co_u32 v10, vcc_lo, v2, v68
	s_mov_b32 s18, s16
	s_mov_b32 s19, s16
	v_mov_b32_e32 v4, 33
	v_mov_b32_e32 v6, v5
	;; [unrolled: 1-line block ×3, first 2 shown]
	v_readfirstlane_b32 s10, v2
	v_readfirstlane_b32 s11, v3
	v_mov_b32_e32 v12, s16
	v_add_co_ci_u32_e32 v11, vcc_lo, 0, v3, vcc_lo
	v_mov_b32_e32 v13, s17
	v_mov_b32_e32 v14, s18
	;; [unrolled: 1-line block ×3, first 2 shown]
	global_store_dwordx4 v68, v[4:7], s[10:11]
	global_store_dwordx4 v68, v[12:15], s[10:11] offset:16
	global_store_dwordx4 v68, v[12:15], s[10:11] offset:32
	global_store_dwordx4 v68, v[12:15], s[10:11] offset:48
	s_and_saveexec_b32 s5, s4
	s_cbranch_execz .LBB9_829
; %bb.822:
	v_mov_b32_e32 v6, 0
	v_mov_b32_e32 v12, s6
	v_mov_b32_e32 v13, s7
	s_clause 0x1
	global_load_dwordx2 v[14:15], v6, s[40:41] offset:32 glc dlc
	global_load_dwordx2 v[2:3], v6, s[40:41] offset:40
	s_waitcnt vmcnt(0)
	v_readfirstlane_b32 s10, v2
	v_readfirstlane_b32 s11, v3
	s_and_b64 s[10:11], s[10:11], s[6:7]
	s_mul_i32 s11, s11, 24
	s_mul_hi_u32 s16, s10, 24
	s_mul_i32 s10, s10, 24
	s_add_i32 s16, s16, s11
	v_add_co_u32 v4, vcc_lo, v0, s10
	v_add_co_ci_u32_e32 v5, vcc_lo, s16, v1, vcc_lo
	s_mov_b32 s10, exec_lo
	global_store_dwordx2 v[4:5], v[14:15], off
	s_waitcnt_vscnt null, 0x0
	global_atomic_cmpswap_x2 v[2:3], v6, v[12:15], s[40:41] offset:32 glc
	s_waitcnt vmcnt(0)
	v_cmpx_ne_u64_e64 v[2:3], v[14:15]
	s_cbranch_execz .LBB9_825
; %bb.823:
	s_mov_b32 s11, 0
.LBB9_824:                              ; =>This Inner Loop Header: Depth=1
	v_mov_b32_e32 v0, s6
	v_mov_b32_e32 v1, s7
	s_sleep 1
	global_store_dwordx2 v[4:5], v[2:3], off
	s_waitcnt_vscnt null, 0x0
	global_atomic_cmpswap_x2 v[0:1], v6, v[0:3], s[40:41] offset:32 glc
	s_waitcnt vmcnt(0)
	v_cmp_eq_u64_e32 vcc_lo, v[0:1], v[2:3]
	v_mov_b32_e32 v3, v1
	v_mov_b32_e32 v2, v0
	s_or_b32 s11, vcc_lo, s11
	s_andn2_b32 exec_lo, exec_lo, s11
	s_cbranch_execnz .LBB9_824
.LBB9_825:
	s_or_b32 exec_lo, exec_lo, s10
	v_mov_b32_e32 v3, 0
	s_mov_b32 s11, exec_lo
	s_mov_b32 s10, exec_lo
	v_mbcnt_lo_u32_b32 v2, s11, 0
	global_load_dwordx2 v[0:1], v3, s[40:41] offset:16
	v_cmpx_eq_u32_e32 0, v2
	s_cbranch_execz .LBB9_827
; %bb.826:
	s_bcnt1_i32_b32 s11, s11
	v_mov_b32_e32 v2, s11
	s_waitcnt vmcnt(0)
	global_atomic_add_x2 v[0:1], v[2:3], off offset:8
.LBB9_827:
	s_or_b32 exec_lo, exec_lo, s10
	s_waitcnt vmcnt(0)
	global_load_dwordx2 v[2:3], v[0:1], off offset:16
	s_waitcnt vmcnt(0)
	v_cmp_eq_u64_e32 vcc_lo, 0, v[2:3]
	s_cbranch_vccnz .LBB9_829
; %bb.828:
	global_load_dword v0, v[0:1], off offset:24
	v_mov_b32_e32 v1, 0
	s_waitcnt vmcnt(0)
	v_and_b32_e32 v4, 0x7fffff, v0
	s_waitcnt_vscnt null, 0x0
	global_store_dwordx2 v[2:3], v[0:1], off
	v_readfirstlane_b32 m0, v4
	s_sendmsg sendmsg(MSG_INTERRUPT)
.LBB9_829:
	s_or_b32 exec_lo, exec_lo, s5
	s_branch .LBB9_833
	.p2align	6
.LBB9_830:                              ;   in Loop: Header=BB9_833 Depth=1
	s_or_b32 exec_lo, exec_lo, s5
	v_readfirstlane_b32 s5, v0
	s_cmp_eq_u32 s5, 0
	s_cbranch_scc1 .LBB9_832
; %bb.831:                              ;   in Loop: Header=BB9_833 Depth=1
	s_sleep 1
	s_cbranch_execnz .LBB9_833
	s_branch .LBB9_835
	.p2align	6
.LBB9_832:
	s_branch .LBB9_835
.LBB9_833:                              ; =>This Inner Loop Header: Depth=1
	v_mov_b32_e32 v0, 1
	s_and_saveexec_b32 s5, s4
	s_cbranch_execz .LBB9_830
; %bb.834:                              ;   in Loop: Header=BB9_833 Depth=1
	global_load_dword v0, v[8:9], off offset:20 glc dlc
	s_waitcnt vmcnt(0)
	buffer_gl1_inv
	buffer_gl0_inv
	v_and_b32_e32 v0, 1, v0
	s_branch .LBB9_830
.LBB9_835:
	global_load_dwordx2 v[0:1], v[10:11], off
	s_and_saveexec_b32 s5, s4
	s_cbranch_execz .LBB9_839
; %bb.836:
	v_mov_b32_e32 v8, 0
	s_clause 0x2
	global_load_dwordx2 v[4:5], v8, s[40:41] offset:40
	global_load_dwordx2 v[9:10], v8, s[40:41] offset:24 glc dlc
	global_load_dwordx2 v[6:7], v8, s[40:41]
	s_waitcnt vmcnt(2)
	v_add_co_u32 v11, vcc_lo, v4, 1
	v_add_co_ci_u32_e32 v12, vcc_lo, 0, v5, vcc_lo
	v_add_co_u32 v2, vcc_lo, v11, s6
	v_add_co_ci_u32_e32 v3, vcc_lo, s7, v12, vcc_lo
	v_cmp_eq_u64_e32 vcc_lo, 0, v[2:3]
	v_cndmask_b32_e32 v3, v3, v12, vcc_lo
	v_cndmask_b32_e32 v2, v2, v11, vcc_lo
	v_and_b32_e32 v5, v3, v5
	v_and_b32_e32 v4, v2, v4
	v_mul_lo_u32 v5, v5, 24
	v_mul_hi_u32 v11, v4, 24
	v_mul_lo_u32 v4, v4, 24
	v_add_nc_u32_e32 v5, v11, v5
	s_waitcnt vmcnt(0)
	v_add_co_u32 v6, vcc_lo, v6, v4
	v_mov_b32_e32 v4, v9
	v_add_co_ci_u32_e32 v7, vcc_lo, v7, v5, vcc_lo
	v_mov_b32_e32 v5, v10
	global_store_dwordx2 v[6:7], v[9:10], off
	s_waitcnt_vscnt null, 0x0
	global_atomic_cmpswap_x2 v[4:5], v8, v[2:5], s[40:41] offset:24 glc
	s_waitcnt vmcnt(0)
	v_cmp_ne_u64_e32 vcc_lo, v[4:5], v[9:10]
	s_and_b32 exec_lo, exec_lo, vcc_lo
	s_cbranch_execz .LBB9_839
; %bb.837:
	s_mov_b32 s4, 0
.LBB9_838:                              ; =>This Inner Loop Header: Depth=1
	s_sleep 1
	global_store_dwordx2 v[6:7], v[4:5], off
	s_waitcnt_vscnt null, 0x0
	global_atomic_cmpswap_x2 v[9:10], v8, v[2:5], s[40:41] offset:24 glc
	s_waitcnt vmcnt(0)
	v_cmp_eq_u64_e32 vcc_lo, v[9:10], v[4:5]
	v_mov_b32_e32 v4, v9
	v_mov_b32_e32 v5, v10
	s_or_b32 s4, vcc_lo, s4
	s_andn2_b32 exec_lo, exec_lo, s4
	s_cbranch_execnz .LBB9_838
.LBB9_839:
	s_or_b32 exec_lo, exec_lo, s5
	s_getpc_b64 s[6:7]
	s_add_u32 s6, s6, .str.7@rel32@lo+4
	s_addc_u32 s7, s7, .str.7@rel32@hi+12
	s_cmp_lg_u64 s[6:7], 0
	s_cbranch_scc0 .LBB9_918
; %bb.840:
	s_waitcnt vmcnt(0)
	v_and_b32_e32 v31, 2, v0
	v_mov_b32_e32 v6, 0
	v_and_b32_e32 v2, -3, v0
	v_mov_b32_e32 v3, v1
	v_mov_b32_e32 v7, 2
	;; [unrolled: 1-line block ×3, first 2 shown]
	s_mov_b64 s[10:11], 4
	s_branch .LBB9_842
.LBB9_841:                              ;   in Loop: Header=BB9_842 Depth=1
	s_or_b32 exec_lo, exec_lo, s5
	s_sub_u32 s10, s10, s16
	s_subb_u32 s11, s11, s17
	s_add_u32 s6, s6, s16
	s_addc_u32 s7, s7, s17
	s_cmp_lg_u64 s[10:11], 0
	s_cbranch_scc0 .LBB9_917
.LBB9_842:                              ; =>This Loop Header: Depth=1
                                        ;     Child Loop BB9_851 Depth 2
                                        ;     Child Loop BB9_847 Depth 2
	;; [unrolled: 1-line block ×11, first 2 shown]
	v_cmp_lt_u64_e64 s4, s[10:11], 56
	v_cmp_gt_u64_e64 s5, s[10:11], 7
                                        ; implicit-def: $vgpr11_vgpr12
                                        ; implicit-def: $sgpr22
	s_and_b32 s4, s4, exec_lo
	s_cselect_b32 s17, s11, 0
	s_cselect_b32 s16, s10, 56
	s_and_b32 vcc_lo, exec_lo, s5
	s_mov_b32 s4, -1
	s_cbranch_vccz .LBB9_849
; %bb.843:                              ;   in Loop: Header=BB9_842 Depth=1
	s_andn2_b32 vcc_lo, exec_lo, s4
	s_mov_b64 s[4:5], s[6:7]
	s_cbranch_vccz .LBB9_853
.LBB9_844:                              ;   in Loop: Header=BB9_842 Depth=1
	s_cmp_gt_u32 s22, 7
	s_cbranch_scc1 .LBB9_854
.LBB9_845:                              ;   in Loop: Header=BB9_842 Depth=1
	v_mov_b32_e32 v13, 0
	v_mov_b32_e32 v14, 0
	s_cmp_eq_u32 s22, 0
	s_cbranch_scc1 .LBB9_848
; %bb.846:                              ;   in Loop: Header=BB9_842 Depth=1
	s_mov_b64 s[18:19], 0
	s_mov_b64 s[20:21], 0
.LBB9_847:                              ;   Parent Loop BB9_842 Depth=1
                                        ; =>  This Inner Loop Header: Depth=2
	s_add_u32 s24, s4, s20
	s_addc_u32 s25, s5, s21
	s_add_u32 s20, s20, 1
	global_load_ubyte v4, v6, s[24:25]
	s_addc_u32 s21, s21, 0
	s_waitcnt vmcnt(0)
	v_and_b32_e32 v5, 0xffff, v4
	v_lshlrev_b64 v[4:5], s18, v[5:6]
	s_add_u32 s18, s18, 8
	s_addc_u32 s19, s19, 0
	s_cmp_lg_u32 s22, s20
	v_or_b32_e32 v13, v4, v13
	v_or_b32_e32 v14, v5, v14
	s_cbranch_scc1 .LBB9_847
.LBB9_848:                              ;   in Loop: Header=BB9_842 Depth=1
	s_mov_b32 s23, 0
	s_cbranch_execz .LBB9_855
	s_branch .LBB9_856
.LBB9_849:                              ;   in Loop: Header=BB9_842 Depth=1
	v_mov_b32_e32 v11, 0
	v_mov_b32_e32 v12, 0
	s_cmp_eq_u64 s[10:11], 0
	s_mov_b64 s[4:5], 0
	s_cbranch_scc1 .LBB9_852
; %bb.850:                              ;   in Loop: Header=BB9_842 Depth=1
	v_mov_b32_e32 v11, 0
	v_mov_b32_e32 v12, 0
	s_lshl_b64 s[18:19], s[16:17], 3
	s_mov_b64 s[20:21], s[6:7]
.LBB9_851:                              ;   Parent Loop BB9_842 Depth=1
                                        ; =>  This Inner Loop Header: Depth=2
	global_load_ubyte v4, v6, s[20:21]
	s_waitcnt vmcnt(0)
	v_and_b32_e32 v5, 0xffff, v4
	v_lshlrev_b64 v[4:5], s4, v[5:6]
	s_add_u32 s4, s4, 8
	s_addc_u32 s5, s5, 0
	s_add_u32 s20, s20, 1
	s_addc_u32 s21, s21, 0
	s_cmp_lg_u32 s18, s4
	v_or_b32_e32 v11, v4, v11
	v_or_b32_e32 v12, v5, v12
	s_cbranch_scc1 .LBB9_851
.LBB9_852:                              ;   in Loop: Header=BB9_842 Depth=1
	s_mov_b32 s22, 0
	s_mov_b64 s[4:5], s[6:7]
	s_cbranch_execnz .LBB9_844
.LBB9_853:                              ;   in Loop: Header=BB9_842 Depth=1
	global_load_dwordx2 v[11:12], v6, s[6:7]
	s_add_i32 s22, s16, -8
	s_add_u32 s4, s6, 8
	s_addc_u32 s5, s7, 0
	s_cmp_gt_u32 s22, 7
	s_cbranch_scc0 .LBB9_845
.LBB9_854:                              ;   in Loop: Header=BB9_842 Depth=1
                                        ; implicit-def: $vgpr13_vgpr14
                                        ; implicit-def: $sgpr23
.LBB9_855:                              ;   in Loop: Header=BB9_842 Depth=1
	global_load_dwordx2 v[13:14], v6, s[4:5]
	s_add_i32 s23, s22, -8
	s_add_u32 s4, s4, 8
	s_addc_u32 s5, s5, 0
.LBB9_856:                              ;   in Loop: Header=BB9_842 Depth=1
	s_cmp_gt_u32 s23, 7
	s_cbranch_scc1 .LBB9_861
; %bb.857:                              ;   in Loop: Header=BB9_842 Depth=1
	v_mov_b32_e32 v15, 0
	v_mov_b32_e32 v16, 0
	s_cmp_eq_u32 s23, 0
	s_cbranch_scc1 .LBB9_860
; %bb.858:                              ;   in Loop: Header=BB9_842 Depth=1
	s_mov_b64 s[18:19], 0
	s_mov_b64 s[20:21], 0
.LBB9_859:                              ;   Parent Loop BB9_842 Depth=1
                                        ; =>  This Inner Loop Header: Depth=2
	s_add_u32 s24, s4, s20
	s_addc_u32 s25, s5, s21
	s_add_u32 s20, s20, 1
	global_load_ubyte v4, v6, s[24:25]
	s_addc_u32 s21, s21, 0
	s_waitcnt vmcnt(0)
	v_and_b32_e32 v5, 0xffff, v4
	v_lshlrev_b64 v[4:5], s18, v[5:6]
	s_add_u32 s18, s18, 8
	s_addc_u32 s19, s19, 0
	s_cmp_lg_u32 s23, s20
	v_or_b32_e32 v15, v4, v15
	v_or_b32_e32 v16, v5, v16
	s_cbranch_scc1 .LBB9_859
.LBB9_860:                              ;   in Loop: Header=BB9_842 Depth=1
	s_mov_b32 s22, 0
	s_cbranch_execz .LBB9_862
	s_branch .LBB9_863
.LBB9_861:                              ;   in Loop: Header=BB9_842 Depth=1
                                        ; implicit-def: $sgpr22
.LBB9_862:                              ;   in Loop: Header=BB9_842 Depth=1
	global_load_dwordx2 v[15:16], v6, s[4:5]
	s_add_i32 s22, s23, -8
	s_add_u32 s4, s4, 8
	s_addc_u32 s5, s5, 0
.LBB9_863:                              ;   in Loop: Header=BB9_842 Depth=1
	s_cmp_gt_u32 s22, 7
	s_cbranch_scc1 .LBB9_868
; %bb.864:                              ;   in Loop: Header=BB9_842 Depth=1
	v_mov_b32_e32 v17, 0
	v_mov_b32_e32 v18, 0
	s_cmp_eq_u32 s22, 0
	s_cbranch_scc1 .LBB9_867
; %bb.865:                              ;   in Loop: Header=BB9_842 Depth=1
	s_mov_b64 s[18:19], 0
	s_mov_b64 s[20:21], 0
.LBB9_866:                              ;   Parent Loop BB9_842 Depth=1
                                        ; =>  This Inner Loop Header: Depth=2
	s_add_u32 s24, s4, s20
	s_addc_u32 s25, s5, s21
	s_add_u32 s20, s20, 1
	global_load_ubyte v4, v6, s[24:25]
	s_addc_u32 s21, s21, 0
	s_waitcnt vmcnt(0)
	v_and_b32_e32 v5, 0xffff, v4
	v_lshlrev_b64 v[4:5], s18, v[5:6]
	s_add_u32 s18, s18, 8
	s_addc_u32 s19, s19, 0
	s_cmp_lg_u32 s22, s20
	v_or_b32_e32 v17, v4, v17
	v_or_b32_e32 v18, v5, v18
	s_cbranch_scc1 .LBB9_866
.LBB9_867:                              ;   in Loop: Header=BB9_842 Depth=1
	s_mov_b32 s23, 0
	s_cbranch_execz .LBB9_869
	s_branch .LBB9_870
.LBB9_868:                              ;   in Loop: Header=BB9_842 Depth=1
                                        ; implicit-def: $vgpr17_vgpr18
                                        ; implicit-def: $sgpr23
.LBB9_869:                              ;   in Loop: Header=BB9_842 Depth=1
	global_load_dwordx2 v[17:18], v6, s[4:5]
	s_add_i32 s23, s22, -8
	s_add_u32 s4, s4, 8
	s_addc_u32 s5, s5, 0
.LBB9_870:                              ;   in Loop: Header=BB9_842 Depth=1
	s_cmp_gt_u32 s23, 7
	s_cbranch_scc1 .LBB9_875
; %bb.871:                              ;   in Loop: Header=BB9_842 Depth=1
	v_mov_b32_e32 v19, 0
	v_mov_b32_e32 v20, 0
	s_cmp_eq_u32 s23, 0
	s_cbranch_scc1 .LBB9_874
; %bb.872:                              ;   in Loop: Header=BB9_842 Depth=1
	s_mov_b64 s[18:19], 0
	s_mov_b64 s[20:21], 0
.LBB9_873:                              ;   Parent Loop BB9_842 Depth=1
                                        ; =>  This Inner Loop Header: Depth=2
	s_add_u32 s24, s4, s20
	s_addc_u32 s25, s5, s21
	s_add_u32 s20, s20, 1
	global_load_ubyte v4, v6, s[24:25]
	s_addc_u32 s21, s21, 0
	s_waitcnt vmcnt(0)
	v_and_b32_e32 v5, 0xffff, v4
	v_lshlrev_b64 v[4:5], s18, v[5:6]
	s_add_u32 s18, s18, 8
	s_addc_u32 s19, s19, 0
	s_cmp_lg_u32 s23, s20
	v_or_b32_e32 v19, v4, v19
	v_or_b32_e32 v20, v5, v20
	s_cbranch_scc1 .LBB9_873
.LBB9_874:                              ;   in Loop: Header=BB9_842 Depth=1
	s_mov_b32 s22, 0
	s_cbranch_execz .LBB9_876
	s_branch .LBB9_877
.LBB9_875:                              ;   in Loop: Header=BB9_842 Depth=1
                                        ; implicit-def: $sgpr22
.LBB9_876:                              ;   in Loop: Header=BB9_842 Depth=1
	global_load_dwordx2 v[19:20], v6, s[4:5]
	s_add_i32 s22, s23, -8
	s_add_u32 s4, s4, 8
	s_addc_u32 s5, s5, 0
.LBB9_877:                              ;   in Loop: Header=BB9_842 Depth=1
	s_cmp_gt_u32 s22, 7
	s_cbranch_scc1 .LBB9_882
; %bb.878:                              ;   in Loop: Header=BB9_842 Depth=1
	v_mov_b32_e32 v21, 0
	v_mov_b32_e32 v22, 0
	s_cmp_eq_u32 s22, 0
	s_cbranch_scc1 .LBB9_881
; %bb.879:                              ;   in Loop: Header=BB9_842 Depth=1
	s_mov_b64 s[18:19], 0
	s_mov_b64 s[20:21], 0
.LBB9_880:                              ;   Parent Loop BB9_842 Depth=1
                                        ; =>  This Inner Loop Header: Depth=2
	s_add_u32 s24, s4, s20
	s_addc_u32 s25, s5, s21
	s_add_u32 s20, s20, 1
	global_load_ubyte v4, v6, s[24:25]
	s_addc_u32 s21, s21, 0
	s_waitcnt vmcnt(0)
	v_and_b32_e32 v5, 0xffff, v4
	v_lshlrev_b64 v[4:5], s18, v[5:6]
	s_add_u32 s18, s18, 8
	s_addc_u32 s19, s19, 0
	s_cmp_lg_u32 s22, s20
	v_or_b32_e32 v21, v4, v21
	v_or_b32_e32 v22, v5, v22
	s_cbranch_scc1 .LBB9_880
.LBB9_881:                              ;   in Loop: Header=BB9_842 Depth=1
	s_mov_b32 s23, 0
	s_cbranch_execz .LBB9_883
	s_branch .LBB9_884
.LBB9_882:                              ;   in Loop: Header=BB9_842 Depth=1
                                        ; implicit-def: $vgpr21_vgpr22
                                        ; implicit-def: $sgpr23
.LBB9_883:                              ;   in Loop: Header=BB9_842 Depth=1
	global_load_dwordx2 v[21:22], v6, s[4:5]
	s_add_i32 s23, s22, -8
	s_add_u32 s4, s4, 8
	s_addc_u32 s5, s5, 0
.LBB9_884:                              ;   in Loop: Header=BB9_842 Depth=1
	s_cmp_gt_u32 s23, 7
	s_cbranch_scc1 .LBB9_889
; %bb.885:                              ;   in Loop: Header=BB9_842 Depth=1
	v_mov_b32_e32 v23, 0
	v_mov_b32_e32 v24, 0
	s_cmp_eq_u32 s23, 0
	s_cbranch_scc1 .LBB9_888
; %bb.886:                              ;   in Loop: Header=BB9_842 Depth=1
	s_mov_b64 s[18:19], 0
	s_mov_b64 s[20:21], s[4:5]
.LBB9_887:                              ;   Parent Loop BB9_842 Depth=1
                                        ; =>  This Inner Loop Header: Depth=2
	global_load_ubyte v4, v6, s[20:21]
	s_add_i32 s23, s23, -1
	s_waitcnt vmcnt(0)
	v_and_b32_e32 v5, 0xffff, v4
	v_lshlrev_b64 v[4:5], s18, v[5:6]
	s_add_u32 s18, s18, 8
	s_addc_u32 s19, s19, 0
	s_add_u32 s20, s20, 1
	s_addc_u32 s21, s21, 0
	s_cmp_lg_u32 s23, 0
	v_or_b32_e32 v23, v4, v23
	v_or_b32_e32 v24, v5, v24
	s_cbranch_scc1 .LBB9_887
.LBB9_888:                              ;   in Loop: Header=BB9_842 Depth=1
	s_cbranch_execz .LBB9_890
	s_branch .LBB9_891
.LBB9_889:                              ;   in Loop: Header=BB9_842 Depth=1
.LBB9_890:                              ;   in Loop: Header=BB9_842 Depth=1
	global_load_dwordx2 v[23:24], v6, s[4:5]
.LBB9_891:                              ;   in Loop: Header=BB9_842 Depth=1
	v_readfirstlane_b32 s4, v69
	s_waitcnt vmcnt(0)
	v_mov_b32_e32 v4, 0
	v_mov_b32_e32 v5, 0
	v_cmp_eq_u32_e64 s4, s4, v69
	s_and_saveexec_b32 s5, s4
	s_cbranch_execz .LBB9_897
; %bb.892:                              ;   in Loop: Header=BB9_842 Depth=1
	global_load_dwordx2 v[27:28], v6, s[40:41] offset:24 glc dlc
	s_waitcnt vmcnt(0)
	buffer_gl1_inv
	buffer_gl0_inv
	s_clause 0x1
	global_load_dwordx2 v[4:5], v6, s[40:41] offset:40
	global_load_dwordx2 v[9:10], v6, s[40:41]
	s_mov_b32 s18, exec_lo
	s_waitcnt vmcnt(1)
	v_and_b32_e32 v5, v5, v28
	v_and_b32_e32 v4, v4, v27
	v_mul_lo_u32 v5, v5, 24
	v_mul_hi_u32 v25, v4, 24
	v_mul_lo_u32 v4, v4, 24
	v_add_nc_u32_e32 v5, v25, v5
	s_waitcnt vmcnt(0)
	v_add_co_u32 v4, vcc_lo, v9, v4
	v_add_co_ci_u32_e32 v5, vcc_lo, v10, v5, vcc_lo
	global_load_dwordx2 v[25:26], v[4:5], off glc dlc
	s_waitcnt vmcnt(0)
	global_atomic_cmpswap_x2 v[4:5], v6, v[25:28], s[40:41] offset:24 glc
	s_waitcnt vmcnt(0)
	buffer_gl1_inv
	buffer_gl0_inv
	v_cmpx_ne_u64_e64 v[4:5], v[27:28]
	s_cbranch_execz .LBB9_896
; %bb.893:                              ;   in Loop: Header=BB9_842 Depth=1
	s_mov_b32 s19, 0
	.p2align	6
.LBB9_894:                              ;   Parent Loop BB9_842 Depth=1
                                        ; =>  This Inner Loop Header: Depth=2
	s_sleep 1
	s_clause 0x1
	global_load_dwordx2 v[9:10], v6, s[40:41] offset:40
	global_load_dwordx2 v[25:26], v6, s[40:41]
	v_mov_b32_e32 v28, v5
	v_mov_b32_e32 v27, v4
	s_waitcnt vmcnt(1)
	v_and_b32_e32 v4, v9, v27
	v_and_b32_e32 v9, v10, v28
	s_waitcnt vmcnt(0)
	v_mad_u64_u32 v[4:5], null, v4, 24, v[25:26]
	v_mad_u64_u32 v[9:10], null, v9, 24, v[5:6]
	v_mov_b32_e32 v5, v9
	global_load_dwordx2 v[25:26], v[4:5], off glc dlc
	s_waitcnt vmcnt(0)
	global_atomic_cmpswap_x2 v[4:5], v6, v[25:28], s[40:41] offset:24 glc
	s_waitcnt vmcnt(0)
	buffer_gl1_inv
	buffer_gl0_inv
	v_cmp_eq_u64_e32 vcc_lo, v[4:5], v[27:28]
	s_or_b32 s19, vcc_lo, s19
	s_andn2_b32 exec_lo, exec_lo, s19
	s_cbranch_execnz .LBB9_894
; %bb.895:                              ;   in Loop: Header=BB9_842 Depth=1
	s_or_b32 exec_lo, exec_lo, s19
.LBB9_896:                              ;   in Loop: Header=BB9_842 Depth=1
	s_or_b32 exec_lo, exec_lo, s18
.LBB9_897:                              ;   in Loop: Header=BB9_842 Depth=1
	s_or_b32 exec_lo, exec_lo, s5
	s_clause 0x1
	global_load_dwordx2 v[9:10], v6, s[40:41] offset:40
	global_load_dwordx4 v[25:28], v6, s[40:41]
	v_readfirstlane_b32 s18, v4
	v_readfirstlane_b32 s19, v5
	s_mov_b32 s5, exec_lo
	s_waitcnt vmcnt(1)
	v_readfirstlane_b32 s20, v9
	v_readfirstlane_b32 s21, v10
	s_and_b64 s[20:21], s[18:19], s[20:21]
	s_mul_i32 s22, s21, 24
	s_mul_hi_u32 s23, s20, 24
	s_mul_i32 s24, s20, 24
	s_add_i32 s23, s23, s22
	s_waitcnt vmcnt(0)
	v_add_co_u32 v29, vcc_lo, v25, s24
	v_add_co_ci_u32_e32 v30, vcc_lo, s23, v26, vcc_lo
	s_and_saveexec_b32 s22, s4
	s_cbranch_execz .LBB9_899
; %bb.898:                              ;   in Loop: Header=BB9_842 Depth=1
	v_mov_b32_e32 v5, s5
	global_store_dwordx4 v[29:30], v[5:8], off offset:8
.LBB9_899:                              ;   in Loop: Header=BB9_842 Depth=1
	s_or_b32 exec_lo, exec_lo, s22
	s_lshl_b64 s[20:21], s[20:21], 12
	v_cmp_gt_u64_e64 vcc_lo, s[10:11], 56
	v_or_b32_e32 v5, v2, v31
	v_add_co_u32 v27, s5, v27, s20
	v_add_co_ci_u32_e64 v28, s5, s21, v28, s5
	s_lshl_b32 s5, s16, 2
	v_or_b32_e32 v4, 0, v3
	v_cndmask_b32_e32 v2, v5, v2, vcc_lo
	s_add_i32 s5, s5, 28
	v_readfirstlane_b32 s20, v27
	s_and_b32 s5, s5, 0x1e0
	v_cndmask_b32_e32 v10, v4, v3, vcc_lo
	v_readfirstlane_b32 s21, v28
	v_and_or_b32 v9, 0xffffff1f, v2, s5
	global_store_dwordx4 v68, v[9:12], s[20:21]
	global_store_dwordx4 v68, v[13:16], s[20:21] offset:16
	global_store_dwordx4 v68, v[17:20], s[20:21] offset:32
	;; [unrolled: 1-line block ×3, first 2 shown]
	s_and_saveexec_b32 s5, s4
	s_cbranch_execz .LBB9_907
; %bb.900:                              ;   in Loop: Header=BB9_842 Depth=1
	s_clause 0x1
	global_load_dwordx2 v[13:14], v6, s[40:41] offset:32 glc dlc
	global_load_dwordx2 v[2:3], v6, s[40:41] offset:40
	v_mov_b32_e32 v11, s18
	v_mov_b32_e32 v12, s19
	s_waitcnt vmcnt(0)
	v_readfirstlane_b32 s20, v2
	v_readfirstlane_b32 s21, v3
	s_and_b64 s[20:21], s[20:21], s[18:19]
	s_mul_i32 s21, s21, 24
	s_mul_hi_u32 s22, s20, 24
	s_mul_i32 s20, s20, 24
	s_add_i32 s22, s22, s21
	v_add_co_u32 v9, vcc_lo, v25, s20
	v_add_co_ci_u32_e32 v10, vcc_lo, s22, v26, vcc_lo
	s_mov_b32 s20, exec_lo
	global_store_dwordx2 v[9:10], v[13:14], off
	s_waitcnt_vscnt null, 0x0
	global_atomic_cmpswap_x2 v[4:5], v6, v[11:14], s[40:41] offset:32 glc
	s_waitcnt vmcnt(0)
	v_cmpx_ne_u64_e64 v[4:5], v[13:14]
	s_cbranch_execz .LBB9_903
; %bb.901:                              ;   in Loop: Header=BB9_842 Depth=1
	s_mov_b32 s21, 0
.LBB9_902:                              ;   Parent Loop BB9_842 Depth=1
                                        ; =>  This Inner Loop Header: Depth=2
	v_mov_b32_e32 v2, s18
	v_mov_b32_e32 v3, s19
	s_sleep 1
	global_store_dwordx2 v[9:10], v[4:5], off
	s_waitcnt_vscnt null, 0x0
	global_atomic_cmpswap_x2 v[2:3], v6, v[2:5], s[40:41] offset:32 glc
	s_waitcnt vmcnt(0)
	v_cmp_eq_u64_e32 vcc_lo, v[2:3], v[4:5]
	v_mov_b32_e32 v5, v3
	v_mov_b32_e32 v4, v2
	s_or_b32 s21, vcc_lo, s21
	s_andn2_b32 exec_lo, exec_lo, s21
	s_cbranch_execnz .LBB9_902
.LBB9_903:                              ;   in Loop: Header=BB9_842 Depth=1
	s_or_b32 exec_lo, exec_lo, s20
	global_load_dwordx2 v[2:3], v6, s[40:41] offset:16
	s_mov_b32 s21, exec_lo
	s_mov_b32 s20, exec_lo
	v_mbcnt_lo_u32_b32 v4, s21, 0
	v_cmpx_eq_u32_e32 0, v4
	s_cbranch_execz .LBB9_905
; %bb.904:                              ;   in Loop: Header=BB9_842 Depth=1
	s_bcnt1_i32_b32 s21, s21
	v_mov_b32_e32 v5, s21
	s_waitcnt vmcnt(0)
	global_atomic_add_x2 v[2:3], v[5:6], off offset:8
.LBB9_905:                              ;   in Loop: Header=BB9_842 Depth=1
	s_or_b32 exec_lo, exec_lo, s20
	s_waitcnt vmcnt(0)
	global_load_dwordx2 v[9:10], v[2:3], off offset:16
	s_waitcnt vmcnt(0)
	v_cmp_eq_u64_e32 vcc_lo, 0, v[9:10]
	s_cbranch_vccnz .LBB9_907
; %bb.906:                              ;   in Loop: Header=BB9_842 Depth=1
	global_load_dword v5, v[2:3], off offset:24
	s_waitcnt vmcnt(0)
	v_and_b32_e32 v2, 0x7fffff, v5
	s_waitcnt_vscnt null, 0x0
	global_store_dwordx2 v[9:10], v[5:6], off
	v_readfirstlane_b32 m0, v2
	s_sendmsg sendmsg(MSG_INTERRUPT)
.LBB9_907:                              ;   in Loop: Header=BB9_842 Depth=1
	s_or_b32 exec_lo, exec_lo, s5
	v_add_co_u32 v2, vcc_lo, v27, v68
	v_add_co_ci_u32_e32 v3, vcc_lo, 0, v28, vcc_lo
	s_branch .LBB9_911
	.p2align	6
.LBB9_908:                              ;   in Loop: Header=BB9_911 Depth=2
	s_or_b32 exec_lo, exec_lo, s5
	v_readfirstlane_b32 s5, v4
	s_cmp_eq_u32 s5, 0
	s_cbranch_scc1 .LBB9_910
; %bb.909:                              ;   in Loop: Header=BB9_911 Depth=2
	s_sleep 1
	s_cbranch_execnz .LBB9_911
	s_branch .LBB9_913
	.p2align	6
.LBB9_910:                              ;   in Loop: Header=BB9_842 Depth=1
	s_branch .LBB9_913
.LBB9_911:                              ;   Parent Loop BB9_842 Depth=1
                                        ; =>  This Inner Loop Header: Depth=2
	v_mov_b32_e32 v4, 1
	s_and_saveexec_b32 s5, s4
	s_cbranch_execz .LBB9_908
; %bb.912:                              ;   in Loop: Header=BB9_911 Depth=2
	global_load_dword v4, v[29:30], off offset:20 glc dlc
	s_waitcnt vmcnt(0)
	buffer_gl1_inv
	buffer_gl0_inv
	v_and_b32_e32 v4, 1, v4
	s_branch .LBB9_908
.LBB9_913:                              ;   in Loop: Header=BB9_842 Depth=1
	global_load_dwordx4 v[2:5], v[2:3], off
	s_and_saveexec_b32 s5, s4
	s_cbranch_execz .LBB9_841
; %bb.914:                              ;   in Loop: Header=BB9_842 Depth=1
	s_clause 0x2
	global_load_dwordx2 v[4:5], v6, s[40:41] offset:40
	global_load_dwordx2 v[13:14], v6, s[40:41] offset:24 glc dlc
	global_load_dwordx2 v[11:12], v6, s[40:41]
	s_waitcnt vmcnt(2)
	v_add_co_u32 v15, vcc_lo, v4, 1
	v_add_co_ci_u32_e32 v16, vcc_lo, 0, v5, vcc_lo
	v_add_co_u32 v9, vcc_lo, v15, s18
	v_add_co_ci_u32_e32 v10, vcc_lo, s19, v16, vcc_lo
	v_cmp_eq_u64_e32 vcc_lo, 0, v[9:10]
	v_cndmask_b32_e32 v10, v10, v16, vcc_lo
	v_cndmask_b32_e32 v9, v9, v15, vcc_lo
	v_and_b32_e32 v5, v10, v5
	v_and_b32_e32 v4, v9, v4
	v_mul_lo_u32 v5, v5, 24
	v_mul_hi_u32 v15, v4, 24
	v_mul_lo_u32 v4, v4, 24
	v_add_nc_u32_e32 v5, v15, v5
	s_waitcnt vmcnt(0)
	v_add_co_u32 v4, vcc_lo, v11, v4
	v_mov_b32_e32 v11, v13
	v_add_co_ci_u32_e32 v5, vcc_lo, v12, v5, vcc_lo
	v_mov_b32_e32 v12, v14
	global_store_dwordx2 v[4:5], v[13:14], off
	s_waitcnt_vscnt null, 0x0
	global_atomic_cmpswap_x2 v[11:12], v6, v[9:12], s[40:41] offset:24 glc
	s_waitcnt vmcnt(0)
	v_cmp_ne_u64_e32 vcc_lo, v[11:12], v[13:14]
	s_and_b32 exec_lo, exec_lo, vcc_lo
	s_cbranch_execz .LBB9_841
; %bb.915:                              ;   in Loop: Header=BB9_842 Depth=1
	s_mov_b32 s4, 0
.LBB9_916:                              ;   Parent Loop BB9_842 Depth=1
                                        ; =>  This Inner Loop Header: Depth=2
	s_sleep 1
	global_store_dwordx2 v[4:5], v[11:12], off
	s_waitcnt_vscnt null, 0x0
	global_atomic_cmpswap_x2 v[13:14], v6, v[9:12], s[40:41] offset:24 glc
	s_waitcnt vmcnt(0)
	v_cmp_eq_u64_e32 vcc_lo, v[13:14], v[11:12]
	v_mov_b32_e32 v11, v13
	v_mov_b32_e32 v12, v14
	s_or_b32 s4, vcc_lo, s4
	s_andn2_b32 exec_lo, exec_lo, s4
	s_cbranch_execnz .LBB9_916
	s_branch .LBB9_841
.LBB9_917:
	s_branch .LBB9_946
.LBB9_918:
                                        ; implicit-def: $vgpr2_vgpr3
	s_cbranch_execz .LBB9_946
; %bb.919:
	v_readfirstlane_b32 s4, v69
	v_mov_b32_e32 v8, 0
	v_mov_b32_e32 v9, 0
	v_cmp_eq_u32_e64 s4, s4, v69
	s_and_saveexec_b32 s5, s4
	s_cbranch_execz .LBB9_925
; %bb.920:
	s_waitcnt vmcnt(0)
	v_mov_b32_e32 v2, 0
	s_mov_b32 s6, exec_lo
	global_load_dwordx2 v[5:6], v2, s[40:41] offset:24 glc dlc
	s_waitcnt vmcnt(0)
	buffer_gl1_inv
	buffer_gl0_inv
	s_clause 0x1
	global_load_dwordx2 v[3:4], v2, s[40:41] offset:40
	global_load_dwordx2 v[7:8], v2, s[40:41]
	s_waitcnt vmcnt(1)
	v_and_b32_e32 v4, v4, v6
	v_and_b32_e32 v3, v3, v5
	v_mul_lo_u32 v4, v4, 24
	v_mul_hi_u32 v9, v3, 24
	v_mul_lo_u32 v3, v3, 24
	v_add_nc_u32_e32 v4, v9, v4
	s_waitcnt vmcnt(0)
	v_add_co_u32 v3, vcc_lo, v7, v3
	v_add_co_ci_u32_e32 v4, vcc_lo, v8, v4, vcc_lo
	global_load_dwordx2 v[3:4], v[3:4], off glc dlc
	s_waitcnt vmcnt(0)
	global_atomic_cmpswap_x2 v[8:9], v2, v[3:6], s[40:41] offset:24 glc
	s_waitcnt vmcnt(0)
	buffer_gl1_inv
	buffer_gl0_inv
	v_cmpx_ne_u64_e64 v[8:9], v[5:6]
	s_cbranch_execz .LBB9_924
; %bb.921:
	s_mov_b32 s7, 0
	.p2align	6
.LBB9_922:                              ; =>This Inner Loop Header: Depth=1
	s_sleep 1
	s_clause 0x1
	global_load_dwordx2 v[3:4], v2, s[40:41] offset:40
	global_load_dwordx2 v[10:11], v2, s[40:41]
	v_mov_b32_e32 v5, v8
	v_mov_b32_e32 v6, v9
	s_waitcnt vmcnt(1)
	v_and_b32_e32 v3, v3, v5
	v_and_b32_e32 v4, v4, v6
	s_waitcnt vmcnt(0)
	v_mad_u64_u32 v[7:8], null, v3, 24, v[10:11]
	v_mov_b32_e32 v3, v8
	v_mad_u64_u32 v[3:4], null, v4, 24, v[3:4]
	v_mov_b32_e32 v8, v3
	global_load_dwordx2 v[3:4], v[7:8], off glc dlc
	s_waitcnt vmcnt(0)
	global_atomic_cmpswap_x2 v[8:9], v2, v[3:6], s[40:41] offset:24 glc
	s_waitcnt vmcnt(0)
	buffer_gl1_inv
	buffer_gl0_inv
	v_cmp_eq_u64_e32 vcc_lo, v[8:9], v[5:6]
	s_or_b32 s7, vcc_lo, s7
	s_andn2_b32 exec_lo, exec_lo, s7
	s_cbranch_execnz .LBB9_922
; %bb.923:
	s_or_b32 exec_lo, exec_lo, s7
.LBB9_924:
	s_or_b32 exec_lo, exec_lo, s6
.LBB9_925:
	s_or_b32 exec_lo, exec_lo, s5
	s_waitcnt vmcnt(0)
	v_mov_b32_e32 v2, 0
	v_readfirstlane_b32 s6, v8
	v_readfirstlane_b32 s7, v9
	s_mov_b32 s5, exec_lo
	s_clause 0x1
	global_load_dwordx2 v[10:11], v2, s[40:41] offset:40
	global_load_dwordx4 v[4:7], v2, s[40:41]
	s_waitcnt vmcnt(1)
	v_readfirstlane_b32 s10, v10
	v_readfirstlane_b32 s11, v11
	s_and_b64 s[10:11], s[6:7], s[10:11]
	s_mul_i32 s16, s11, 24
	s_mul_hi_u32 s17, s10, 24
	s_mul_i32 s18, s10, 24
	s_add_i32 s17, s17, s16
	s_waitcnt vmcnt(0)
	v_add_co_u32 v8, vcc_lo, v4, s18
	v_add_co_ci_u32_e32 v9, vcc_lo, s17, v5, vcc_lo
	s_and_saveexec_b32 s16, s4
	s_cbranch_execz .LBB9_927
; %bb.926:
	v_mov_b32_e32 v10, s5
	v_mov_b32_e32 v11, v2
	;; [unrolled: 1-line block ×4, first 2 shown]
	global_store_dwordx4 v[8:9], v[10:13], off offset:8
.LBB9_927:
	s_or_b32 exec_lo, exec_lo, s16
	s_lshl_b64 s[10:11], s[10:11], 12
	s_mov_b32 s16, 0
	v_add_co_u32 v6, vcc_lo, v6, s10
	v_add_co_ci_u32_e32 v7, vcc_lo, s11, v7, vcc_lo
	s_mov_b32 s17, s16
	v_readfirstlane_b32 s10, v6
	v_add_co_u32 v6, vcc_lo, v6, v68
	s_mov_b32 s18, s16
	s_mov_b32 s19, s16
	v_and_or_b32 v0, 0xffffff1f, v0, 32
	v_mov_b32_e32 v3, v2
	v_readfirstlane_b32 s11, v7
	v_mov_b32_e32 v10, s16
	v_add_co_ci_u32_e32 v7, vcc_lo, 0, v7, vcc_lo
	v_mov_b32_e32 v11, s17
	v_mov_b32_e32 v12, s18
	;; [unrolled: 1-line block ×3, first 2 shown]
	global_store_dwordx4 v68, v[0:3], s[10:11]
	global_store_dwordx4 v68, v[10:13], s[10:11] offset:16
	global_store_dwordx4 v68, v[10:13], s[10:11] offset:32
	;; [unrolled: 1-line block ×3, first 2 shown]
	s_and_saveexec_b32 s5, s4
	s_cbranch_execz .LBB9_935
; %bb.928:
	v_mov_b32_e32 v10, 0
	v_mov_b32_e32 v11, s6
	;; [unrolled: 1-line block ×3, first 2 shown]
	s_clause 0x1
	global_load_dwordx2 v[13:14], v10, s[40:41] offset:32 glc dlc
	global_load_dwordx2 v[0:1], v10, s[40:41] offset:40
	s_waitcnt vmcnt(0)
	v_readfirstlane_b32 s10, v0
	v_readfirstlane_b32 s11, v1
	s_and_b64 s[10:11], s[10:11], s[6:7]
	s_mul_i32 s11, s11, 24
	s_mul_hi_u32 s16, s10, 24
	s_mul_i32 s10, s10, 24
	s_add_i32 s16, s16, s11
	v_add_co_u32 v4, vcc_lo, v4, s10
	v_add_co_ci_u32_e32 v5, vcc_lo, s16, v5, vcc_lo
	s_mov_b32 s10, exec_lo
	global_store_dwordx2 v[4:5], v[13:14], off
	s_waitcnt_vscnt null, 0x0
	global_atomic_cmpswap_x2 v[2:3], v10, v[11:14], s[40:41] offset:32 glc
	s_waitcnt vmcnt(0)
	v_cmpx_ne_u64_e64 v[2:3], v[13:14]
	s_cbranch_execz .LBB9_931
; %bb.929:
	s_mov_b32 s11, 0
.LBB9_930:                              ; =>This Inner Loop Header: Depth=1
	v_mov_b32_e32 v0, s6
	v_mov_b32_e32 v1, s7
	s_sleep 1
	global_store_dwordx2 v[4:5], v[2:3], off
	s_waitcnt_vscnt null, 0x0
	global_atomic_cmpswap_x2 v[0:1], v10, v[0:3], s[40:41] offset:32 glc
	s_waitcnt vmcnt(0)
	v_cmp_eq_u64_e32 vcc_lo, v[0:1], v[2:3]
	v_mov_b32_e32 v3, v1
	v_mov_b32_e32 v2, v0
	s_or_b32 s11, vcc_lo, s11
	s_andn2_b32 exec_lo, exec_lo, s11
	s_cbranch_execnz .LBB9_930
.LBB9_931:
	s_or_b32 exec_lo, exec_lo, s10
	v_mov_b32_e32 v3, 0
	s_mov_b32 s11, exec_lo
	s_mov_b32 s10, exec_lo
	v_mbcnt_lo_u32_b32 v2, s11, 0
	global_load_dwordx2 v[0:1], v3, s[40:41] offset:16
	v_cmpx_eq_u32_e32 0, v2
	s_cbranch_execz .LBB9_933
; %bb.932:
	s_bcnt1_i32_b32 s11, s11
	v_mov_b32_e32 v2, s11
	s_waitcnt vmcnt(0)
	global_atomic_add_x2 v[0:1], v[2:3], off offset:8
.LBB9_933:
	s_or_b32 exec_lo, exec_lo, s10
	s_waitcnt vmcnt(0)
	global_load_dwordx2 v[2:3], v[0:1], off offset:16
	s_waitcnt vmcnt(0)
	v_cmp_eq_u64_e32 vcc_lo, 0, v[2:3]
	s_cbranch_vccnz .LBB9_935
; %bb.934:
	global_load_dword v0, v[0:1], off offset:24
	v_mov_b32_e32 v1, 0
	s_waitcnt vmcnt(0)
	v_and_b32_e32 v4, 0x7fffff, v0
	s_waitcnt_vscnt null, 0x0
	global_store_dwordx2 v[2:3], v[0:1], off
	v_readfirstlane_b32 m0, v4
	s_sendmsg sendmsg(MSG_INTERRUPT)
.LBB9_935:
	s_or_b32 exec_lo, exec_lo, s5
	s_branch .LBB9_939
	.p2align	6
.LBB9_936:                              ;   in Loop: Header=BB9_939 Depth=1
	s_or_b32 exec_lo, exec_lo, s5
	v_readfirstlane_b32 s5, v0
	s_cmp_eq_u32 s5, 0
	s_cbranch_scc1 .LBB9_938
; %bb.937:                              ;   in Loop: Header=BB9_939 Depth=1
	s_sleep 1
	s_cbranch_execnz .LBB9_939
	s_branch .LBB9_941
	.p2align	6
.LBB9_938:
	s_branch .LBB9_941
.LBB9_939:                              ; =>This Inner Loop Header: Depth=1
	v_mov_b32_e32 v0, 1
	s_and_saveexec_b32 s5, s4
	s_cbranch_execz .LBB9_936
; %bb.940:                              ;   in Loop: Header=BB9_939 Depth=1
	global_load_dword v0, v[8:9], off offset:20 glc dlc
	s_waitcnt vmcnt(0)
	buffer_gl1_inv
	buffer_gl0_inv
	v_and_b32_e32 v0, 1, v0
	s_branch .LBB9_936
.LBB9_941:
	global_load_dwordx2 v[2:3], v[6:7], off
	s_and_saveexec_b32 s5, s4
	s_cbranch_execz .LBB9_945
; %bb.942:
	v_mov_b32_e32 v8, 0
	s_clause 0x2
	global_load_dwordx2 v[0:1], v8, s[40:41] offset:40
	global_load_dwordx2 v[9:10], v8, s[40:41] offset:24 glc dlc
	global_load_dwordx2 v[6:7], v8, s[40:41]
	s_waitcnt vmcnt(2)
	v_add_co_u32 v11, vcc_lo, v0, 1
	v_add_co_ci_u32_e32 v12, vcc_lo, 0, v1, vcc_lo
	v_add_co_u32 v4, vcc_lo, v11, s6
	v_add_co_ci_u32_e32 v5, vcc_lo, s7, v12, vcc_lo
	v_cmp_eq_u64_e32 vcc_lo, 0, v[4:5]
	v_cndmask_b32_e32 v5, v5, v12, vcc_lo
	v_cndmask_b32_e32 v4, v4, v11, vcc_lo
	v_and_b32_e32 v1, v5, v1
	v_and_b32_e32 v0, v4, v0
	v_mul_lo_u32 v1, v1, 24
	v_mul_hi_u32 v11, v0, 24
	v_mul_lo_u32 v0, v0, 24
	v_add_nc_u32_e32 v1, v11, v1
	s_waitcnt vmcnt(0)
	v_add_co_u32 v0, vcc_lo, v6, v0
	v_mov_b32_e32 v6, v9
	v_add_co_ci_u32_e32 v1, vcc_lo, v7, v1, vcc_lo
	v_mov_b32_e32 v7, v10
	global_store_dwordx2 v[0:1], v[9:10], off
	s_waitcnt_vscnt null, 0x0
	global_atomic_cmpswap_x2 v[6:7], v8, v[4:7], s[40:41] offset:24 glc
	s_waitcnt vmcnt(0)
	v_cmp_ne_u64_e32 vcc_lo, v[6:7], v[9:10]
	s_and_b32 exec_lo, exec_lo, vcc_lo
	s_cbranch_execz .LBB9_945
; %bb.943:
	s_mov_b32 s4, 0
.LBB9_944:                              ; =>This Inner Loop Header: Depth=1
	s_sleep 1
	global_store_dwordx2 v[0:1], v[6:7], off
	s_waitcnt_vscnt null, 0x0
	global_atomic_cmpswap_x2 v[9:10], v8, v[4:7], s[40:41] offset:24 glc
	s_waitcnt vmcnt(0)
	v_cmp_eq_u64_e32 vcc_lo, v[9:10], v[6:7]
	v_mov_b32_e32 v6, v9
	v_mov_b32_e32 v7, v10
	s_or_b32 s4, vcc_lo, s4
	s_andn2_b32 exec_lo, exec_lo, s4
	s_cbranch_execnz .LBB9_944
.LBB9_945:
	s_or_b32 exec_lo, exec_lo, s5
.LBB9_946:
	v_readfirstlane_b32 s4, v69
	s_waitcnt vmcnt(0)
	v_mov_b32_e32 v0, 0
	v_mov_b32_e32 v1, 0
	v_cmp_eq_u32_e64 s4, s4, v69
	s_and_saveexec_b32 s5, s4
	s_cbranch_execz .LBB9_952
; %bb.947:
	v_mov_b32_e32 v4, 0
	s_mov_b32 s6, exec_lo
	global_load_dwordx2 v[7:8], v4, s[40:41] offset:24 glc dlc
	s_waitcnt vmcnt(0)
	buffer_gl1_inv
	buffer_gl0_inv
	s_clause 0x1
	global_load_dwordx2 v[0:1], v4, s[40:41] offset:40
	global_load_dwordx2 v[5:6], v4, s[40:41]
	s_waitcnt vmcnt(1)
	v_and_b32_e32 v1, v1, v8
	v_and_b32_e32 v0, v0, v7
	v_mul_lo_u32 v1, v1, 24
	v_mul_hi_u32 v9, v0, 24
	v_mul_lo_u32 v0, v0, 24
	v_add_nc_u32_e32 v1, v9, v1
	s_waitcnt vmcnt(0)
	v_add_co_u32 v0, vcc_lo, v5, v0
	v_add_co_ci_u32_e32 v1, vcc_lo, v6, v1, vcc_lo
	global_load_dwordx2 v[5:6], v[0:1], off glc dlc
	s_waitcnt vmcnt(0)
	global_atomic_cmpswap_x2 v[0:1], v4, v[5:8], s[40:41] offset:24 glc
	s_waitcnt vmcnt(0)
	buffer_gl1_inv
	buffer_gl0_inv
	v_cmpx_ne_u64_e64 v[0:1], v[7:8]
	s_cbranch_execz .LBB9_951
; %bb.948:
	s_mov_b32 s7, 0
	.p2align	6
.LBB9_949:                              ; =>This Inner Loop Header: Depth=1
	s_sleep 1
	s_clause 0x1
	global_load_dwordx2 v[5:6], v4, s[40:41] offset:40
	global_load_dwordx2 v[9:10], v4, s[40:41]
	v_mov_b32_e32 v8, v1
	v_mov_b32_e32 v7, v0
	s_waitcnt vmcnt(1)
	v_and_b32_e32 v0, v5, v7
	v_and_b32_e32 v5, v6, v8
	s_waitcnt vmcnt(0)
	v_mad_u64_u32 v[0:1], null, v0, 24, v[9:10]
	v_mad_u64_u32 v[5:6], null, v5, 24, v[1:2]
	v_mov_b32_e32 v1, v5
	global_load_dwordx2 v[5:6], v[0:1], off glc dlc
	s_waitcnt vmcnt(0)
	global_atomic_cmpswap_x2 v[0:1], v4, v[5:8], s[40:41] offset:24 glc
	s_waitcnt vmcnt(0)
	buffer_gl1_inv
	buffer_gl0_inv
	v_cmp_eq_u64_e32 vcc_lo, v[0:1], v[7:8]
	s_or_b32 s7, vcc_lo, s7
	s_andn2_b32 exec_lo, exec_lo, s7
	s_cbranch_execnz .LBB9_949
; %bb.950:
	s_or_b32 exec_lo, exec_lo, s7
.LBB9_951:
	s_or_b32 exec_lo, exec_lo, s6
.LBB9_952:
	s_or_b32 exec_lo, exec_lo, s5
	v_mov_b32_e32 v5, 0
	v_readfirstlane_b32 s6, v0
	v_readfirstlane_b32 s7, v1
	s_mov_b32 s5, exec_lo
	s_clause 0x1
	global_load_dwordx2 v[10:11], v5, s[40:41] offset:40
	global_load_dwordx4 v[6:9], v5, s[40:41]
	s_waitcnt vmcnt(1)
	v_readfirstlane_b32 s10, v10
	v_readfirstlane_b32 s11, v11
	s_and_b64 s[10:11], s[6:7], s[10:11]
	s_mul_i32 s16, s11, 24
	s_mul_hi_u32 s17, s10, 24
	s_mul_i32 s18, s10, 24
	s_add_i32 s17, s17, s16
	s_waitcnt vmcnt(0)
	v_add_co_u32 v10, vcc_lo, v6, s18
	v_add_co_ci_u32_e32 v11, vcc_lo, s17, v7, vcc_lo
	s_and_saveexec_b32 s16, s4
	s_cbranch_execz .LBB9_954
; %bb.953:
	v_mov_b32_e32 v4, s5
	v_mov_b32_e32 v13, v5
	;; [unrolled: 1-line block ×5, first 2 shown]
	global_store_dwordx4 v[10:11], v[12:15], off offset:8
.LBB9_954:
	s_or_b32 exec_lo, exec_lo, s16
	s_lshl_b64 s[10:11], s[10:11], 12
	s_mov_b32 s16, 0
	v_add_co_u32 v0, vcc_lo, v8, s10
	v_add_co_ci_u32_e32 v1, vcc_lo, s11, v9, vcc_lo
	s_mov_b32 s17, s16
	s_mov_b32 s18, s16
	s_mov_b32 s19, s16
	v_and_or_b32 v2, 0xffffff1d, v2, 34
	v_mov_b32_e32 v4, 0x432
	v_readfirstlane_b32 s10, v0
	v_readfirstlane_b32 s11, v1
	v_mov_b32_e32 v12, s16
	v_mov_b32_e32 v13, s17
	;; [unrolled: 1-line block ×4, first 2 shown]
	global_store_dwordx4 v68, v[2:5], s[10:11]
	global_store_dwordx4 v68, v[12:15], s[10:11] offset:16
	global_store_dwordx4 v68, v[12:15], s[10:11] offset:32
	;; [unrolled: 1-line block ×3, first 2 shown]
	s_and_saveexec_b32 s5, s4
	s_cbranch_execz .LBB9_962
; %bb.955:
	v_mov_b32_e32 v8, 0
	v_mov_b32_e32 v12, s6
	;; [unrolled: 1-line block ×3, first 2 shown]
	s_clause 0x1
	global_load_dwordx2 v[14:15], v8, s[40:41] offset:32 glc dlc
	global_load_dwordx2 v[0:1], v8, s[40:41] offset:40
	s_waitcnt vmcnt(0)
	v_readfirstlane_b32 s10, v0
	v_readfirstlane_b32 s11, v1
	s_and_b64 s[10:11], s[10:11], s[6:7]
	s_mul_i32 s11, s11, 24
	s_mul_hi_u32 s16, s10, 24
	s_mul_i32 s10, s10, 24
	s_add_i32 s16, s16, s11
	v_add_co_u32 v4, vcc_lo, v6, s10
	v_add_co_ci_u32_e32 v5, vcc_lo, s16, v7, vcc_lo
	s_mov_b32 s10, exec_lo
	global_store_dwordx2 v[4:5], v[14:15], off
	s_waitcnt_vscnt null, 0x0
	global_atomic_cmpswap_x2 v[2:3], v8, v[12:15], s[40:41] offset:32 glc
	s_waitcnt vmcnt(0)
	v_cmpx_ne_u64_e64 v[2:3], v[14:15]
	s_cbranch_execz .LBB9_958
; %bb.956:
	s_mov_b32 s11, 0
.LBB9_957:                              ; =>This Inner Loop Header: Depth=1
	v_mov_b32_e32 v0, s6
	v_mov_b32_e32 v1, s7
	s_sleep 1
	global_store_dwordx2 v[4:5], v[2:3], off
	s_waitcnt_vscnt null, 0x0
	global_atomic_cmpswap_x2 v[0:1], v8, v[0:3], s[40:41] offset:32 glc
	s_waitcnt vmcnt(0)
	v_cmp_eq_u64_e32 vcc_lo, v[0:1], v[2:3]
	v_mov_b32_e32 v3, v1
	v_mov_b32_e32 v2, v0
	s_or_b32 s11, vcc_lo, s11
	s_andn2_b32 exec_lo, exec_lo, s11
	s_cbranch_execnz .LBB9_957
.LBB9_958:
	s_or_b32 exec_lo, exec_lo, s10
	v_mov_b32_e32 v3, 0
	s_mov_b32 s11, exec_lo
	s_mov_b32 s10, exec_lo
	v_mbcnt_lo_u32_b32 v2, s11, 0
	global_load_dwordx2 v[0:1], v3, s[40:41] offset:16
	v_cmpx_eq_u32_e32 0, v2
	s_cbranch_execz .LBB9_960
; %bb.959:
	s_bcnt1_i32_b32 s11, s11
	v_mov_b32_e32 v2, s11
	s_waitcnt vmcnt(0)
	global_atomic_add_x2 v[0:1], v[2:3], off offset:8
.LBB9_960:
	s_or_b32 exec_lo, exec_lo, s10
	s_waitcnt vmcnt(0)
	global_load_dwordx2 v[2:3], v[0:1], off offset:16
	s_waitcnt vmcnt(0)
	v_cmp_eq_u64_e32 vcc_lo, 0, v[2:3]
	s_cbranch_vccnz .LBB9_962
; %bb.961:
	global_load_dword v0, v[0:1], off offset:24
	v_mov_b32_e32 v1, 0
	s_waitcnt vmcnt(0)
	v_and_b32_e32 v4, 0x7fffff, v0
	s_waitcnt_vscnt null, 0x0
	global_store_dwordx2 v[2:3], v[0:1], off
	v_readfirstlane_b32 m0, v4
	s_sendmsg sendmsg(MSG_INTERRUPT)
.LBB9_962:
	s_or_b32 exec_lo, exec_lo, s5
	s_branch .LBB9_966
	.p2align	6
.LBB9_963:                              ;   in Loop: Header=BB9_966 Depth=1
	s_or_b32 exec_lo, exec_lo, s5
	v_readfirstlane_b32 s5, v0
	s_cmp_eq_u32 s5, 0
	s_cbranch_scc1 .LBB9_965
; %bb.964:                              ;   in Loop: Header=BB9_966 Depth=1
	s_sleep 1
	s_cbranch_execnz .LBB9_966
	s_branch .LBB9_968
	.p2align	6
.LBB9_965:
	s_branch .LBB9_968
.LBB9_966:                              ; =>This Inner Loop Header: Depth=1
	v_mov_b32_e32 v0, 1
	s_and_saveexec_b32 s5, s4
	s_cbranch_execz .LBB9_963
; %bb.967:                              ;   in Loop: Header=BB9_966 Depth=1
	global_load_dword v0, v[10:11], off offset:20 glc dlc
	s_waitcnt vmcnt(0)
	buffer_gl1_inv
	buffer_gl0_inv
	v_and_b32_e32 v0, 1, v0
	s_branch .LBB9_963
.LBB9_968:
	s_and_saveexec_b32 s5, s4
	s_cbranch_execz .LBB9_972
; %bb.969:
	v_mov_b32_e32 v6, 0
	s_clause 0x2
	global_load_dwordx2 v[2:3], v6, s[40:41] offset:40
	global_load_dwordx2 v[7:8], v6, s[40:41] offset:24 glc dlc
	global_load_dwordx2 v[4:5], v6, s[40:41]
	s_waitcnt vmcnt(2)
	v_add_co_u32 v9, vcc_lo, v2, 1
	v_add_co_ci_u32_e32 v10, vcc_lo, 0, v3, vcc_lo
	v_add_co_u32 v0, vcc_lo, v9, s6
	v_add_co_ci_u32_e32 v1, vcc_lo, s7, v10, vcc_lo
	v_cmp_eq_u64_e32 vcc_lo, 0, v[0:1]
	v_cndmask_b32_e32 v1, v1, v10, vcc_lo
	v_cndmask_b32_e32 v0, v0, v9, vcc_lo
	v_and_b32_e32 v3, v1, v3
	v_and_b32_e32 v2, v0, v2
	v_mul_lo_u32 v3, v3, 24
	v_mul_hi_u32 v9, v2, 24
	v_mul_lo_u32 v2, v2, 24
	v_add_nc_u32_e32 v3, v9, v3
	s_waitcnt vmcnt(0)
	v_add_co_u32 v4, vcc_lo, v4, v2
	v_mov_b32_e32 v2, v7
	v_add_co_ci_u32_e32 v5, vcc_lo, v5, v3, vcc_lo
	v_mov_b32_e32 v3, v8
	global_store_dwordx2 v[4:5], v[7:8], off
	s_waitcnt_vscnt null, 0x0
	global_atomic_cmpswap_x2 v[2:3], v6, v[0:3], s[40:41] offset:24 glc
	s_waitcnt vmcnt(0)
	v_cmp_ne_u64_e32 vcc_lo, v[2:3], v[7:8]
	s_and_b32 exec_lo, exec_lo, vcc_lo
	s_cbranch_execz .LBB9_972
; %bb.970:
	s_mov_b32 s4, 0
.LBB9_971:                              ; =>This Inner Loop Header: Depth=1
	s_sleep 1
	global_store_dwordx2 v[4:5], v[2:3], off
	s_waitcnt_vscnt null, 0x0
	global_atomic_cmpswap_x2 v[7:8], v6, v[0:3], s[40:41] offset:24 glc
	s_waitcnt vmcnt(0)
	v_cmp_eq_u64_e32 vcc_lo, v[7:8], v[2:3]
	v_mov_b32_e32 v2, v7
	v_mov_b32_e32 v3, v8
	s_or_b32 s4, vcc_lo, s4
	s_andn2_b32 exec_lo, exec_lo, s4
	s_cbranch_execnz .LBB9_971
.LBB9_972:
	s_or_b32 exec_lo, exec_lo, s5
	v_readfirstlane_b32 s4, v69
	v_mov_b32_e32 v6, 0
	v_mov_b32_e32 v7, 0
	v_cmp_eq_u32_e64 s4, s4, v69
	s_and_saveexec_b32 s5, s4
	s_cbranch_execz .LBB9_978
; %bb.973:
	v_mov_b32_e32 v0, 0
	s_mov_b32 s6, exec_lo
	global_load_dwordx2 v[3:4], v0, s[40:41] offset:24 glc dlc
	s_waitcnt vmcnt(0)
	buffer_gl1_inv
	buffer_gl0_inv
	s_clause 0x1
	global_load_dwordx2 v[1:2], v0, s[40:41] offset:40
	global_load_dwordx2 v[5:6], v0, s[40:41]
	s_waitcnt vmcnt(1)
	v_and_b32_e32 v2, v2, v4
	v_and_b32_e32 v1, v1, v3
	v_mul_lo_u32 v2, v2, 24
	v_mul_hi_u32 v7, v1, 24
	v_mul_lo_u32 v1, v1, 24
	v_add_nc_u32_e32 v2, v7, v2
	s_waitcnt vmcnt(0)
	v_add_co_u32 v1, vcc_lo, v5, v1
	v_add_co_ci_u32_e32 v2, vcc_lo, v6, v2, vcc_lo
	global_load_dwordx2 v[1:2], v[1:2], off glc dlc
	s_waitcnt vmcnt(0)
	global_atomic_cmpswap_x2 v[6:7], v0, v[1:4], s[40:41] offset:24 glc
	s_waitcnt vmcnt(0)
	buffer_gl1_inv
	buffer_gl0_inv
	v_cmpx_ne_u64_e64 v[6:7], v[3:4]
	s_cbranch_execz .LBB9_977
; %bb.974:
	s_mov_b32 s7, 0
	.p2align	6
.LBB9_975:                              ; =>This Inner Loop Header: Depth=1
	s_sleep 1
	s_clause 0x1
	global_load_dwordx2 v[1:2], v0, s[40:41] offset:40
	global_load_dwordx2 v[8:9], v0, s[40:41]
	v_mov_b32_e32 v3, v6
	v_mov_b32_e32 v4, v7
	s_waitcnt vmcnt(1)
	v_and_b32_e32 v1, v1, v3
	v_and_b32_e32 v2, v2, v4
	s_waitcnt vmcnt(0)
	v_mad_u64_u32 v[5:6], null, v1, 24, v[8:9]
	v_mov_b32_e32 v1, v6
	v_mad_u64_u32 v[1:2], null, v2, 24, v[1:2]
	v_mov_b32_e32 v6, v1
	global_load_dwordx2 v[1:2], v[5:6], off glc dlc
	s_waitcnt vmcnt(0)
	global_atomic_cmpswap_x2 v[6:7], v0, v[1:4], s[40:41] offset:24 glc
	s_waitcnt vmcnt(0)
	buffer_gl1_inv
	buffer_gl0_inv
	v_cmp_eq_u64_e32 vcc_lo, v[6:7], v[3:4]
	s_or_b32 s7, vcc_lo, s7
	s_andn2_b32 exec_lo, exec_lo, s7
	s_cbranch_execnz .LBB9_975
; %bb.976:
	s_or_b32 exec_lo, exec_lo, s7
.LBB9_977:
	s_or_b32 exec_lo, exec_lo, s6
.LBB9_978:
	s_or_b32 exec_lo, exec_lo, s5
	v_mov_b32_e32 v5, 0
	v_readfirstlane_b32 s6, v6
	v_readfirstlane_b32 s7, v7
	s_mov_b32 s5, exec_lo
	s_clause 0x1
	global_load_dwordx2 v[8:9], v5, s[40:41] offset:40
	global_load_dwordx4 v[0:3], v5, s[40:41]
	s_waitcnt vmcnt(1)
	v_readfirstlane_b32 s10, v8
	v_readfirstlane_b32 s11, v9
	s_and_b64 s[10:11], s[6:7], s[10:11]
	s_mul_i32 s16, s11, 24
	s_mul_hi_u32 s17, s10, 24
	s_mul_i32 s18, s10, 24
	s_add_i32 s17, s17, s16
	s_waitcnt vmcnt(0)
	v_add_co_u32 v8, vcc_lo, v0, s18
	v_add_co_ci_u32_e32 v9, vcc_lo, s17, v1, vcc_lo
	s_and_saveexec_b32 s16, s4
	s_cbranch_execz .LBB9_980
; %bb.979:
	v_mov_b32_e32 v4, s5
	v_mov_b32_e32 v6, 2
	;; [unrolled: 1-line block ×3, first 2 shown]
	global_store_dwordx4 v[8:9], v[4:7], off offset:8
.LBB9_980:
	s_or_b32 exec_lo, exec_lo, s16
	s_lshl_b64 s[10:11], s[10:11], 12
	s_mov_b32 s16, 0
	v_add_co_u32 v2, vcc_lo, v2, s10
	v_add_co_ci_u32_e32 v3, vcc_lo, s11, v3, vcc_lo
	s_mov_b32 s17, s16
	v_add_co_u32 v10, vcc_lo, v2, v68
	s_mov_b32 s18, s16
	s_mov_b32 s19, s16
	v_mov_b32_e32 v4, 33
	v_mov_b32_e32 v6, v5
	;; [unrolled: 1-line block ×3, first 2 shown]
	v_readfirstlane_b32 s10, v2
	v_readfirstlane_b32 s11, v3
	v_mov_b32_e32 v12, s16
	v_add_co_ci_u32_e32 v11, vcc_lo, 0, v3, vcc_lo
	v_mov_b32_e32 v13, s17
	v_mov_b32_e32 v14, s18
	;; [unrolled: 1-line block ×3, first 2 shown]
	global_store_dwordx4 v68, v[4:7], s[10:11]
	global_store_dwordx4 v68, v[12:15], s[10:11] offset:16
	global_store_dwordx4 v68, v[12:15], s[10:11] offset:32
	;; [unrolled: 1-line block ×3, first 2 shown]
	s_and_saveexec_b32 s5, s4
	s_cbranch_execz .LBB9_988
; %bb.981:
	v_mov_b32_e32 v6, 0
	v_mov_b32_e32 v12, s6
	;; [unrolled: 1-line block ×3, first 2 shown]
	s_clause 0x1
	global_load_dwordx2 v[14:15], v6, s[40:41] offset:32 glc dlc
	global_load_dwordx2 v[2:3], v6, s[40:41] offset:40
	s_waitcnt vmcnt(0)
	v_readfirstlane_b32 s10, v2
	v_readfirstlane_b32 s11, v3
	s_and_b64 s[10:11], s[10:11], s[6:7]
	s_mul_i32 s11, s11, 24
	s_mul_hi_u32 s16, s10, 24
	s_mul_i32 s10, s10, 24
	s_add_i32 s16, s16, s11
	v_add_co_u32 v4, vcc_lo, v0, s10
	v_add_co_ci_u32_e32 v5, vcc_lo, s16, v1, vcc_lo
	s_mov_b32 s10, exec_lo
	global_store_dwordx2 v[4:5], v[14:15], off
	s_waitcnt_vscnt null, 0x0
	global_atomic_cmpswap_x2 v[2:3], v6, v[12:15], s[40:41] offset:32 glc
	s_waitcnt vmcnt(0)
	v_cmpx_ne_u64_e64 v[2:3], v[14:15]
	s_cbranch_execz .LBB9_984
; %bb.982:
	s_mov_b32 s11, 0
.LBB9_983:                              ; =>This Inner Loop Header: Depth=1
	v_mov_b32_e32 v0, s6
	v_mov_b32_e32 v1, s7
	s_sleep 1
	global_store_dwordx2 v[4:5], v[2:3], off
	s_waitcnt_vscnt null, 0x0
	global_atomic_cmpswap_x2 v[0:1], v6, v[0:3], s[40:41] offset:32 glc
	s_waitcnt vmcnt(0)
	v_cmp_eq_u64_e32 vcc_lo, v[0:1], v[2:3]
	v_mov_b32_e32 v3, v1
	v_mov_b32_e32 v2, v0
	s_or_b32 s11, vcc_lo, s11
	s_andn2_b32 exec_lo, exec_lo, s11
	s_cbranch_execnz .LBB9_983
.LBB9_984:
	s_or_b32 exec_lo, exec_lo, s10
	v_mov_b32_e32 v3, 0
	s_mov_b32 s11, exec_lo
	s_mov_b32 s10, exec_lo
	v_mbcnt_lo_u32_b32 v2, s11, 0
	global_load_dwordx2 v[0:1], v3, s[40:41] offset:16
	v_cmpx_eq_u32_e32 0, v2
	s_cbranch_execz .LBB9_986
; %bb.985:
	s_bcnt1_i32_b32 s11, s11
	v_mov_b32_e32 v2, s11
	s_waitcnt vmcnt(0)
	global_atomic_add_x2 v[0:1], v[2:3], off offset:8
.LBB9_986:
	s_or_b32 exec_lo, exec_lo, s10
	s_waitcnt vmcnt(0)
	global_load_dwordx2 v[2:3], v[0:1], off offset:16
	s_waitcnt vmcnt(0)
	v_cmp_eq_u64_e32 vcc_lo, 0, v[2:3]
	s_cbranch_vccnz .LBB9_988
; %bb.987:
	global_load_dword v0, v[0:1], off offset:24
	v_mov_b32_e32 v1, 0
	s_waitcnt vmcnt(0)
	v_and_b32_e32 v4, 0x7fffff, v0
	s_waitcnt_vscnt null, 0x0
	global_store_dwordx2 v[2:3], v[0:1], off
	v_readfirstlane_b32 m0, v4
	s_sendmsg sendmsg(MSG_INTERRUPT)
.LBB9_988:
	s_or_b32 exec_lo, exec_lo, s5
	s_branch .LBB9_992
	.p2align	6
.LBB9_989:                              ;   in Loop: Header=BB9_992 Depth=1
	s_or_b32 exec_lo, exec_lo, s5
	v_readfirstlane_b32 s5, v0
	s_cmp_eq_u32 s5, 0
	s_cbranch_scc1 .LBB9_991
; %bb.990:                              ;   in Loop: Header=BB9_992 Depth=1
	s_sleep 1
	s_cbranch_execnz .LBB9_992
	s_branch .LBB9_994
	.p2align	6
.LBB9_991:
	s_branch .LBB9_994
.LBB9_992:                              ; =>This Inner Loop Header: Depth=1
	v_mov_b32_e32 v0, 1
	s_and_saveexec_b32 s5, s4
	s_cbranch_execz .LBB9_989
; %bb.993:                              ;   in Loop: Header=BB9_992 Depth=1
	global_load_dword v0, v[8:9], off offset:20 glc dlc
	s_waitcnt vmcnt(0)
	buffer_gl1_inv
	buffer_gl0_inv
	v_and_b32_e32 v0, 1, v0
	s_branch .LBB9_989
.LBB9_994:
	global_load_dwordx2 v[0:1], v[10:11], off
	s_and_saveexec_b32 s5, s4
	s_cbranch_execz .LBB9_998
; %bb.995:
	v_mov_b32_e32 v8, 0
	s_clause 0x2
	global_load_dwordx2 v[4:5], v8, s[40:41] offset:40
	global_load_dwordx2 v[9:10], v8, s[40:41] offset:24 glc dlc
	global_load_dwordx2 v[6:7], v8, s[40:41]
	s_waitcnt vmcnt(2)
	v_add_co_u32 v11, vcc_lo, v4, 1
	v_add_co_ci_u32_e32 v12, vcc_lo, 0, v5, vcc_lo
	v_add_co_u32 v2, vcc_lo, v11, s6
	v_add_co_ci_u32_e32 v3, vcc_lo, s7, v12, vcc_lo
	v_cmp_eq_u64_e32 vcc_lo, 0, v[2:3]
	v_cndmask_b32_e32 v3, v3, v12, vcc_lo
	v_cndmask_b32_e32 v2, v2, v11, vcc_lo
	v_and_b32_e32 v5, v3, v5
	v_and_b32_e32 v4, v2, v4
	v_mul_lo_u32 v5, v5, 24
	v_mul_hi_u32 v11, v4, 24
	v_mul_lo_u32 v4, v4, 24
	v_add_nc_u32_e32 v5, v11, v5
	s_waitcnt vmcnt(0)
	v_add_co_u32 v6, vcc_lo, v6, v4
	v_mov_b32_e32 v4, v9
	v_add_co_ci_u32_e32 v7, vcc_lo, v7, v5, vcc_lo
	v_mov_b32_e32 v5, v10
	global_store_dwordx2 v[6:7], v[9:10], off
	s_waitcnt_vscnt null, 0x0
	global_atomic_cmpswap_x2 v[4:5], v8, v[2:5], s[40:41] offset:24 glc
	s_waitcnt vmcnt(0)
	v_cmp_ne_u64_e32 vcc_lo, v[4:5], v[9:10]
	s_and_b32 exec_lo, exec_lo, vcc_lo
	s_cbranch_execz .LBB9_998
; %bb.996:
	s_mov_b32 s4, 0
.LBB9_997:                              ; =>This Inner Loop Header: Depth=1
	s_sleep 1
	global_store_dwordx2 v[6:7], v[4:5], off
	s_waitcnt_vscnt null, 0x0
	global_atomic_cmpswap_x2 v[9:10], v8, v[2:5], s[40:41] offset:24 glc
	s_waitcnt vmcnt(0)
	v_cmp_eq_u64_e32 vcc_lo, v[9:10], v[4:5]
	v_mov_b32_e32 v4, v9
	v_mov_b32_e32 v5, v10
	s_or_b32 s4, vcc_lo, s4
	s_andn2_b32 exec_lo, exec_lo, s4
	s_cbranch_execnz .LBB9_997
.LBB9_998:
	s_or_b32 exec_lo, exec_lo, s5
	s_and_b32 vcc_lo, exec_lo, s43
	s_cbranch_vccz .LBB9_1077
; %bb.999:
	s_waitcnt vmcnt(0)
	v_and_b32_e32 v31, 2, v0
	v_mov_b32_e32 v6, 0
	v_and_b32_e32 v2, -3, v0
	v_mov_b32_e32 v3, v1
	v_mov_b32_e32 v7, 2
	;; [unrolled: 1-line block ×3, first 2 shown]
	s_mov_b64 s[10:11], 3
	s_getpc_b64 s[6:7]
	s_add_u32 s6, s6, .str.6@rel32@lo+4
	s_addc_u32 s7, s7, .str.6@rel32@hi+12
	s_branch .LBB9_1001
.LBB9_1000:                             ;   in Loop: Header=BB9_1001 Depth=1
	s_or_b32 exec_lo, exec_lo, s5
	s_sub_u32 s10, s10, s16
	s_subb_u32 s11, s11, s17
	s_add_u32 s6, s6, s16
	s_addc_u32 s7, s7, s17
	s_cmp_lg_u64 s[10:11], 0
	s_cbranch_scc0 .LBB9_1076
.LBB9_1001:                             ; =>This Loop Header: Depth=1
                                        ;     Child Loop BB9_1010 Depth 2
                                        ;     Child Loop BB9_1006 Depth 2
	;; [unrolled: 1-line block ×11, first 2 shown]
	v_cmp_lt_u64_e64 s4, s[10:11], 56
	v_cmp_gt_u64_e64 s5, s[10:11], 7
                                        ; implicit-def: $vgpr11_vgpr12
                                        ; implicit-def: $sgpr22
	s_and_b32 s4, s4, exec_lo
	s_cselect_b32 s17, s11, 0
	s_cselect_b32 s16, s10, 56
	s_and_b32 vcc_lo, exec_lo, s5
	s_mov_b32 s4, -1
	s_cbranch_vccz .LBB9_1008
; %bb.1002:                             ;   in Loop: Header=BB9_1001 Depth=1
	s_andn2_b32 vcc_lo, exec_lo, s4
	s_mov_b64 s[4:5], s[6:7]
	s_cbranch_vccz .LBB9_1012
.LBB9_1003:                             ;   in Loop: Header=BB9_1001 Depth=1
	s_cmp_gt_u32 s22, 7
	s_cbranch_scc1 .LBB9_1013
.LBB9_1004:                             ;   in Loop: Header=BB9_1001 Depth=1
	v_mov_b32_e32 v13, 0
	v_mov_b32_e32 v14, 0
	s_cmp_eq_u32 s22, 0
	s_cbranch_scc1 .LBB9_1007
; %bb.1005:                             ;   in Loop: Header=BB9_1001 Depth=1
	s_mov_b64 s[18:19], 0
	s_mov_b64 s[20:21], 0
.LBB9_1006:                             ;   Parent Loop BB9_1001 Depth=1
                                        ; =>  This Inner Loop Header: Depth=2
	s_add_u32 s24, s4, s20
	s_addc_u32 s25, s5, s21
	s_add_u32 s20, s20, 1
	global_load_ubyte v4, v6, s[24:25]
	s_addc_u32 s21, s21, 0
	s_waitcnt vmcnt(0)
	v_and_b32_e32 v5, 0xffff, v4
	v_lshlrev_b64 v[4:5], s18, v[5:6]
	s_add_u32 s18, s18, 8
	s_addc_u32 s19, s19, 0
	s_cmp_lg_u32 s22, s20
	v_or_b32_e32 v13, v4, v13
	v_or_b32_e32 v14, v5, v14
	s_cbranch_scc1 .LBB9_1006
.LBB9_1007:                             ;   in Loop: Header=BB9_1001 Depth=1
	s_mov_b32 s23, 0
	s_cbranch_execz .LBB9_1014
	s_branch .LBB9_1015
.LBB9_1008:                             ;   in Loop: Header=BB9_1001 Depth=1
	v_mov_b32_e32 v11, 0
	v_mov_b32_e32 v12, 0
	s_cmp_eq_u64 s[10:11], 0
	s_mov_b64 s[4:5], 0
	s_cbranch_scc1 .LBB9_1011
; %bb.1009:                             ;   in Loop: Header=BB9_1001 Depth=1
	v_mov_b32_e32 v11, 0
	v_mov_b32_e32 v12, 0
	s_lshl_b64 s[18:19], s[16:17], 3
	s_mov_b64 s[20:21], s[6:7]
.LBB9_1010:                             ;   Parent Loop BB9_1001 Depth=1
                                        ; =>  This Inner Loop Header: Depth=2
	global_load_ubyte v4, v6, s[20:21]
	s_waitcnt vmcnt(0)
	v_and_b32_e32 v5, 0xffff, v4
	v_lshlrev_b64 v[4:5], s4, v[5:6]
	s_add_u32 s4, s4, 8
	s_addc_u32 s5, s5, 0
	s_add_u32 s20, s20, 1
	s_addc_u32 s21, s21, 0
	s_cmp_lg_u32 s18, s4
	v_or_b32_e32 v11, v4, v11
	v_or_b32_e32 v12, v5, v12
	s_cbranch_scc1 .LBB9_1010
.LBB9_1011:                             ;   in Loop: Header=BB9_1001 Depth=1
	s_mov_b32 s22, 0
	s_mov_b64 s[4:5], s[6:7]
	s_cbranch_execnz .LBB9_1003
.LBB9_1012:                             ;   in Loop: Header=BB9_1001 Depth=1
	global_load_dwordx2 v[11:12], v6, s[6:7]
	s_add_i32 s22, s16, -8
	s_add_u32 s4, s6, 8
	s_addc_u32 s5, s7, 0
	s_cmp_gt_u32 s22, 7
	s_cbranch_scc0 .LBB9_1004
.LBB9_1013:                             ;   in Loop: Header=BB9_1001 Depth=1
                                        ; implicit-def: $vgpr13_vgpr14
                                        ; implicit-def: $sgpr23
.LBB9_1014:                             ;   in Loop: Header=BB9_1001 Depth=1
	global_load_dwordx2 v[13:14], v6, s[4:5]
	s_add_i32 s23, s22, -8
	s_add_u32 s4, s4, 8
	s_addc_u32 s5, s5, 0
.LBB9_1015:                             ;   in Loop: Header=BB9_1001 Depth=1
	s_cmp_gt_u32 s23, 7
	s_cbranch_scc1 .LBB9_1020
; %bb.1016:                             ;   in Loop: Header=BB9_1001 Depth=1
	v_mov_b32_e32 v15, 0
	v_mov_b32_e32 v16, 0
	s_cmp_eq_u32 s23, 0
	s_cbranch_scc1 .LBB9_1019
; %bb.1017:                             ;   in Loop: Header=BB9_1001 Depth=1
	s_mov_b64 s[18:19], 0
	s_mov_b64 s[20:21], 0
.LBB9_1018:                             ;   Parent Loop BB9_1001 Depth=1
                                        ; =>  This Inner Loop Header: Depth=2
	s_add_u32 s24, s4, s20
	s_addc_u32 s25, s5, s21
	s_add_u32 s20, s20, 1
	global_load_ubyte v4, v6, s[24:25]
	s_addc_u32 s21, s21, 0
	s_waitcnt vmcnt(0)
	v_and_b32_e32 v5, 0xffff, v4
	v_lshlrev_b64 v[4:5], s18, v[5:6]
	s_add_u32 s18, s18, 8
	s_addc_u32 s19, s19, 0
	s_cmp_lg_u32 s23, s20
	v_or_b32_e32 v15, v4, v15
	v_or_b32_e32 v16, v5, v16
	s_cbranch_scc1 .LBB9_1018
.LBB9_1019:                             ;   in Loop: Header=BB9_1001 Depth=1
	s_mov_b32 s22, 0
	s_cbranch_execz .LBB9_1021
	s_branch .LBB9_1022
.LBB9_1020:                             ;   in Loop: Header=BB9_1001 Depth=1
                                        ; implicit-def: $sgpr22
.LBB9_1021:                             ;   in Loop: Header=BB9_1001 Depth=1
	global_load_dwordx2 v[15:16], v6, s[4:5]
	s_add_i32 s22, s23, -8
	s_add_u32 s4, s4, 8
	s_addc_u32 s5, s5, 0
.LBB9_1022:                             ;   in Loop: Header=BB9_1001 Depth=1
	s_cmp_gt_u32 s22, 7
	s_cbranch_scc1 .LBB9_1027
; %bb.1023:                             ;   in Loop: Header=BB9_1001 Depth=1
	v_mov_b32_e32 v17, 0
	v_mov_b32_e32 v18, 0
	s_cmp_eq_u32 s22, 0
	s_cbranch_scc1 .LBB9_1026
; %bb.1024:                             ;   in Loop: Header=BB9_1001 Depth=1
	s_mov_b64 s[18:19], 0
	s_mov_b64 s[20:21], 0
.LBB9_1025:                             ;   Parent Loop BB9_1001 Depth=1
                                        ; =>  This Inner Loop Header: Depth=2
	s_add_u32 s24, s4, s20
	s_addc_u32 s25, s5, s21
	s_add_u32 s20, s20, 1
	global_load_ubyte v4, v6, s[24:25]
	s_addc_u32 s21, s21, 0
	s_waitcnt vmcnt(0)
	v_and_b32_e32 v5, 0xffff, v4
	v_lshlrev_b64 v[4:5], s18, v[5:6]
	s_add_u32 s18, s18, 8
	s_addc_u32 s19, s19, 0
	s_cmp_lg_u32 s22, s20
	v_or_b32_e32 v17, v4, v17
	v_or_b32_e32 v18, v5, v18
	s_cbranch_scc1 .LBB9_1025
.LBB9_1026:                             ;   in Loop: Header=BB9_1001 Depth=1
	s_mov_b32 s23, 0
	s_cbranch_execz .LBB9_1028
	s_branch .LBB9_1029
.LBB9_1027:                             ;   in Loop: Header=BB9_1001 Depth=1
                                        ; implicit-def: $vgpr17_vgpr18
                                        ; implicit-def: $sgpr23
.LBB9_1028:                             ;   in Loop: Header=BB9_1001 Depth=1
	global_load_dwordx2 v[17:18], v6, s[4:5]
	s_add_i32 s23, s22, -8
	s_add_u32 s4, s4, 8
	s_addc_u32 s5, s5, 0
.LBB9_1029:                             ;   in Loop: Header=BB9_1001 Depth=1
	s_cmp_gt_u32 s23, 7
	s_cbranch_scc1 .LBB9_1034
; %bb.1030:                             ;   in Loop: Header=BB9_1001 Depth=1
	v_mov_b32_e32 v19, 0
	v_mov_b32_e32 v20, 0
	s_cmp_eq_u32 s23, 0
	s_cbranch_scc1 .LBB9_1033
; %bb.1031:                             ;   in Loop: Header=BB9_1001 Depth=1
	s_mov_b64 s[18:19], 0
	s_mov_b64 s[20:21], 0
.LBB9_1032:                             ;   Parent Loop BB9_1001 Depth=1
                                        ; =>  This Inner Loop Header: Depth=2
	s_add_u32 s24, s4, s20
	s_addc_u32 s25, s5, s21
	s_add_u32 s20, s20, 1
	global_load_ubyte v4, v6, s[24:25]
	s_addc_u32 s21, s21, 0
	s_waitcnt vmcnt(0)
	v_and_b32_e32 v5, 0xffff, v4
	v_lshlrev_b64 v[4:5], s18, v[5:6]
	s_add_u32 s18, s18, 8
	s_addc_u32 s19, s19, 0
	s_cmp_lg_u32 s23, s20
	v_or_b32_e32 v19, v4, v19
	v_or_b32_e32 v20, v5, v20
	s_cbranch_scc1 .LBB9_1032
.LBB9_1033:                             ;   in Loop: Header=BB9_1001 Depth=1
	s_mov_b32 s22, 0
	s_cbranch_execz .LBB9_1035
	s_branch .LBB9_1036
.LBB9_1034:                             ;   in Loop: Header=BB9_1001 Depth=1
                                        ; implicit-def: $sgpr22
.LBB9_1035:                             ;   in Loop: Header=BB9_1001 Depth=1
	global_load_dwordx2 v[19:20], v6, s[4:5]
	s_add_i32 s22, s23, -8
	s_add_u32 s4, s4, 8
	s_addc_u32 s5, s5, 0
.LBB9_1036:                             ;   in Loop: Header=BB9_1001 Depth=1
	s_cmp_gt_u32 s22, 7
	s_cbranch_scc1 .LBB9_1041
; %bb.1037:                             ;   in Loop: Header=BB9_1001 Depth=1
	v_mov_b32_e32 v21, 0
	v_mov_b32_e32 v22, 0
	s_cmp_eq_u32 s22, 0
	s_cbranch_scc1 .LBB9_1040
; %bb.1038:                             ;   in Loop: Header=BB9_1001 Depth=1
	s_mov_b64 s[18:19], 0
	s_mov_b64 s[20:21], 0
.LBB9_1039:                             ;   Parent Loop BB9_1001 Depth=1
                                        ; =>  This Inner Loop Header: Depth=2
	s_add_u32 s24, s4, s20
	s_addc_u32 s25, s5, s21
	s_add_u32 s20, s20, 1
	global_load_ubyte v4, v6, s[24:25]
	s_addc_u32 s21, s21, 0
	s_waitcnt vmcnt(0)
	v_and_b32_e32 v5, 0xffff, v4
	v_lshlrev_b64 v[4:5], s18, v[5:6]
	s_add_u32 s18, s18, 8
	s_addc_u32 s19, s19, 0
	s_cmp_lg_u32 s22, s20
	v_or_b32_e32 v21, v4, v21
	v_or_b32_e32 v22, v5, v22
	s_cbranch_scc1 .LBB9_1039
.LBB9_1040:                             ;   in Loop: Header=BB9_1001 Depth=1
	s_mov_b32 s23, 0
	s_cbranch_execz .LBB9_1042
	s_branch .LBB9_1043
.LBB9_1041:                             ;   in Loop: Header=BB9_1001 Depth=1
                                        ; implicit-def: $vgpr21_vgpr22
                                        ; implicit-def: $sgpr23
.LBB9_1042:                             ;   in Loop: Header=BB9_1001 Depth=1
	global_load_dwordx2 v[21:22], v6, s[4:5]
	s_add_i32 s23, s22, -8
	s_add_u32 s4, s4, 8
	s_addc_u32 s5, s5, 0
.LBB9_1043:                             ;   in Loop: Header=BB9_1001 Depth=1
	s_cmp_gt_u32 s23, 7
	s_cbranch_scc1 .LBB9_1048
; %bb.1044:                             ;   in Loop: Header=BB9_1001 Depth=1
	v_mov_b32_e32 v23, 0
	v_mov_b32_e32 v24, 0
	s_cmp_eq_u32 s23, 0
	s_cbranch_scc1 .LBB9_1047
; %bb.1045:                             ;   in Loop: Header=BB9_1001 Depth=1
	s_mov_b64 s[18:19], 0
	s_mov_b64 s[20:21], s[4:5]
.LBB9_1046:                             ;   Parent Loop BB9_1001 Depth=1
                                        ; =>  This Inner Loop Header: Depth=2
	global_load_ubyte v4, v6, s[20:21]
	s_add_i32 s23, s23, -1
	s_waitcnt vmcnt(0)
	v_and_b32_e32 v5, 0xffff, v4
	v_lshlrev_b64 v[4:5], s18, v[5:6]
	s_add_u32 s18, s18, 8
	s_addc_u32 s19, s19, 0
	s_add_u32 s20, s20, 1
	s_addc_u32 s21, s21, 0
	s_cmp_lg_u32 s23, 0
	v_or_b32_e32 v23, v4, v23
	v_or_b32_e32 v24, v5, v24
	s_cbranch_scc1 .LBB9_1046
.LBB9_1047:                             ;   in Loop: Header=BB9_1001 Depth=1
	s_cbranch_execz .LBB9_1049
	s_branch .LBB9_1050
.LBB9_1048:                             ;   in Loop: Header=BB9_1001 Depth=1
.LBB9_1049:                             ;   in Loop: Header=BB9_1001 Depth=1
	global_load_dwordx2 v[23:24], v6, s[4:5]
.LBB9_1050:                             ;   in Loop: Header=BB9_1001 Depth=1
	v_readfirstlane_b32 s4, v69
	s_waitcnt vmcnt(0)
	v_mov_b32_e32 v4, 0
	v_mov_b32_e32 v5, 0
	v_cmp_eq_u32_e64 s4, s4, v69
	s_and_saveexec_b32 s5, s4
	s_cbranch_execz .LBB9_1056
; %bb.1051:                             ;   in Loop: Header=BB9_1001 Depth=1
	global_load_dwordx2 v[27:28], v6, s[40:41] offset:24 glc dlc
	s_waitcnt vmcnt(0)
	buffer_gl1_inv
	buffer_gl0_inv
	s_clause 0x1
	global_load_dwordx2 v[4:5], v6, s[40:41] offset:40
	global_load_dwordx2 v[9:10], v6, s[40:41]
	s_mov_b32 s18, exec_lo
	s_waitcnt vmcnt(1)
	v_and_b32_e32 v5, v5, v28
	v_and_b32_e32 v4, v4, v27
	v_mul_lo_u32 v5, v5, 24
	v_mul_hi_u32 v25, v4, 24
	v_mul_lo_u32 v4, v4, 24
	v_add_nc_u32_e32 v5, v25, v5
	s_waitcnt vmcnt(0)
	v_add_co_u32 v4, vcc_lo, v9, v4
	v_add_co_ci_u32_e32 v5, vcc_lo, v10, v5, vcc_lo
	global_load_dwordx2 v[25:26], v[4:5], off glc dlc
	s_waitcnt vmcnt(0)
	global_atomic_cmpswap_x2 v[4:5], v6, v[25:28], s[40:41] offset:24 glc
	s_waitcnt vmcnt(0)
	buffer_gl1_inv
	buffer_gl0_inv
	v_cmpx_ne_u64_e64 v[4:5], v[27:28]
	s_cbranch_execz .LBB9_1055
; %bb.1052:                             ;   in Loop: Header=BB9_1001 Depth=1
	s_mov_b32 s19, 0
	.p2align	6
.LBB9_1053:                             ;   Parent Loop BB9_1001 Depth=1
                                        ; =>  This Inner Loop Header: Depth=2
	s_sleep 1
	s_clause 0x1
	global_load_dwordx2 v[9:10], v6, s[40:41] offset:40
	global_load_dwordx2 v[25:26], v6, s[40:41]
	v_mov_b32_e32 v28, v5
	v_mov_b32_e32 v27, v4
	s_waitcnt vmcnt(1)
	v_and_b32_e32 v4, v9, v27
	v_and_b32_e32 v9, v10, v28
	s_waitcnt vmcnt(0)
	v_mad_u64_u32 v[4:5], null, v4, 24, v[25:26]
	v_mad_u64_u32 v[9:10], null, v9, 24, v[5:6]
	v_mov_b32_e32 v5, v9
	global_load_dwordx2 v[25:26], v[4:5], off glc dlc
	s_waitcnt vmcnt(0)
	global_atomic_cmpswap_x2 v[4:5], v6, v[25:28], s[40:41] offset:24 glc
	s_waitcnt vmcnt(0)
	buffer_gl1_inv
	buffer_gl0_inv
	v_cmp_eq_u64_e32 vcc_lo, v[4:5], v[27:28]
	s_or_b32 s19, vcc_lo, s19
	s_andn2_b32 exec_lo, exec_lo, s19
	s_cbranch_execnz .LBB9_1053
; %bb.1054:                             ;   in Loop: Header=BB9_1001 Depth=1
	s_or_b32 exec_lo, exec_lo, s19
.LBB9_1055:                             ;   in Loop: Header=BB9_1001 Depth=1
	s_or_b32 exec_lo, exec_lo, s18
.LBB9_1056:                             ;   in Loop: Header=BB9_1001 Depth=1
	s_or_b32 exec_lo, exec_lo, s5
	s_clause 0x1
	global_load_dwordx2 v[9:10], v6, s[40:41] offset:40
	global_load_dwordx4 v[25:28], v6, s[40:41]
	v_readfirstlane_b32 s18, v4
	v_readfirstlane_b32 s19, v5
	s_mov_b32 s5, exec_lo
	s_waitcnt vmcnt(1)
	v_readfirstlane_b32 s20, v9
	v_readfirstlane_b32 s21, v10
	s_and_b64 s[20:21], s[18:19], s[20:21]
	s_mul_i32 s22, s21, 24
	s_mul_hi_u32 s23, s20, 24
	s_mul_i32 s24, s20, 24
	s_add_i32 s23, s23, s22
	s_waitcnt vmcnt(0)
	v_add_co_u32 v29, vcc_lo, v25, s24
	v_add_co_ci_u32_e32 v30, vcc_lo, s23, v26, vcc_lo
	s_and_saveexec_b32 s22, s4
	s_cbranch_execz .LBB9_1058
; %bb.1057:                             ;   in Loop: Header=BB9_1001 Depth=1
	v_mov_b32_e32 v5, s5
	global_store_dwordx4 v[29:30], v[5:8], off offset:8
.LBB9_1058:                             ;   in Loop: Header=BB9_1001 Depth=1
	s_or_b32 exec_lo, exec_lo, s22
	s_lshl_b64 s[20:21], s[20:21], 12
	v_cmp_gt_u64_e64 vcc_lo, s[10:11], 56
	v_or_b32_e32 v5, v2, v31
	v_add_co_u32 v27, s5, v27, s20
	v_add_co_ci_u32_e64 v28, s5, s21, v28, s5
	s_lshl_b32 s5, s16, 2
	v_or_b32_e32 v4, 0, v3
	v_cndmask_b32_e32 v2, v5, v2, vcc_lo
	s_add_i32 s5, s5, 28
	v_readfirstlane_b32 s20, v27
	s_and_b32 s5, s5, 0x1e0
	v_cndmask_b32_e32 v10, v4, v3, vcc_lo
	v_readfirstlane_b32 s21, v28
	v_and_or_b32 v9, 0xffffff1f, v2, s5
	global_store_dwordx4 v68, v[9:12], s[20:21]
	global_store_dwordx4 v68, v[13:16], s[20:21] offset:16
	global_store_dwordx4 v68, v[17:20], s[20:21] offset:32
	;; [unrolled: 1-line block ×3, first 2 shown]
	s_and_saveexec_b32 s5, s4
	s_cbranch_execz .LBB9_1066
; %bb.1059:                             ;   in Loop: Header=BB9_1001 Depth=1
	s_clause 0x1
	global_load_dwordx2 v[13:14], v6, s[40:41] offset:32 glc dlc
	global_load_dwordx2 v[2:3], v6, s[40:41] offset:40
	v_mov_b32_e32 v11, s18
	v_mov_b32_e32 v12, s19
	s_waitcnt vmcnt(0)
	v_readfirstlane_b32 s20, v2
	v_readfirstlane_b32 s21, v3
	s_and_b64 s[20:21], s[20:21], s[18:19]
	s_mul_i32 s21, s21, 24
	s_mul_hi_u32 s22, s20, 24
	s_mul_i32 s20, s20, 24
	s_add_i32 s22, s22, s21
	v_add_co_u32 v9, vcc_lo, v25, s20
	v_add_co_ci_u32_e32 v10, vcc_lo, s22, v26, vcc_lo
	s_mov_b32 s20, exec_lo
	global_store_dwordx2 v[9:10], v[13:14], off
	s_waitcnt_vscnt null, 0x0
	global_atomic_cmpswap_x2 v[4:5], v6, v[11:14], s[40:41] offset:32 glc
	s_waitcnt vmcnt(0)
	v_cmpx_ne_u64_e64 v[4:5], v[13:14]
	s_cbranch_execz .LBB9_1062
; %bb.1060:                             ;   in Loop: Header=BB9_1001 Depth=1
	s_mov_b32 s21, 0
.LBB9_1061:                             ;   Parent Loop BB9_1001 Depth=1
                                        ; =>  This Inner Loop Header: Depth=2
	v_mov_b32_e32 v2, s18
	v_mov_b32_e32 v3, s19
	s_sleep 1
	global_store_dwordx2 v[9:10], v[4:5], off
	s_waitcnt_vscnt null, 0x0
	global_atomic_cmpswap_x2 v[2:3], v6, v[2:5], s[40:41] offset:32 glc
	s_waitcnt vmcnt(0)
	v_cmp_eq_u64_e32 vcc_lo, v[2:3], v[4:5]
	v_mov_b32_e32 v5, v3
	v_mov_b32_e32 v4, v2
	s_or_b32 s21, vcc_lo, s21
	s_andn2_b32 exec_lo, exec_lo, s21
	s_cbranch_execnz .LBB9_1061
.LBB9_1062:                             ;   in Loop: Header=BB9_1001 Depth=1
	s_or_b32 exec_lo, exec_lo, s20
	global_load_dwordx2 v[2:3], v6, s[40:41] offset:16
	s_mov_b32 s21, exec_lo
	s_mov_b32 s20, exec_lo
	v_mbcnt_lo_u32_b32 v4, s21, 0
	v_cmpx_eq_u32_e32 0, v4
	s_cbranch_execz .LBB9_1064
; %bb.1063:                             ;   in Loop: Header=BB9_1001 Depth=1
	s_bcnt1_i32_b32 s21, s21
	v_mov_b32_e32 v5, s21
	s_waitcnt vmcnt(0)
	global_atomic_add_x2 v[2:3], v[5:6], off offset:8
.LBB9_1064:                             ;   in Loop: Header=BB9_1001 Depth=1
	s_or_b32 exec_lo, exec_lo, s20
	s_waitcnt vmcnt(0)
	global_load_dwordx2 v[9:10], v[2:3], off offset:16
	s_waitcnt vmcnt(0)
	v_cmp_eq_u64_e32 vcc_lo, 0, v[9:10]
	s_cbranch_vccnz .LBB9_1066
; %bb.1065:                             ;   in Loop: Header=BB9_1001 Depth=1
	global_load_dword v5, v[2:3], off offset:24
	s_waitcnt vmcnt(0)
	v_and_b32_e32 v2, 0x7fffff, v5
	s_waitcnt_vscnt null, 0x0
	global_store_dwordx2 v[9:10], v[5:6], off
	v_readfirstlane_b32 m0, v2
	s_sendmsg sendmsg(MSG_INTERRUPT)
.LBB9_1066:                             ;   in Loop: Header=BB9_1001 Depth=1
	s_or_b32 exec_lo, exec_lo, s5
	v_add_co_u32 v2, vcc_lo, v27, v68
	v_add_co_ci_u32_e32 v3, vcc_lo, 0, v28, vcc_lo
	s_branch .LBB9_1070
	.p2align	6
.LBB9_1067:                             ;   in Loop: Header=BB9_1070 Depth=2
	s_or_b32 exec_lo, exec_lo, s5
	v_readfirstlane_b32 s5, v4
	s_cmp_eq_u32 s5, 0
	s_cbranch_scc1 .LBB9_1069
; %bb.1068:                             ;   in Loop: Header=BB9_1070 Depth=2
	s_sleep 1
	s_cbranch_execnz .LBB9_1070
	s_branch .LBB9_1072
	.p2align	6
.LBB9_1069:                             ;   in Loop: Header=BB9_1001 Depth=1
	s_branch .LBB9_1072
.LBB9_1070:                             ;   Parent Loop BB9_1001 Depth=1
                                        ; =>  This Inner Loop Header: Depth=2
	v_mov_b32_e32 v4, 1
	s_and_saveexec_b32 s5, s4
	s_cbranch_execz .LBB9_1067
; %bb.1071:                             ;   in Loop: Header=BB9_1070 Depth=2
	global_load_dword v4, v[29:30], off offset:20 glc dlc
	s_waitcnt vmcnt(0)
	buffer_gl1_inv
	buffer_gl0_inv
	v_and_b32_e32 v4, 1, v4
	s_branch .LBB9_1067
.LBB9_1072:                             ;   in Loop: Header=BB9_1001 Depth=1
	global_load_dwordx4 v[2:5], v[2:3], off
	s_and_saveexec_b32 s5, s4
	s_cbranch_execz .LBB9_1000
; %bb.1073:                             ;   in Loop: Header=BB9_1001 Depth=1
	s_clause 0x2
	global_load_dwordx2 v[4:5], v6, s[40:41] offset:40
	global_load_dwordx2 v[13:14], v6, s[40:41] offset:24 glc dlc
	global_load_dwordx2 v[11:12], v6, s[40:41]
	s_waitcnt vmcnt(2)
	v_add_co_u32 v15, vcc_lo, v4, 1
	v_add_co_ci_u32_e32 v16, vcc_lo, 0, v5, vcc_lo
	v_add_co_u32 v9, vcc_lo, v15, s18
	v_add_co_ci_u32_e32 v10, vcc_lo, s19, v16, vcc_lo
	v_cmp_eq_u64_e32 vcc_lo, 0, v[9:10]
	v_cndmask_b32_e32 v10, v10, v16, vcc_lo
	v_cndmask_b32_e32 v9, v9, v15, vcc_lo
	v_and_b32_e32 v5, v10, v5
	v_and_b32_e32 v4, v9, v4
	v_mul_lo_u32 v5, v5, 24
	v_mul_hi_u32 v15, v4, 24
	v_mul_lo_u32 v4, v4, 24
	v_add_nc_u32_e32 v5, v15, v5
	s_waitcnt vmcnt(0)
	v_add_co_u32 v4, vcc_lo, v11, v4
	v_mov_b32_e32 v11, v13
	v_add_co_ci_u32_e32 v5, vcc_lo, v12, v5, vcc_lo
	v_mov_b32_e32 v12, v14
	global_store_dwordx2 v[4:5], v[13:14], off
	s_waitcnt_vscnt null, 0x0
	global_atomic_cmpswap_x2 v[11:12], v6, v[9:12], s[40:41] offset:24 glc
	s_waitcnt vmcnt(0)
	v_cmp_ne_u64_e32 vcc_lo, v[11:12], v[13:14]
	s_and_b32 exec_lo, exec_lo, vcc_lo
	s_cbranch_execz .LBB9_1000
; %bb.1074:                             ;   in Loop: Header=BB9_1001 Depth=1
	s_mov_b32 s4, 0
.LBB9_1075:                             ;   Parent Loop BB9_1001 Depth=1
                                        ; =>  This Inner Loop Header: Depth=2
	s_sleep 1
	global_store_dwordx2 v[4:5], v[11:12], off
	s_waitcnt_vscnt null, 0x0
	global_atomic_cmpswap_x2 v[13:14], v6, v[9:12], s[40:41] offset:24 glc
	s_waitcnt vmcnt(0)
	v_cmp_eq_u64_e32 vcc_lo, v[13:14], v[11:12]
	v_mov_b32_e32 v11, v13
	v_mov_b32_e32 v12, v14
	s_or_b32 s4, vcc_lo, s4
	s_andn2_b32 exec_lo, exec_lo, s4
	s_cbranch_execnz .LBB9_1075
	s_branch .LBB9_1000
.LBB9_1076:
	s_branch .LBB9_1105
.LBB9_1077:
                                        ; implicit-def: $vgpr2_vgpr3
	s_cbranch_execz .LBB9_1105
; %bb.1078:
	v_readfirstlane_b32 s4, v69
	v_mov_b32_e32 v8, 0
	v_mov_b32_e32 v9, 0
	v_cmp_eq_u32_e64 s4, s4, v69
	s_and_saveexec_b32 s5, s4
	s_cbranch_execz .LBB9_1084
; %bb.1079:
	s_waitcnt vmcnt(0)
	v_mov_b32_e32 v2, 0
	s_mov_b32 s6, exec_lo
	global_load_dwordx2 v[5:6], v2, s[40:41] offset:24 glc dlc
	s_waitcnt vmcnt(0)
	buffer_gl1_inv
	buffer_gl0_inv
	s_clause 0x1
	global_load_dwordx2 v[3:4], v2, s[40:41] offset:40
	global_load_dwordx2 v[7:8], v2, s[40:41]
	s_waitcnt vmcnt(1)
	v_and_b32_e32 v4, v4, v6
	v_and_b32_e32 v3, v3, v5
	v_mul_lo_u32 v4, v4, 24
	v_mul_hi_u32 v9, v3, 24
	v_mul_lo_u32 v3, v3, 24
	v_add_nc_u32_e32 v4, v9, v4
	s_waitcnt vmcnt(0)
	v_add_co_u32 v3, vcc_lo, v7, v3
	v_add_co_ci_u32_e32 v4, vcc_lo, v8, v4, vcc_lo
	global_load_dwordx2 v[3:4], v[3:4], off glc dlc
	s_waitcnt vmcnt(0)
	global_atomic_cmpswap_x2 v[8:9], v2, v[3:6], s[40:41] offset:24 glc
	s_waitcnt vmcnt(0)
	buffer_gl1_inv
	buffer_gl0_inv
	v_cmpx_ne_u64_e64 v[8:9], v[5:6]
	s_cbranch_execz .LBB9_1083
; %bb.1080:
	s_mov_b32 s7, 0
	.p2align	6
.LBB9_1081:                             ; =>This Inner Loop Header: Depth=1
	s_sleep 1
	s_clause 0x1
	global_load_dwordx2 v[3:4], v2, s[40:41] offset:40
	global_load_dwordx2 v[10:11], v2, s[40:41]
	v_mov_b32_e32 v5, v8
	v_mov_b32_e32 v6, v9
	s_waitcnt vmcnt(1)
	v_and_b32_e32 v3, v3, v5
	v_and_b32_e32 v4, v4, v6
	s_waitcnt vmcnt(0)
	v_mad_u64_u32 v[7:8], null, v3, 24, v[10:11]
	v_mov_b32_e32 v3, v8
	v_mad_u64_u32 v[3:4], null, v4, 24, v[3:4]
	v_mov_b32_e32 v8, v3
	global_load_dwordx2 v[3:4], v[7:8], off glc dlc
	s_waitcnt vmcnt(0)
	global_atomic_cmpswap_x2 v[8:9], v2, v[3:6], s[40:41] offset:24 glc
	s_waitcnt vmcnt(0)
	buffer_gl1_inv
	buffer_gl0_inv
	v_cmp_eq_u64_e32 vcc_lo, v[8:9], v[5:6]
	s_or_b32 s7, vcc_lo, s7
	s_andn2_b32 exec_lo, exec_lo, s7
	s_cbranch_execnz .LBB9_1081
; %bb.1082:
	s_or_b32 exec_lo, exec_lo, s7
.LBB9_1083:
	s_or_b32 exec_lo, exec_lo, s6
.LBB9_1084:
	s_or_b32 exec_lo, exec_lo, s5
	s_waitcnt vmcnt(0)
	v_mov_b32_e32 v2, 0
	v_readfirstlane_b32 s6, v8
	v_readfirstlane_b32 s7, v9
	s_mov_b32 s5, exec_lo
	s_clause 0x1
	global_load_dwordx2 v[10:11], v2, s[40:41] offset:40
	global_load_dwordx4 v[4:7], v2, s[40:41]
	s_waitcnt vmcnt(1)
	v_readfirstlane_b32 s10, v10
	v_readfirstlane_b32 s11, v11
	s_and_b64 s[10:11], s[6:7], s[10:11]
	s_mul_i32 s16, s11, 24
	s_mul_hi_u32 s17, s10, 24
	s_mul_i32 s18, s10, 24
	s_add_i32 s17, s17, s16
	s_waitcnt vmcnt(0)
	v_add_co_u32 v8, vcc_lo, v4, s18
	v_add_co_ci_u32_e32 v9, vcc_lo, s17, v5, vcc_lo
	s_and_saveexec_b32 s16, s4
	s_cbranch_execz .LBB9_1086
; %bb.1085:
	v_mov_b32_e32 v10, s5
	v_mov_b32_e32 v11, v2
	;; [unrolled: 1-line block ×4, first 2 shown]
	global_store_dwordx4 v[8:9], v[10:13], off offset:8
.LBB9_1086:
	s_or_b32 exec_lo, exec_lo, s16
	s_lshl_b64 s[10:11], s[10:11], 12
	s_mov_b32 s16, 0
	v_add_co_u32 v6, vcc_lo, v6, s10
	v_add_co_ci_u32_e32 v7, vcc_lo, s11, v7, vcc_lo
	s_mov_b32 s17, s16
	v_readfirstlane_b32 s10, v6
	v_add_co_u32 v6, vcc_lo, v6, v68
	s_mov_b32 s18, s16
	s_mov_b32 s19, s16
	v_and_or_b32 v0, 0xffffff1f, v0, 32
	v_mov_b32_e32 v3, v2
	v_readfirstlane_b32 s11, v7
	v_mov_b32_e32 v10, s16
	v_add_co_ci_u32_e32 v7, vcc_lo, 0, v7, vcc_lo
	v_mov_b32_e32 v11, s17
	v_mov_b32_e32 v12, s18
	;; [unrolled: 1-line block ×3, first 2 shown]
	global_store_dwordx4 v68, v[0:3], s[10:11]
	global_store_dwordx4 v68, v[10:13], s[10:11] offset:16
	global_store_dwordx4 v68, v[10:13], s[10:11] offset:32
	;; [unrolled: 1-line block ×3, first 2 shown]
	s_and_saveexec_b32 s5, s4
	s_cbranch_execz .LBB9_1094
; %bb.1087:
	v_mov_b32_e32 v10, 0
	v_mov_b32_e32 v11, s6
	;; [unrolled: 1-line block ×3, first 2 shown]
	s_clause 0x1
	global_load_dwordx2 v[13:14], v10, s[40:41] offset:32 glc dlc
	global_load_dwordx2 v[0:1], v10, s[40:41] offset:40
	s_waitcnt vmcnt(0)
	v_readfirstlane_b32 s10, v0
	v_readfirstlane_b32 s11, v1
	s_and_b64 s[10:11], s[10:11], s[6:7]
	s_mul_i32 s11, s11, 24
	s_mul_hi_u32 s16, s10, 24
	s_mul_i32 s10, s10, 24
	s_add_i32 s16, s16, s11
	v_add_co_u32 v4, vcc_lo, v4, s10
	v_add_co_ci_u32_e32 v5, vcc_lo, s16, v5, vcc_lo
	s_mov_b32 s10, exec_lo
	global_store_dwordx2 v[4:5], v[13:14], off
	s_waitcnt_vscnt null, 0x0
	global_atomic_cmpswap_x2 v[2:3], v10, v[11:14], s[40:41] offset:32 glc
	s_waitcnt vmcnt(0)
	v_cmpx_ne_u64_e64 v[2:3], v[13:14]
	s_cbranch_execz .LBB9_1090
; %bb.1088:
	s_mov_b32 s11, 0
.LBB9_1089:                             ; =>This Inner Loop Header: Depth=1
	v_mov_b32_e32 v0, s6
	v_mov_b32_e32 v1, s7
	s_sleep 1
	global_store_dwordx2 v[4:5], v[2:3], off
	s_waitcnt_vscnt null, 0x0
	global_atomic_cmpswap_x2 v[0:1], v10, v[0:3], s[40:41] offset:32 glc
	s_waitcnt vmcnt(0)
	v_cmp_eq_u64_e32 vcc_lo, v[0:1], v[2:3]
	v_mov_b32_e32 v3, v1
	v_mov_b32_e32 v2, v0
	s_or_b32 s11, vcc_lo, s11
	s_andn2_b32 exec_lo, exec_lo, s11
	s_cbranch_execnz .LBB9_1089
.LBB9_1090:
	s_or_b32 exec_lo, exec_lo, s10
	v_mov_b32_e32 v3, 0
	s_mov_b32 s11, exec_lo
	s_mov_b32 s10, exec_lo
	v_mbcnt_lo_u32_b32 v2, s11, 0
	global_load_dwordx2 v[0:1], v3, s[40:41] offset:16
	v_cmpx_eq_u32_e32 0, v2
	s_cbranch_execz .LBB9_1092
; %bb.1091:
	s_bcnt1_i32_b32 s11, s11
	v_mov_b32_e32 v2, s11
	s_waitcnt vmcnt(0)
	global_atomic_add_x2 v[0:1], v[2:3], off offset:8
.LBB9_1092:
	s_or_b32 exec_lo, exec_lo, s10
	s_waitcnt vmcnt(0)
	global_load_dwordx2 v[2:3], v[0:1], off offset:16
	s_waitcnt vmcnt(0)
	v_cmp_eq_u64_e32 vcc_lo, 0, v[2:3]
	s_cbranch_vccnz .LBB9_1094
; %bb.1093:
	global_load_dword v0, v[0:1], off offset:24
	v_mov_b32_e32 v1, 0
	s_waitcnt vmcnt(0)
	v_and_b32_e32 v4, 0x7fffff, v0
	s_waitcnt_vscnt null, 0x0
	global_store_dwordx2 v[2:3], v[0:1], off
	v_readfirstlane_b32 m0, v4
	s_sendmsg sendmsg(MSG_INTERRUPT)
.LBB9_1094:
	s_or_b32 exec_lo, exec_lo, s5
	s_branch .LBB9_1098
	.p2align	6
.LBB9_1095:                             ;   in Loop: Header=BB9_1098 Depth=1
	s_or_b32 exec_lo, exec_lo, s5
	v_readfirstlane_b32 s5, v0
	s_cmp_eq_u32 s5, 0
	s_cbranch_scc1 .LBB9_1097
; %bb.1096:                             ;   in Loop: Header=BB9_1098 Depth=1
	s_sleep 1
	s_cbranch_execnz .LBB9_1098
	s_branch .LBB9_1100
	.p2align	6
.LBB9_1097:
	s_branch .LBB9_1100
.LBB9_1098:                             ; =>This Inner Loop Header: Depth=1
	v_mov_b32_e32 v0, 1
	s_and_saveexec_b32 s5, s4
	s_cbranch_execz .LBB9_1095
; %bb.1099:                             ;   in Loop: Header=BB9_1098 Depth=1
	global_load_dword v0, v[8:9], off offset:20 glc dlc
	s_waitcnt vmcnt(0)
	buffer_gl1_inv
	buffer_gl0_inv
	v_and_b32_e32 v0, 1, v0
	s_branch .LBB9_1095
.LBB9_1100:
	global_load_dwordx2 v[2:3], v[6:7], off
	s_and_saveexec_b32 s5, s4
	s_cbranch_execz .LBB9_1104
; %bb.1101:
	v_mov_b32_e32 v8, 0
	s_clause 0x2
	global_load_dwordx2 v[0:1], v8, s[40:41] offset:40
	global_load_dwordx2 v[9:10], v8, s[40:41] offset:24 glc dlc
	global_load_dwordx2 v[6:7], v8, s[40:41]
	s_waitcnt vmcnt(2)
	v_add_co_u32 v11, vcc_lo, v0, 1
	v_add_co_ci_u32_e32 v12, vcc_lo, 0, v1, vcc_lo
	v_add_co_u32 v4, vcc_lo, v11, s6
	v_add_co_ci_u32_e32 v5, vcc_lo, s7, v12, vcc_lo
	v_cmp_eq_u64_e32 vcc_lo, 0, v[4:5]
	v_cndmask_b32_e32 v5, v5, v12, vcc_lo
	v_cndmask_b32_e32 v4, v4, v11, vcc_lo
	v_and_b32_e32 v1, v5, v1
	v_and_b32_e32 v0, v4, v0
	v_mul_lo_u32 v1, v1, 24
	v_mul_hi_u32 v11, v0, 24
	v_mul_lo_u32 v0, v0, 24
	v_add_nc_u32_e32 v1, v11, v1
	s_waitcnt vmcnt(0)
	v_add_co_u32 v0, vcc_lo, v6, v0
	v_mov_b32_e32 v6, v9
	v_add_co_ci_u32_e32 v1, vcc_lo, v7, v1, vcc_lo
	v_mov_b32_e32 v7, v10
	global_store_dwordx2 v[0:1], v[9:10], off
	s_waitcnt_vscnt null, 0x0
	global_atomic_cmpswap_x2 v[6:7], v8, v[4:7], s[40:41] offset:24 glc
	s_waitcnt vmcnt(0)
	v_cmp_ne_u64_e32 vcc_lo, v[6:7], v[9:10]
	s_and_b32 exec_lo, exec_lo, vcc_lo
	s_cbranch_execz .LBB9_1104
; %bb.1102:
	s_mov_b32 s4, 0
.LBB9_1103:                             ; =>This Inner Loop Header: Depth=1
	s_sleep 1
	global_store_dwordx2 v[0:1], v[6:7], off
	s_waitcnt_vscnt null, 0x0
	global_atomic_cmpswap_x2 v[9:10], v8, v[4:7], s[40:41] offset:24 glc
	s_waitcnt vmcnt(0)
	v_cmp_eq_u64_e32 vcc_lo, v[9:10], v[6:7]
	v_mov_b32_e32 v6, v9
	v_mov_b32_e32 v7, v10
	s_or_b32 s4, vcc_lo, s4
	s_andn2_b32 exec_lo, exec_lo, s4
	s_cbranch_execnz .LBB9_1103
.LBB9_1104:
	s_or_b32 exec_lo, exec_lo, s5
.LBB9_1105:
	v_readfirstlane_b32 s4, v69
	s_waitcnt vmcnt(0)
	v_mov_b32_e32 v0, 0
	v_mov_b32_e32 v1, 0
	v_cmp_eq_u32_e64 s4, s4, v69
	s_and_saveexec_b32 s5, s4
	s_cbranch_execz .LBB9_1111
; %bb.1106:
	v_mov_b32_e32 v4, 0
	s_mov_b32 s6, exec_lo
	global_load_dwordx2 v[7:8], v4, s[40:41] offset:24 glc dlc
	s_waitcnt vmcnt(0)
	buffer_gl1_inv
	buffer_gl0_inv
	s_clause 0x1
	global_load_dwordx2 v[0:1], v4, s[40:41] offset:40
	global_load_dwordx2 v[5:6], v4, s[40:41]
	s_waitcnt vmcnt(1)
	v_and_b32_e32 v1, v1, v8
	v_and_b32_e32 v0, v0, v7
	v_mul_lo_u32 v1, v1, 24
	v_mul_hi_u32 v9, v0, 24
	v_mul_lo_u32 v0, v0, 24
	v_add_nc_u32_e32 v1, v9, v1
	s_waitcnt vmcnt(0)
	v_add_co_u32 v0, vcc_lo, v5, v0
	v_add_co_ci_u32_e32 v1, vcc_lo, v6, v1, vcc_lo
	global_load_dwordx2 v[5:6], v[0:1], off glc dlc
	s_waitcnt vmcnt(0)
	global_atomic_cmpswap_x2 v[0:1], v4, v[5:8], s[40:41] offset:24 glc
	s_waitcnt vmcnt(0)
	buffer_gl1_inv
	buffer_gl0_inv
	v_cmpx_ne_u64_e64 v[0:1], v[7:8]
	s_cbranch_execz .LBB9_1110
; %bb.1107:
	s_mov_b32 s7, 0
	.p2align	6
.LBB9_1108:                             ; =>This Inner Loop Header: Depth=1
	s_sleep 1
	s_clause 0x1
	global_load_dwordx2 v[5:6], v4, s[40:41] offset:40
	global_load_dwordx2 v[9:10], v4, s[40:41]
	v_mov_b32_e32 v8, v1
	v_mov_b32_e32 v7, v0
	s_waitcnt vmcnt(1)
	v_and_b32_e32 v0, v5, v7
	v_and_b32_e32 v5, v6, v8
	s_waitcnt vmcnt(0)
	v_mad_u64_u32 v[0:1], null, v0, 24, v[9:10]
	v_mad_u64_u32 v[5:6], null, v5, 24, v[1:2]
	v_mov_b32_e32 v1, v5
	global_load_dwordx2 v[5:6], v[0:1], off glc dlc
	s_waitcnt vmcnt(0)
	global_atomic_cmpswap_x2 v[0:1], v4, v[5:8], s[40:41] offset:24 glc
	s_waitcnt vmcnt(0)
	buffer_gl1_inv
	buffer_gl0_inv
	v_cmp_eq_u64_e32 vcc_lo, v[0:1], v[7:8]
	s_or_b32 s7, vcc_lo, s7
	s_andn2_b32 exec_lo, exec_lo, s7
	s_cbranch_execnz .LBB9_1108
; %bb.1109:
	s_or_b32 exec_lo, exec_lo, s7
.LBB9_1110:
	s_or_b32 exec_lo, exec_lo, s6
.LBB9_1111:
	s_or_b32 exec_lo, exec_lo, s5
	v_mov_b32_e32 v5, 0
	v_readfirstlane_b32 s6, v0
	v_readfirstlane_b32 s7, v1
	s_mov_b32 s5, exec_lo
	s_clause 0x1
	global_load_dwordx2 v[10:11], v5, s[40:41] offset:40
	global_load_dwordx4 v[6:9], v5, s[40:41]
	s_waitcnt vmcnt(1)
	v_readfirstlane_b32 s10, v10
	v_readfirstlane_b32 s11, v11
	s_and_b64 s[10:11], s[6:7], s[10:11]
	s_mul_i32 s16, s11, 24
	s_mul_hi_u32 s17, s10, 24
	s_mul_i32 s18, s10, 24
	s_add_i32 s17, s17, s16
	s_waitcnt vmcnt(0)
	v_add_co_u32 v10, vcc_lo, v6, s18
	v_add_co_ci_u32_e32 v11, vcc_lo, s17, v7, vcc_lo
	s_and_saveexec_b32 s16, s4
	s_cbranch_execz .LBB9_1113
; %bb.1112:
	v_mov_b32_e32 v4, s5
	v_mov_b32_e32 v13, v5
	v_mov_b32_e32 v14, 2
	v_mov_b32_e32 v15, 1
	v_mov_b32_e32 v12, v4
	global_store_dwordx4 v[10:11], v[12:15], off offset:8
.LBB9_1113:
	s_or_b32 exec_lo, exec_lo, s16
	s_lshl_b64 s[10:11], s[10:11], 12
	s_mov_b32 s16, 0
	v_add_co_u32 v0, vcc_lo, v8, s10
	v_add_co_ci_u32_e32 v1, vcc_lo, s11, v9, vcc_lo
	s_mov_b32 s17, s16
	s_mov_b32 s18, s16
	;; [unrolled: 1-line block ×3, first 2 shown]
	v_and_or_b32 v2, 0xffffff1d, v2, 34
	v_mov_b32_e32 v4, 58
	v_readfirstlane_b32 s10, v0
	v_readfirstlane_b32 s11, v1
	v_mov_b32_e32 v12, s16
	v_mov_b32_e32 v13, s17
	;; [unrolled: 1-line block ×4, first 2 shown]
	global_store_dwordx4 v68, v[2:5], s[10:11]
	global_store_dwordx4 v68, v[12:15], s[10:11] offset:16
	global_store_dwordx4 v68, v[12:15], s[10:11] offset:32
	;; [unrolled: 1-line block ×3, first 2 shown]
	s_and_saveexec_b32 s5, s4
	s_cbranch_execz .LBB9_1121
; %bb.1114:
	v_mov_b32_e32 v8, 0
	v_mov_b32_e32 v12, s6
	v_mov_b32_e32 v13, s7
	s_clause 0x1
	global_load_dwordx2 v[14:15], v8, s[40:41] offset:32 glc dlc
	global_load_dwordx2 v[0:1], v8, s[40:41] offset:40
	s_waitcnt vmcnt(0)
	v_readfirstlane_b32 s10, v0
	v_readfirstlane_b32 s11, v1
	s_and_b64 s[10:11], s[10:11], s[6:7]
	s_mul_i32 s11, s11, 24
	s_mul_hi_u32 s16, s10, 24
	s_mul_i32 s10, s10, 24
	s_add_i32 s16, s16, s11
	v_add_co_u32 v4, vcc_lo, v6, s10
	v_add_co_ci_u32_e32 v5, vcc_lo, s16, v7, vcc_lo
	s_mov_b32 s10, exec_lo
	global_store_dwordx2 v[4:5], v[14:15], off
	s_waitcnt_vscnt null, 0x0
	global_atomic_cmpswap_x2 v[2:3], v8, v[12:15], s[40:41] offset:32 glc
	s_waitcnt vmcnt(0)
	v_cmpx_ne_u64_e64 v[2:3], v[14:15]
	s_cbranch_execz .LBB9_1117
; %bb.1115:
	s_mov_b32 s11, 0
.LBB9_1116:                             ; =>This Inner Loop Header: Depth=1
	v_mov_b32_e32 v0, s6
	v_mov_b32_e32 v1, s7
	s_sleep 1
	global_store_dwordx2 v[4:5], v[2:3], off
	s_waitcnt_vscnt null, 0x0
	global_atomic_cmpswap_x2 v[0:1], v8, v[0:3], s[40:41] offset:32 glc
	s_waitcnt vmcnt(0)
	v_cmp_eq_u64_e32 vcc_lo, v[0:1], v[2:3]
	v_mov_b32_e32 v3, v1
	v_mov_b32_e32 v2, v0
	s_or_b32 s11, vcc_lo, s11
	s_andn2_b32 exec_lo, exec_lo, s11
	s_cbranch_execnz .LBB9_1116
.LBB9_1117:
	s_or_b32 exec_lo, exec_lo, s10
	v_mov_b32_e32 v3, 0
	s_mov_b32 s11, exec_lo
	s_mov_b32 s10, exec_lo
	v_mbcnt_lo_u32_b32 v2, s11, 0
	global_load_dwordx2 v[0:1], v3, s[40:41] offset:16
	v_cmpx_eq_u32_e32 0, v2
	s_cbranch_execz .LBB9_1119
; %bb.1118:
	s_bcnt1_i32_b32 s11, s11
	v_mov_b32_e32 v2, s11
	s_waitcnt vmcnt(0)
	global_atomic_add_x2 v[0:1], v[2:3], off offset:8
.LBB9_1119:
	s_or_b32 exec_lo, exec_lo, s10
	s_waitcnt vmcnt(0)
	global_load_dwordx2 v[2:3], v[0:1], off offset:16
	s_waitcnt vmcnt(0)
	v_cmp_eq_u64_e32 vcc_lo, 0, v[2:3]
	s_cbranch_vccnz .LBB9_1121
; %bb.1120:
	global_load_dword v0, v[0:1], off offset:24
	v_mov_b32_e32 v1, 0
	s_waitcnt vmcnt(0)
	v_and_b32_e32 v4, 0x7fffff, v0
	s_waitcnt_vscnt null, 0x0
	global_store_dwordx2 v[2:3], v[0:1], off
	v_readfirstlane_b32 m0, v4
	s_sendmsg sendmsg(MSG_INTERRUPT)
.LBB9_1121:
	s_or_b32 exec_lo, exec_lo, s5
	s_branch .LBB9_1125
	.p2align	6
.LBB9_1122:                             ;   in Loop: Header=BB9_1125 Depth=1
	s_or_b32 exec_lo, exec_lo, s5
	v_readfirstlane_b32 s5, v0
	s_cmp_eq_u32 s5, 0
	s_cbranch_scc1 .LBB9_1124
; %bb.1123:                             ;   in Loop: Header=BB9_1125 Depth=1
	s_sleep 1
	s_cbranch_execnz .LBB9_1125
	s_branch .LBB9_1127
	.p2align	6
.LBB9_1124:
	s_branch .LBB9_1127
.LBB9_1125:                             ; =>This Inner Loop Header: Depth=1
	v_mov_b32_e32 v0, 1
	s_and_saveexec_b32 s5, s4
	s_cbranch_execz .LBB9_1122
; %bb.1126:                             ;   in Loop: Header=BB9_1125 Depth=1
	global_load_dword v0, v[10:11], off offset:20 glc dlc
	s_waitcnt vmcnt(0)
	buffer_gl1_inv
	buffer_gl0_inv
	v_and_b32_e32 v0, 1, v0
	s_branch .LBB9_1122
.LBB9_1127:
	s_and_saveexec_b32 s5, s4
	s_cbranch_execz .LBB9_1131
; %bb.1128:
	v_mov_b32_e32 v6, 0
	s_clause 0x2
	global_load_dwordx2 v[2:3], v6, s[40:41] offset:40
	global_load_dwordx2 v[7:8], v6, s[40:41] offset:24 glc dlc
	global_load_dwordx2 v[4:5], v6, s[40:41]
	s_waitcnt vmcnt(2)
	v_add_co_u32 v9, vcc_lo, v2, 1
	v_add_co_ci_u32_e32 v10, vcc_lo, 0, v3, vcc_lo
	v_add_co_u32 v0, vcc_lo, v9, s6
	v_add_co_ci_u32_e32 v1, vcc_lo, s7, v10, vcc_lo
	v_cmp_eq_u64_e32 vcc_lo, 0, v[0:1]
	v_cndmask_b32_e32 v1, v1, v10, vcc_lo
	v_cndmask_b32_e32 v0, v0, v9, vcc_lo
	v_and_b32_e32 v3, v1, v3
	v_and_b32_e32 v2, v0, v2
	v_mul_lo_u32 v3, v3, 24
	v_mul_hi_u32 v9, v2, 24
	v_mul_lo_u32 v2, v2, 24
	v_add_nc_u32_e32 v3, v9, v3
	s_waitcnt vmcnt(0)
	v_add_co_u32 v4, vcc_lo, v4, v2
	v_mov_b32_e32 v2, v7
	v_add_co_ci_u32_e32 v5, vcc_lo, v5, v3, vcc_lo
	v_mov_b32_e32 v3, v8
	global_store_dwordx2 v[4:5], v[7:8], off
	s_waitcnt_vscnt null, 0x0
	global_atomic_cmpswap_x2 v[2:3], v6, v[0:3], s[40:41] offset:24 glc
	s_waitcnt vmcnt(0)
	v_cmp_ne_u64_e32 vcc_lo, v[2:3], v[7:8]
	s_and_b32 exec_lo, exec_lo, vcc_lo
	s_cbranch_execz .LBB9_1131
; %bb.1129:
	s_mov_b32 s4, 0
.LBB9_1130:                             ; =>This Inner Loop Header: Depth=1
	s_sleep 1
	global_store_dwordx2 v[4:5], v[2:3], off
	s_waitcnt_vscnt null, 0x0
	global_atomic_cmpswap_x2 v[7:8], v6, v[0:3], s[40:41] offset:24 glc
	s_waitcnt vmcnt(0)
	v_cmp_eq_u64_e32 vcc_lo, v[7:8], v[2:3]
	v_mov_b32_e32 v2, v7
	v_mov_b32_e32 v3, v8
	s_or_b32 s4, vcc_lo, s4
	s_andn2_b32 exec_lo, exec_lo, s4
	s_cbranch_execnz .LBB9_1130
.LBB9_1131:
	s_or_b32 exec_lo, exec_lo, s5
	v_readfirstlane_b32 s4, v69
	v_mov_b32_e32 v6, 0
	v_mov_b32_e32 v7, 0
	v_cmp_eq_u32_e64 s4, s4, v69
	s_and_saveexec_b32 s5, s4
	s_cbranch_execz .LBB9_1137
; %bb.1132:
	v_mov_b32_e32 v0, 0
	s_mov_b32 s6, exec_lo
	global_load_dwordx2 v[3:4], v0, s[40:41] offset:24 glc dlc
	s_waitcnt vmcnt(0)
	buffer_gl1_inv
	buffer_gl0_inv
	s_clause 0x1
	global_load_dwordx2 v[1:2], v0, s[40:41] offset:40
	global_load_dwordx2 v[5:6], v0, s[40:41]
	s_waitcnt vmcnt(1)
	v_and_b32_e32 v2, v2, v4
	v_and_b32_e32 v1, v1, v3
	v_mul_lo_u32 v2, v2, 24
	v_mul_hi_u32 v7, v1, 24
	v_mul_lo_u32 v1, v1, 24
	v_add_nc_u32_e32 v2, v7, v2
	s_waitcnt vmcnt(0)
	v_add_co_u32 v1, vcc_lo, v5, v1
	v_add_co_ci_u32_e32 v2, vcc_lo, v6, v2, vcc_lo
	global_load_dwordx2 v[1:2], v[1:2], off glc dlc
	s_waitcnt vmcnt(0)
	global_atomic_cmpswap_x2 v[6:7], v0, v[1:4], s[40:41] offset:24 glc
	s_waitcnt vmcnt(0)
	buffer_gl1_inv
	buffer_gl0_inv
	v_cmpx_ne_u64_e64 v[6:7], v[3:4]
	s_cbranch_execz .LBB9_1136
; %bb.1133:
	s_mov_b32 s7, 0
	.p2align	6
.LBB9_1134:                             ; =>This Inner Loop Header: Depth=1
	s_sleep 1
	s_clause 0x1
	global_load_dwordx2 v[1:2], v0, s[40:41] offset:40
	global_load_dwordx2 v[8:9], v0, s[40:41]
	v_mov_b32_e32 v3, v6
	v_mov_b32_e32 v4, v7
	s_waitcnt vmcnt(1)
	v_and_b32_e32 v1, v1, v3
	v_and_b32_e32 v2, v2, v4
	s_waitcnt vmcnt(0)
	v_mad_u64_u32 v[5:6], null, v1, 24, v[8:9]
	v_mov_b32_e32 v1, v6
	v_mad_u64_u32 v[1:2], null, v2, 24, v[1:2]
	v_mov_b32_e32 v6, v1
	global_load_dwordx2 v[1:2], v[5:6], off glc dlc
	s_waitcnt vmcnt(0)
	global_atomic_cmpswap_x2 v[6:7], v0, v[1:4], s[40:41] offset:24 glc
	s_waitcnt vmcnt(0)
	buffer_gl1_inv
	buffer_gl0_inv
	v_cmp_eq_u64_e32 vcc_lo, v[6:7], v[3:4]
	s_or_b32 s7, vcc_lo, s7
	s_andn2_b32 exec_lo, exec_lo, s7
	s_cbranch_execnz .LBB9_1134
; %bb.1135:
	s_or_b32 exec_lo, exec_lo, s7
.LBB9_1136:
	s_or_b32 exec_lo, exec_lo, s6
.LBB9_1137:
	s_or_b32 exec_lo, exec_lo, s5
	v_mov_b32_e32 v5, 0
	v_readfirstlane_b32 s6, v6
	v_readfirstlane_b32 s7, v7
	s_mov_b32 s5, exec_lo
	s_clause 0x1
	global_load_dwordx2 v[8:9], v5, s[40:41] offset:40
	global_load_dwordx4 v[0:3], v5, s[40:41]
	s_waitcnt vmcnt(1)
	v_readfirstlane_b32 s10, v8
	v_readfirstlane_b32 s11, v9
	s_and_b64 s[10:11], s[6:7], s[10:11]
	s_mul_i32 s16, s11, 24
	s_mul_hi_u32 s17, s10, 24
	s_mul_i32 s18, s10, 24
	s_add_i32 s17, s17, s16
	s_waitcnt vmcnt(0)
	v_add_co_u32 v8, vcc_lo, v0, s18
	v_add_co_ci_u32_e32 v9, vcc_lo, s17, v1, vcc_lo
	s_and_saveexec_b32 s16, s4
	s_cbranch_execz .LBB9_1139
; %bb.1138:
	v_mov_b32_e32 v4, s5
	v_mov_b32_e32 v6, 2
	;; [unrolled: 1-line block ×3, first 2 shown]
	global_store_dwordx4 v[8:9], v[4:7], off offset:8
.LBB9_1139:
	s_or_b32 exec_lo, exec_lo, s16
	s_lshl_b64 s[10:11], s[10:11], 12
	s_mov_b32 s16, 0
	v_add_co_u32 v2, vcc_lo, v2, s10
	v_add_co_ci_u32_e32 v3, vcc_lo, s11, v3, vcc_lo
	s_mov_b32 s17, s16
	v_add_co_u32 v10, vcc_lo, v2, v68
	s_mov_b32 s18, s16
	s_mov_b32 s19, s16
	v_mov_b32_e32 v4, 33
	v_mov_b32_e32 v6, v5
	;; [unrolled: 1-line block ×3, first 2 shown]
	v_readfirstlane_b32 s10, v2
	v_readfirstlane_b32 s11, v3
	v_mov_b32_e32 v12, s16
	v_add_co_ci_u32_e32 v11, vcc_lo, 0, v3, vcc_lo
	v_mov_b32_e32 v13, s17
	v_mov_b32_e32 v14, s18
	;; [unrolled: 1-line block ×3, first 2 shown]
	global_store_dwordx4 v68, v[4:7], s[10:11]
	global_store_dwordx4 v68, v[12:15], s[10:11] offset:16
	global_store_dwordx4 v68, v[12:15], s[10:11] offset:32
	;; [unrolled: 1-line block ×3, first 2 shown]
	s_and_saveexec_b32 s5, s4
	s_cbranch_execz .LBB9_1147
; %bb.1140:
	v_mov_b32_e32 v6, 0
	v_mov_b32_e32 v12, s6
	;; [unrolled: 1-line block ×3, first 2 shown]
	s_clause 0x1
	global_load_dwordx2 v[14:15], v6, s[40:41] offset:32 glc dlc
	global_load_dwordx2 v[2:3], v6, s[40:41] offset:40
	s_waitcnt vmcnt(0)
	v_readfirstlane_b32 s10, v2
	v_readfirstlane_b32 s11, v3
	s_and_b64 s[10:11], s[10:11], s[6:7]
	s_mul_i32 s11, s11, 24
	s_mul_hi_u32 s16, s10, 24
	s_mul_i32 s10, s10, 24
	s_add_i32 s16, s16, s11
	v_add_co_u32 v4, vcc_lo, v0, s10
	v_add_co_ci_u32_e32 v5, vcc_lo, s16, v1, vcc_lo
	s_mov_b32 s10, exec_lo
	global_store_dwordx2 v[4:5], v[14:15], off
	s_waitcnt_vscnt null, 0x0
	global_atomic_cmpswap_x2 v[2:3], v6, v[12:15], s[40:41] offset:32 glc
	s_waitcnt vmcnt(0)
	v_cmpx_ne_u64_e64 v[2:3], v[14:15]
	s_cbranch_execz .LBB9_1143
; %bb.1141:
	s_mov_b32 s11, 0
.LBB9_1142:                             ; =>This Inner Loop Header: Depth=1
	v_mov_b32_e32 v0, s6
	v_mov_b32_e32 v1, s7
	s_sleep 1
	global_store_dwordx2 v[4:5], v[2:3], off
	s_waitcnt_vscnt null, 0x0
	global_atomic_cmpswap_x2 v[0:1], v6, v[0:3], s[40:41] offset:32 glc
	s_waitcnt vmcnt(0)
	v_cmp_eq_u64_e32 vcc_lo, v[0:1], v[2:3]
	v_mov_b32_e32 v3, v1
	v_mov_b32_e32 v2, v0
	s_or_b32 s11, vcc_lo, s11
	s_andn2_b32 exec_lo, exec_lo, s11
	s_cbranch_execnz .LBB9_1142
.LBB9_1143:
	s_or_b32 exec_lo, exec_lo, s10
	v_mov_b32_e32 v3, 0
	s_mov_b32 s11, exec_lo
	s_mov_b32 s10, exec_lo
	v_mbcnt_lo_u32_b32 v2, s11, 0
	global_load_dwordx2 v[0:1], v3, s[40:41] offset:16
	v_cmpx_eq_u32_e32 0, v2
	s_cbranch_execz .LBB9_1145
; %bb.1144:
	s_bcnt1_i32_b32 s11, s11
	v_mov_b32_e32 v2, s11
	s_waitcnt vmcnt(0)
	global_atomic_add_x2 v[0:1], v[2:3], off offset:8
.LBB9_1145:
	s_or_b32 exec_lo, exec_lo, s10
	s_waitcnt vmcnt(0)
	global_load_dwordx2 v[2:3], v[0:1], off offset:16
	s_waitcnt vmcnt(0)
	v_cmp_eq_u64_e32 vcc_lo, 0, v[2:3]
	s_cbranch_vccnz .LBB9_1147
; %bb.1146:
	global_load_dword v0, v[0:1], off offset:24
	v_mov_b32_e32 v1, 0
	s_waitcnt vmcnt(0)
	v_and_b32_e32 v4, 0x7fffff, v0
	s_waitcnt_vscnt null, 0x0
	global_store_dwordx2 v[2:3], v[0:1], off
	v_readfirstlane_b32 m0, v4
	s_sendmsg sendmsg(MSG_INTERRUPT)
.LBB9_1147:
	s_or_b32 exec_lo, exec_lo, s5
	s_branch .LBB9_1151
	.p2align	6
.LBB9_1148:                             ;   in Loop: Header=BB9_1151 Depth=1
	s_or_b32 exec_lo, exec_lo, s5
	v_readfirstlane_b32 s5, v0
	s_cmp_eq_u32 s5, 0
	s_cbranch_scc1 .LBB9_1150
; %bb.1149:                             ;   in Loop: Header=BB9_1151 Depth=1
	s_sleep 1
	s_cbranch_execnz .LBB9_1151
	s_branch .LBB9_1153
	.p2align	6
.LBB9_1150:
	s_branch .LBB9_1153
.LBB9_1151:                             ; =>This Inner Loop Header: Depth=1
	v_mov_b32_e32 v0, 1
	s_and_saveexec_b32 s5, s4
	s_cbranch_execz .LBB9_1148
; %bb.1152:                             ;   in Loop: Header=BB9_1151 Depth=1
	global_load_dword v0, v[8:9], off offset:20 glc dlc
	s_waitcnt vmcnt(0)
	buffer_gl1_inv
	buffer_gl0_inv
	v_and_b32_e32 v0, 1, v0
	s_branch .LBB9_1148
.LBB9_1153:
	global_load_dwordx2 v[0:1], v[10:11], off
	s_and_saveexec_b32 s5, s4
	s_cbranch_execz .LBB9_1157
; %bb.1154:
	v_mov_b32_e32 v8, 0
	s_clause 0x2
	global_load_dwordx2 v[4:5], v8, s[40:41] offset:40
	global_load_dwordx2 v[9:10], v8, s[40:41] offset:24 glc dlc
	global_load_dwordx2 v[6:7], v8, s[40:41]
	s_waitcnt vmcnt(2)
	v_add_co_u32 v11, vcc_lo, v4, 1
	v_add_co_ci_u32_e32 v12, vcc_lo, 0, v5, vcc_lo
	v_add_co_u32 v2, vcc_lo, v11, s6
	v_add_co_ci_u32_e32 v3, vcc_lo, s7, v12, vcc_lo
	v_cmp_eq_u64_e32 vcc_lo, 0, v[2:3]
	v_cndmask_b32_e32 v3, v3, v12, vcc_lo
	v_cndmask_b32_e32 v2, v2, v11, vcc_lo
	v_and_b32_e32 v5, v3, v5
	v_and_b32_e32 v4, v2, v4
	v_mul_lo_u32 v5, v5, 24
	v_mul_hi_u32 v11, v4, 24
	v_mul_lo_u32 v4, v4, 24
	v_add_nc_u32_e32 v5, v11, v5
	s_waitcnt vmcnt(0)
	v_add_co_u32 v6, vcc_lo, v6, v4
	v_mov_b32_e32 v4, v9
	v_add_co_ci_u32_e32 v7, vcc_lo, v7, v5, vcc_lo
	v_mov_b32_e32 v5, v10
	global_store_dwordx2 v[6:7], v[9:10], off
	s_waitcnt_vscnt null, 0x0
	global_atomic_cmpswap_x2 v[4:5], v8, v[2:5], s[40:41] offset:24 glc
	s_waitcnt vmcnt(0)
	v_cmp_ne_u64_e32 vcc_lo, v[4:5], v[9:10]
	s_and_b32 exec_lo, exec_lo, vcc_lo
	s_cbranch_execz .LBB9_1157
; %bb.1155:
	s_mov_b32 s4, 0
.LBB9_1156:                             ; =>This Inner Loop Header: Depth=1
	s_sleep 1
	global_store_dwordx2 v[6:7], v[4:5], off
	s_waitcnt_vscnt null, 0x0
	global_atomic_cmpswap_x2 v[9:10], v8, v[2:5], s[40:41] offset:24 glc
	s_waitcnt vmcnt(0)
	v_cmp_eq_u64_e32 vcc_lo, v[9:10], v[4:5]
	v_mov_b32_e32 v4, v9
	v_mov_b32_e32 v5, v10
	s_or_b32 s4, vcc_lo, s4
	s_andn2_b32 exec_lo, exec_lo, s4
	s_cbranch_execnz .LBB9_1156
.LBB9_1157:
	s_or_b32 exec_lo, exec_lo, s5
	s_and_b32 vcc_lo, exec_lo, s43
	s_cbranch_vccz .LBB9_1236
; %bb.1158:
	s_waitcnt vmcnt(0)
	v_and_b32_e32 v31, 2, v0
	v_mov_b32_e32 v6, 0
	v_and_b32_e32 v2, -3, v0
	v_mov_b32_e32 v3, v1
	v_mov_b32_e32 v7, 2
	;; [unrolled: 1-line block ×3, first 2 shown]
	s_mov_b64 s[10:11], 3
	s_getpc_b64 s[6:7]
	s_add_u32 s6, s6, .str.6@rel32@lo+4
	s_addc_u32 s7, s7, .str.6@rel32@hi+12
	s_branch .LBB9_1160
.LBB9_1159:                             ;   in Loop: Header=BB9_1160 Depth=1
	s_or_b32 exec_lo, exec_lo, s5
	s_sub_u32 s10, s10, s16
	s_subb_u32 s11, s11, s17
	s_add_u32 s6, s6, s16
	s_addc_u32 s7, s7, s17
	s_cmp_lg_u64 s[10:11], 0
	s_cbranch_scc0 .LBB9_1235
.LBB9_1160:                             ; =>This Loop Header: Depth=1
                                        ;     Child Loop BB9_1169 Depth 2
                                        ;     Child Loop BB9_1165 Depth 2
	;; [unrolled: 1-line block ×11, first 2 shown]
	v_cmp_lt_u64_e64 s4, s[10:11], 56
	v_cmp_gt_u64_e64 s5, s[10:11], 7
                                        ; implicit-def: $vgpr11_vgpr12
                                        ; implicit-def: $sgpr22
	s_and_b32 s4, s4, exec_lo
	s_cselect_b32 s17, s11, 0
	s_cselect_b32 s16, s10, 56
	s_and_b32 vcc_lo, exec_lo, s5
	s_mov_b32 s4, -1
	s_cbranch_vccz .LBB9_1167
; %bb.1161:                             ;   in Loop: Header=BB9_1160 Depth=1
	s_andn2_b32 vcc_lo, exec_lo, s4
	s_mov_b64 s[4:5], s[6:7]
	s_cbranch_vccz .LBB9_1171
.LBB9_1162:                             ;   in Loop: Header=BB9_1160 Depth=1
	s_cmp_gt_u32 s22, 7
	s_cbranch_scc1 .LBB9_1172
.LBB9_1163:                             ;   in Loop: Header=BB9_1160 Depth=1
	v_mov_b32_e32 v13, 0
	v_mov_b32_e32 v14, 0
	s_cmp_eq_u32 s22, 0
	s_cbranch_scc1 .LBB9_1166
; %bb.1164:                             ;   in Loop: Header=BB9_1160 Depth=1
	s_mov_b64 s[18:19], 0
	s_mov_b64 s[20:21], 0
.LBB9_1165:                             ;   Parent Loop BB9_1160 Depth=1
                                        ; =>  This Inner Loop Header: Depth=2
	s_add_u32 s24, s4, s20
	s_addc_u32 s25, s5, s21
	s_add_u32 s20, s20, 1
	global_load_ubyte v4, v6, s[24:25]
	s_addc_u32 s21, s21, 0
	s_waitcnt vmcnt(0)
	v_and_b32_e32 v5, 0xffff, v4
	v_lshlrev_b64 v[4:5], s18, v[5:6]
	s_add_u32 s18, s18, 8
	s_addc_u32 s19, s19, 0
	s_cmp_lg_u32 s22, s20
	v_or_b32_e32 v13, v4, v13
	v_or_b32_e32 v14, v5, v14
	s_cbranch_scc1 .LBB9_1165
.LBB9_1166:                             ;   in Loop: Header=BB9_1160 Depth=1
	s_mov_b32 s23, 0
	s_cbranch_execz .LBB9_1173
	s_branch .LBB9_1174
.LBB9_1167:                             ;   in Loop: Header=BB9_1160 Depth=1
	v_mov_b32_e32 v11, 0
	v_mov_b32_e32 v12, 0
	s_cmp_eq_u64 s[10:11], 0
	s_mov_b64 s[4:5], 0
	s_cbranch_scc1 .LBB9_1170
; %bb.1168:                             ;   in Loop: Header=BB9_1160 Depth=1
	v_mov_b32_e32 v11, 0
	v_mov_b32_e32 v12, 0
	s_lshl_b64 s[18:19], s[16:17], 3
	s_mov_b64 s[20:21], s[6:7]
.LBB9_1169:                             ;   Parent Loop BB9_1160 Depth=1
                                        ; =>  This Inner Loop Header: Depth=2
	global_load_ubyte v4, v6, s[20:21]
	s_waitcnt vmcnt(0)
	v_and_b32_e32 v5, 0xffff, v4
	v_lshlrev_b64 v[4:5], s4, v[5:6]
	s_add_u32 s4, s4, 8
	s_addc_u32 s5, s5, 0
	s_add_u32 s20, s20, 1
	s_addc_u32 s21, s21, 0
	s_cmp_lg_u32 s18, s4
	v_or_b32_e32 v11, v4, v11
	v_or_b32_e32 v12, v5, v12
	s_cbranch_scc1 .LBB9_1169
.LBB9_1170:                             ;   in Loop: Header=BB9_1160 Depth=1
	s_mov_b32 s22, 0
	s_mov_b64 s[4:5], s[6:7]
	s_cbranch_execnz .LBB9_1162
.LBB9_1171:                             ;   in Loop: Header=BB9_1160 Depth=1
	global_load_dwordx2 v[11:12], v6, s[6:7]
	s_add_i32 s22, s16, -8
	s_add_u32 s4, s6, 8
	s_addc_u32 s5, s7, 0
	s_cmp_gt_u32 s22, 7
	s_cbranch_scc0 .LBB9_1163
.LBB9_1172:                             ;   in Loop: Header=BB9_1160 Depth=1
                                        ; implicit-def: $vgpr13_vgpr14
                                        ; implicit-def: $sgpr23
.LBB9_1173:                             ;   in Loop: Header=BB9_1160 Depth=1
	global_load_dwordx2 v[13:14], v6, s[4:5]
	s_add_i32 s23, s22, -8
	s_add_u32 s4, s4, 8
	s_addc_u32 s5, s5, 0
.LBB9_1174:                             ;   in Loop: Header=BB9_1160 Depth=1
	s_cmp_gt_u32 s23, 7
	s_cbranch_scc1 .LBB9_1179
; %bb.1175:                             ;   in Loop: Header=BB9_1160 Depth=1
	v_mov_b32_e32 v15, 0
	v_mov_b32_e32 v16, 0
	s_cmp_eq_u32 s23, 0
	s_cbranch_scc1 .LBB9_1178
; %bb.1176:                             ;   in Loop: Header=BB9_1160 Depth=1
	s_mov_b64 s[18:19], 0
	s_mov_b64 s[20:21], 0
.LBB9_1177:                             ;   Parent Loop BB9_1160 Depth=1
                                        ; =>  This Inner Loop Header: Depth=2
	s_add_u32 s24, s4, s20
	s_addc_u32 s25, s5, s21
	s_add_u32 s20, s20, 1
	global_load_ubyte v4, v6, s[24:25]
	s_addc_u32 s21, s21, 0
	s_waitcnt vmcnt(0)
	v_and_b32_e32 v5, 0xffff, v4
	v_lshlrev_b64 v[4:5], s18, v[5:6]
	s_add_u32 s18, s18, 8
	s_addc_u32 s19, s19, 0
	s_cmp_lg_u32 s23, s20
	v_or_b32_e32 v15, v4, v15
	v_or_b32_e32 v16, v5, v16
	s_cbranch_scc1 .LBB9_1177
.LBB9_1178:                             ;   in Loop: Header=BB9_1160 Depth=1
	s_mov_b32 s22, 0
	s_cbranch_execz .LBB9_1180
	s_branch .LBB9_1181
.LBB9_1179:                             ;   in Loop: Header=BB9_1160 Depth=1
                                        ; implicit-def: $sgpr22
.LBB9_1180:                             ;   in Loop: Header=BB9_1160 Depth=1
	global_load_dwordx2 v[15:16], v6, s[4:5]
	s_add_i32 s22, s23, -8
	s_add_u32 s4, s4, 8
	s_addc_u32 s5, s5, 0
.LBB9_1181:                             ;   in Loop: Header=BB9_1160 Depth=1
	s_cmp_gt_u32 s22, 7
	s_cbranch_scc1 .LBB9_1186
; %bb.1182:                             ;   in Loop: Header=BB9_1160 Depth=1
	v_mov_b32_e32 v17, 0
	v_mov_b32_e32 v18, 0
	s_cmp_eq_u32 s22, 0
	s_cbranch_scc1 .LBB9_1185
; %bb.1183:                             ;   in Loop: Header=BB9_1160 Depth=1
	s_mov_b64 s[18:19], 0
	s_mov_b64 s[20:21], 0
.LBB9_1184:                             ;   Parent Loop BB9_1160 Depth=1
                                        ; =>  This Inner Loop Header: Depth=2
	s_add_u32 s24, s4, s20
	s_addc_u32 s25, s5, s21
	s_add_u32 s20, s20, 1
	global_load_ubyte v4, v6, s[24:25]
	s_addc_u32 s21, s21, 0
	s_waitcnt vmcnt(0)
	v_and_b32_e32 v5, 0xffff, v4
	v_lshlrev_b64 v[4:5], s18, v[5:6]
	s_add_u32 s18, s18, 8
	s_addc_u32 s19, s19, 0
	s_cmp_lg_u32 s22, s20
	v_or_b32_e32 v17, v4, v17
	v_or_b32_e32 v18, v5, v18
	s_cbranch_scc1 .LBB9_1184
.LBB9_1185:                             ;   in Loop: Header=BB9_1160 Depth=1
	s_mov_b32 s23, 0
	s_cbranch_execz .LBB9_1187
	s_branch .LBB9_1188
.LBB9_1186:                             ;   in Loop: Header=BB9_1160 Depth=1
                                        ; implicit-def: $vgpr17_vgpr18
                                        ; implicit-def: $sgpr23
.LBB9_1187:                             ;   in Loop: Header=BB9_1160 Depth=1
	global_load_dwordx2 v[17:18], v6, s[4:5]
	s_add_i32 s23, s22, -8
	s_add_u32 s4, s4, 8
	s_addc_u32 s5, s5, 0
.LBB9_1188:                             ;   in Loop: Header=BB9_1160 Depth=1
	s_cmp_gt_u32 s23, 7
	s_cbranch_scc1 .LBB9_1193
; %bb.1189:                             ;   in Loop: Header=BB9_1160 Depth=1
	v_mov_b32_e32 v19, 0
	v_mov_b32_e32 v20, 0
	s_cmp_eq_u32 s23, 0
	s_cbranch_scc1 .LBB9_1192
; %bb.1190:                             ;   in Loop: Header=BB9_1160 Depth=1
	s_mov_b64 s[18:19], 0
	s_mov_b64 s[20:21], 0
.LBB9_1191:                             ;   Parent Loop BB9_1160 Depth=1
                                        ; =>  This Inner Loop Header: Depth=2
	s_add_u32 s24, s4, s20
	s_addc_u32 s25, s5, s21
	s_add_u32 s20, s20, 1
	global_load_ubyte v4, v6, s[24:25]
	s_addc_u32 s21, s21, 0
	s_waitcnt vmcnt(0)
	v_and_b32_e32 v5, 0xffff, v4
	v_lshlrev_b64 v[4:5], s18, v[5:6]
	s_add_u32 s18, s18, 8
	s_addc_u32 s19, s19, 0
	s_cmp_lg_u32 s23, s20
	v_or_b32_e32 v19, v4, v19
	v_or_b32_e32 v20, v5, v20
	s_cbranch_scc1 .LBB9_1191
.LBB9_1192:                             ;   in Loop: Header=BB9_1160 Depth=1
	s_mov_b32 s22, 0
	s_cbranch_execz .LBB9_1194
	s_branch .LBB9_1195
.LBB9_1193:                             ;   in Loop: Header=BB9_1160 Depth=1
                                        ; implicit-def: $sgpr22
.LBB9_1194:                             ;   in Loop: Header=BB9_1160 Depth=1
	global_load_dwordx2 v[19:20], v6, s[4:5]
	s_add_i32 s22, s23, -8
	s_add_u32 s4, s4, 8
	s_addc_u32 s5, s5, 0
.LBB9_1195:                             ;   in Loop: Header=BB9_1160 Depth=1
	s_cmp_gt_u32 s22, 7
	s_cbranch_scc1 .LBB9_1200
; %bb.1196:                             ;   in Loop: Header=BB9_1160 Depth=1
	v_mov_b32_e32 v21, 0
	v_mov_b32_e32 v22, 0
	s_cmp_eq_u32 s22, 0
	s_cbranch_scc1 .LBB9_1199
; %bb.1197:                             ;   in Loop: Header=BB9_1160 Depth=1
	s_mov_b64 s[18:19], 0
	s_mov_b64 s[20:21], 0
.LBB9_1198:                             ;   Parent Loop BB9_1160 Depth=1
                                        ; =>  This Inner Loop Header: Depth=2
	s_add_u32 s24, s4, s20
	s_addc_u32 s25, s5, s21
	s_add_u32 s20, s20, 1
	global_load_ubyte v4, v6, s[24:25]
	s_addc_u32 s21, s21, 0
	s_waitcnt vmcnt(0)
	v_and_b32_e32 v5, 0xffff, v4
	v_lshlrev_b64 v[4:5], s18, v[5:6]
	s_add_u32 s18, s18, 8
	s_addc_u32 s19, s19, 0
	s_cmp_lg_u32 s22, s20
	v_or_b32_e32 v21, v4, v21
	v_or_b32_e32 v22, v5, v22
	s_cbranch_scc1 .LBB9_1198
.LBB9_1199:                             ;   in Loop: Header=BB9_1160 Depth=1
	s_mov_b32 s23, 0
	s_cbranch_execz .LBB9_1201
	s_branch .LBB9_1202
.LBB9_1200:                             ;   in Loop: Header=BB9_1160 Depth=1
                                        ; implicit-def: $vgpr21_vgpr22
                                        ; implicit-def: $sgpr23
.LBB9_1201:                             ;   in Loop: Header=BB9_1160 Depth=1
	global_load_dwordx2 v[21:22], v6, s[4:5]
	s_add_i32 s23, s22, -8
	s_add_u32 s4, s4, 8
	s_addc_u32 s5, s5, 0
.LBB9_1202:                             ;   in Loop: Header=BB9_1160 Depth=1
	s_cmp_gt_u32 s23, 7
	s_cbranch_scc1 .LBB9_1207
; %bb.1203:                             ;   in Loop: Header=BB9_1160 Depth=1
	v_mov_b32_e32 v23, 0
	v_mov_b32_e32 v24, 0
	s_cmp_eq_u32 s23, 0
	s_cbranch_scc1 .LBB9_1206
; %bb.1204:                             ;   in Loop: Header=BB9_1160 Depth=1
	s_mov_b64 s[18:19], 0
	s_mov_b64 s[20:21], s[4:5]
.LBB9_1205:                             ;   Parent Loop BB9_1160 Depth=1
                                        ; =>  This Inner Loop Header: Depth=2
	global_load_ubyte v4, v6, s[20:21]
	s_add_i32 s23, s23, -1
	s_waitcnt vmcnt(0)
	v_and_b32_e32 v5, 0xffff, v4
	v_lshlrev_b64 v[4:5], s18, v[5:6]
	s_add_u32 s18, s18, 8
	s_addc_u32 s19, s19, 0
	s_add_u32 s20, s20, 1
	s_addc_u32 s21, s21, 0
	s_cmp_lg_u32 s23, 0
	v_or_b32_e32 v23, v4, v23
	v_or_b32_e32 v24, v5, v24
	s_cbranch_scc1 .LBB9_1205
.LBB9_1206:                             ;   in Loop: Header=BB9_1160 Depth=1
	s_cbranch_execz .LBB9_1208
	s_branch .LBB9_1209
.LBB9_1207:                             ;   in Loop: Header=BB9_1160 Depth=1
.LBB9_1208:                             ;   in Loop: Header=BB9_1160 Depth=1
	global_load_dwordx2 v[23:24], v6, s[4:5]
.LBB9_1209:                             ;   in Loop: Header=BB9_1160 Depth=1
	v_readfirstlane_b32 s4, v69
	s_waitcnt vmcnt(0)
	v_mov_b32_e32 v4, 0
	v_mov_b32_e32 v5, 0
	v_cmp_eq_u32_e64 s4, s4, v69
	s_and_saveexec_b32 s5, s4
	s_cbranch_execz .LBB9_1215
; %bb.1210:                             ;   in Loop: Header=BB9_1160 Depth=1
	global_load_dwordx2 v[27:28], v6, s[40:41] offset:24 glc dlc
	s_waitcnt vmcnt(0)
	buffer_gl1_inv
	buffer_gl0_inv
	s_clause 0x1
	global_load_dwordx2 v[4:5], v6, s[40:41] offset:40
	global_load_dwordx2 v[9:10], v6, s[40:41]
	s_mov_b32 s18, exec_lo
	s_waitcnt vmcnt(1)
	v_and_b32_e32 v5, v5, v28
	v_and_b32_e32 v4, v4, v27
	v_mul_lo_u32 v5, v5, 24
	v_mul_hi_u32 v25, v4, 24
	v_mul_lo_u32 v4, v4, 24
	v_add_nc_u32_e32 v5, v25, v5
	s_waitcnt vmcnt(0)
	v_add_co_u32 v4, vcc_lo, v9, v4
	v_add_co_ci_u32_e32 v5, vcc_lo, v10, v5, vcc_lo
	global_load_dwordx2 v[25:26], v[4:5], off glc dlc
	s_waitcnt vmcnt(0)
	global_atomic_cmpswap_x2 v[4:5], v6, v[25:28], s[40:41] offset:24 glc
	s_waitcnt vmcnt(0)
	buffer_gl1_inv
	buffer_gl0_inv
	v_cmpx_ne_u64_e64 v[4:5], v[27:28]
	s_cbranch_execz .LBB9_1214
; %bb.1211:                             ;   in Loop: Header=BB9_1160 Depth=1
	s_mov_b32 s19, 0
	.p2align	6
.LBB9_1212:                             ;   Parent Loop BB9_1160 Depth=1
                                        ; =>  This Inner Loop Header: Depth=2
	s_sleep 1
	s_clause 0x1
	global_load_dwordx2 v[9:10], v6, s[40:41] offset:40
	global_load_dwordx2 v[25:26], v6, s[40:41]
	v_mov_b32_e32 v28, v5
	v_mov_b32_e32 v27, v4
	s_waitcnt vmcnt(1)
	v_and_b32_e32 v4, v9, v27
	v_and_b32_e32 v9, v10, v28
	s_waitcnt vmcnt(0)
	v_mad_u64_u32 v[4:5], null, v4, 24, v[25:26]
	v_mad_u64_u32 v[9:10], null, v9, 24, v[5:6]
	v_mov_b32_e32 v5, v9
	global_load_dwordx2 v[25:26], v[4:5], off glc dlc
	s_waitcnt vmcnt(0)
	global_atomic_cmpswap_x2 v[4:5], v6, v[25:28], s[40:41] offset:24 glc
	s_waitcnt vmcnt(0)
	buffer_gl1_inv
	buffer_gl0_inv
	v_cmp_eq_u64_e32 vcc_lo, v[4:5], v[27:28]
	s_or_b32 s19, vcc_lo, s19
	s_andn2_b32 exec_lo, exec_lo, s19
	s_cbranch_execnz .LBB9_1212
; %bb.1213:                             ;   in Loop: Header=BB9_1160 Depth=1
	s_or_b32 exec_lo, exec_lo, s19
.LBB9_1214:                             ;   in Loop: Header=BB9_1160 Depth=1
	s_or_b32 exec_lo, exec_lo, s18
.LBB9_1215:                             ;   in Loop: Header=BB9_1160 Depth=1
	s_or_b32 exec_lo, exec_lo, s5
	s_clause 0x1
	global_load_dwordx2 v[9:10], v6, s[40:41] offset:40
	global_load_dwordx4 v[25:28], v6, s[40:41]
	v_readfirstlane_b32 s18, v4
	v_readfirstlane_b32 s19, v5
	s_mov_b32 s5, exec_lo
	s_waitcnt vmcnt(1)
	v_readfirstlane_b32 s20, v9
	v_readfirstlane_b32 s21, v10
	s_and_b64 s[20:21], s[18:19], s[20:21]
	s_mul_i32 s22, s21, 24
	s_mul_hi_u32 s23, s20, 24
	s_mul_i32 s24, s20, 24
	s_add_i32 s23, s23, s22
	s_waitcnt vmcnt(0)
	v_add_co_u32 v29, vcc_lo, v25, s24
	v_add_co_ci_u32_e32 v30, vcc_lo, s23, v26, vcc_lo
	s_and_saveexec_b32 s22, s4
	s_cbranch_execz .LBB9_1217
; %bb.1216:                             ;   in Loop: Header=BB9_1160 Depth=1
	v_mov_b32_e32 v5, s5
	global_store_dwordx4 v[29:30], v[5:8], off offset:8
.LBB9_1217:                             ;   in Loop: Header=BB9_1160 Depth=1
	s_or_b32 exec_lo, exec_lo, s22
	s_lshl_b64 s[20:21], s[20:21], 12
	v_cmp_gt_u64_e64 vcc_lo, s[10:11], 56
	v_or_b32_e32 v5, v2, v31
	v_add_co_u32 v27, s5, v27, s20
	v_add_co_ci_u32_e64 v28, s5, s21, v28, s5
	s_lshl_b32 s5, s16, 2
	v_or_b32_e32 v4, 0, v3
	v_cndmask_b32_e32 v2, v5, v2, vcc_lo
	s_add_i32 s5, s5, 28
	v_readfirstlane_b32 s20, v27
	s_and_b32 s5, s5, 0x1e0
	v_cndmask_b32_e32 v10, v4, v3, vcc_lo
	v_readfirstlane_b32 s21, v28
	v_and_or_b32 v9, 0xffffff1f, v2, s5
	global_store_dwordx4 v68, v[9:12], s[20:21]
	global_store_dwordx4 v68, v[13:16], s[20:21] offset:16
	global_store_dwordx4 v68, v[17:20], s[20:21] offset:32
	;; [unrolled: 1-line block ×3, first 2 shown]
	s_and_saveexec_b32 s5, s4
	s_cbranch_execz .LBB9_1225
; %bb.1218:                             ;   in Loop: Header=BB9_1160 Depth=1
	s_clause 0x1
	global_load_dwordx2 v[13:14], v6, s[40:41] offset:32 glc dlc
	global_load_dwordx2 v[2:3], v6, s[40:41] offset:40
	v_mov_b32_e32 v11, s18
	v_mov_b32_e32 v12, s19
	s_waitcnt vmcnt(0)
	v_readfirstlane_b32 s20, v2
	v_readfirstlane_b32 s21, v3
	s_and_b64 s[20:21], s[20:21], s[18:19]
	s_mul_i32 s21, s21, 24
	s_mul_hi_u32 s22, s20, 24
	s_mul_i32 s20, s20, 24
	s_add_i32 s22, s22, s21
	v_add_co_u32 v9, vcc_lo, v25, s20
	v_add_co_ci_u32_e32 v10, vcc_lo, s22, v26, vcc_lo
	s_mov_b32 s20, exec_lo
	global_store_dwordx2 v[9:10], v[13:14], off
	s_waitcnt_vscnt null, 0x0
	global_atomic_cmpswap_x2 v[4:5], v6, v[11:14], s[40:41] offset:32 glc
	s_waitcnt vmcnt(0)
	v_cmpx_ne_u64_e64 v[4:5], v[13:14]
	s_cbranch_execz .LBB9_1221
; %bb.1219:                             ;   in Loop: Header=BB9_1160 Depth=1
	s_mov_b32 s21, 0
.LBB9_1220:                             ;   Parent Loop BB9_1160 Depth=1
                                        ; =>  This Inner Loop Header: Depth=2
	v_mov_b32_e32 v2, s18
	v_mov_b32_e32 v3, s19
	s_sleep 1
	global_store_dwordx2 v[9:10], v[4:5], off
	s_waitcnt_vscnt null, 0x0
	global_atomic_cmpswap_x2 v[2:3], v6, v[2:5], s[40:41] offset:32 glc
	s_waitcnt vmcnt(0)
	v_cmp_eq_u64_e32 vcc_lo, v[2:3], v[4:5]
	v_mov_b32_e32 v5, v3
	v_mov_b32_e32 v4, v2
	s_or_b32 s21, vcc_lo, s21
	s_andn2_b32 exec_lo, exec_lo, s21
	s_cbranch_execnz .LBB9_1220
.LBB9_1221:                             ;   in Loop: Header=BB9_1160 Depth=1
	s_or_b32 exec_lo, exec_lo, s20
	global_load_dwordx2 v[2:3], v6, s[40:41] offset:16
	s_mov_b32 s21, exec_lo
	s_mov_b32 s20, exec_lo
	v_mbcnt_lo_u32_b32 v4, s21, 0
	v_cmpx_eq_u32_e32 0, v4
	s_cbranch_execz .LBB9_1223
; %bb.1222:                             ;   in Loop: Header=BB9_1160 Depth=1
	s_bcnt1_i32_b32 s21, s21
	v_mov_b32_e32 v5, s21
	s_waitcnt vmcnt(0)
	global_atomic_add_x2 v[2:3], v[5:6], off offset:8
.LBB9_1223:                             ;   in Loop: Header=BB9_1160 Depth=1
	s_or_b32 exec_lo, exec_lo, s20
	s_waitcnt vmcnt(0)
	global_load_dwordx2 v[9:10], v[2:3], off offset:16
	s_waitcnt vmcnt(0)
	v_cmp_eq_u64_e32 vcc_lo, 0, v[9:10]
	s_cbranch_vccnz .LBB9_1225
; %bb.1224:                             ;   in Loop: Header=BB9_1160 Depth=1
	global_load_dword v5, v[2:3], off offset:24
	s_waitcnt vmcnt(0)
	v_and_b32_e32 v2, 0x7fffff, v5
	s_waitcnt_vscnt null, 0x0
	global_store_dwordx2 v[9:10], v[5:6], off
	v_readfirstlane_b32 m0, v2
	s_sendmsg sendmsg(MSG_INTERRUPT)
.LBB9_1225:                             ;   in Loop: Header=BB9_1160 Depth=1
	s_or_b32 exec_lo, exec_lo, s5
	v_add_co_u32 v2, vcc_lo, v27, v68
	v_add_co_ci_u32_e32 v3, vcc_lo, 0, v28, vcc_lo
	s_branch .LBB9_1229
	.p2align	6
.LBB9_1226:                             ;   in Loop: Header=BB9_1229 Depth=2
	s_or_b32 exec_lo, exec_lo, s5
	v_readfirstlane_b32 s5, v4
	s_cmp_eq_u32 s5, 0
	s_cbranch_scc1 .LBB9_1228
; %bb.1227:                             ;   in Loop: Header=BB9_1229 Depth=2
	s_sleep 1
	s_cbranch_execnz .LBB9_1229
	s_branch .LBB9_1231
	.p2align	6
.LBB9_1228:                             ;   in Loop: Header=BB9_1160 Depth=1
	s_branch .LBB9_1231
.LBB9_1229:                             ;   Parent Loop BB9_1160 Depth=1
                                        ; =>  This Inner Loop Header: Depth=2
	v_mov_b32_e32 v4, 1
	s_and_saveexec_b32 s5, s4
	s_cbranch_execz .LBB9_1226
; %bb.1230:                             ;   in Loop: Header=BB9_1229 Depth=2
	global_load_dword v4, v[29:30], off offset:20 glc dlc
	s_waitcnt vmcnt(0)
	buffer_gl1_inv
	buffer_gl0_inv
	v_and_b32_e32 v4, 1, v4
	s_branch .LBB9_1226
.LBB9_1231:                             ;   in Loop: Header=BB9_1160 Depth=1
	global_load_dwordx4 v[2:5], v[2:3], off
	s_and_saveexec_b32 s5, s4
	s_cbranch_execz .LBB9_1159
; %bb.1232:                             ;   in Loop: Header=BB9_1160 Depth=1
	s_clause 0x2
	global_load_dwordx2 v[4:5], v6, s[40:41] offset:40
	global_load_dwordx2 v[13:14], v6, s[40:41] offset:24 glc dlc
	global_load_dwordx2 v[11:12], v6, s[40:41]
	s_waitcnt vmcnt(2)
	v_add_co_u32 v15, vcc_lo, v4, 1
	v_add_co_ci_u32_e32 v16, vcc_lo, 0, v5, vcc_lo
	v_add_co_u32 v9, vcc_lo, v15, s18
	v_add_co_ci_u32_e32 v10, vcc_lo, s19, v16, vcc_lo
	v_cmp_eq_u64_e32 vcc_lo, 0, v[9:10]
	v_cndmask_b32_e32 v10, v10, v16, vcc_lo
	v_cndmask_b32_e32 v9, v9, v15, vcc_lo
	v_and_b32_e32 v5, v10, v5
	v_and_b32_e32 v4, v9, v4
	v_mul_lo_u32 v5, v5, 24
	v_mul_hi_u32 v15, v4, 24
	v_mul_lo_u32 v4, v4, 24
	v_add_nc_u32_e32 v5, v15, v5
	s_waitcnt vmcnt(0)
	v_add_co_u32 v4, vcc_lo, v11, v4
	v_mov_b32_e32 v11, v13
	v_add_co_ci_u32_e32 v5, vcc_lo, v12, v5, vcc_lo
	v_mov_b32_e32 v12, v14
	global_store_dwordx2 v[4:5], v[13:14], off
	s_waitcnt_vscnt null, 0x0
	global_atomic_cmpswap_x2 v[11:12], v6, v[9:12], s[40:41] offset:24 glc
	s_waitcnt vmcnt(0)
	v_cmp_ne_u64_e32 vcc_lo, v[11:12], v[13:14]
	s_and_b32 exec_lo, exec_lo, vcc_lo
	s_cbranch_execz .LBB9_1159
; %bb.1233:                             ;   in Loop: Header=BB9_1160 Depth=1
	s_mov_b32 s4, 0
.LBB9_1234:                             ;   Parent Loop BB9_1160 Depth=1
                                        ; =>  This Inner Loop Header: Depth=2
	s_sleep 1
	global_store_dwordx2 v[4:5], v[11:12], off
	s_waitcnt_vscnt null, 0x0
	global_atomic_cmpswap_x2 v[13:14], v6, v[9:12], s[40:41] offset:24 glc
	s_waitcnt vmcnt(0)
	v_cmp_eq_u64_e32 vcc_lo, v[13:14], v[11:12]
	v_mov_b32_e32 v11, v13
	v_mov_b32_e32 v12, v14
	s_or_b32 s4, vcc_lo, s4
	s_andn2_b32 exec_lo, exec_lo, s4
	s_cbranch_execnz .LBB9_1234
	s_branch .LBB9_1159
.LBB9_1235:
	s_branch .LBB9_1264
.LBB9_1236:
                                        ; implicit-def: $vgpr2_vgpr3
	s_cbranch_execz .LBB9_1264
; %bb.1237:
	v_readfirstlane_b32 s4, v69
	v_mov_b32_e32 v8, 0
	v_mov_b32_e32 v9, 0
	v_cmp_eq_u32_e64 s4, s4, v69
	s_and_saveexec_b32 s5, s4
	s_cbranch_execz .LBB9_1243
; %bb.1238:
	s_waitcnt vmcnt(0)
	v_mov_b32_e32 v2, 0
	s_mov_b32 s6, exec_lo
	global_load_dwordx2 v[5:6], v2, s[40:41] offset:24 glc dlc
	s_waitcnt vmcnt(0)
	buffer_gl1_inv
	buffer_gl0_inv
	s_clause 0x1
	global_load_dwordx2 v[3:4], v2, s[40:41] offset:40
	global_load_dwordx2 v[7:8], v2, s[40:41]
	s_waitcnt vmcnt(1)
	v_and_b32_e32 v4, v4, v6
	v_and_b32_e32 v3, v3, v5
	v_mul_lo_u32 v4, v4, 24
	v_mul_hi_u32 v9, v3, 24
	v_mul_lo_u32 v3, v3, 24
	v_add_nc_u32_e32 v4, v9, v4
	s_waitcnt vmcnt(0)
	v_add_co_u32 v3, vcc_lo, v7, v3
	v_add_co_ci_u32_e32 v4, vcc_lo, v8, v4, vcc_lo
	global_load_dwordx2 v[3:4], v[3:4], off glc dlc
	s_waitcnt vmcnt(0)
	global_atomic_cmpswap_x2 v[8:9], v2, v[3:6], s[40:41] offset:24 glc
	s_waitcnt vmcnt(0)
	buffer_gl1_inv
	buffer_gl0_inv
	v_cmpx_ne_u64_e64 v[8:9], v[5:6]
	s_cbranch_execz .LBB9_1242
; %bb.1239:
	s_mov_b32 s7, 0
	.p2align	6
.LBB9_1240:                             ; =>This Inner Loop Header: Depth=1
	s_sleep 1
	s_clause 0x1
	global_load_dwordx2 v[3:4], v2, s[40:41] offset:40
	global_load_dwordx2 v[10:11], v2, s[40:41]
	v_mov_b32_e32 v5, v8
	v_mov_b32_e32 v6, v9
	s_waitcnt vmcnt(1)
	v_and_b32_e32 v3, v3, v5
	v_and_b32_e32 v4, v4, v6
	s_waitcnt vmcnt(0)
	v_mad_u64_u32 v[7:8], null, v3, 24, v[10:11]
	v_mov_b32_e32 v3, v8
	v_mad_u64_u32 v[3:4], null, v4, 24, v[3:4]
	v_mov_b32_e32 v8, v3
	global_load_dwordx2 v[3:4], v[7:8], off glc dlc
	s_waitcnt vmcnt(0)
	global_atomic_cmpswap_x2 v[8:9], v2, v[3:6], s[40:41] offset:24 glc
	s_waitcnt vmcnt(0)
	buffer_gl1_inv
	buffer_gl0_inv
	v_cmp_eq_u64_e32 vcc_lo, v[8:9], v[5:6]
	s_or_b32 s7, vcc_lo, s7
	s_andn2_b32 exec_lo, exec_lo, s7
	s_cbranch_execnz .LBB9_1240
; %bb.1241:
	s_or_b32 exec_lo, exec_lo, s7
.LBB9_1242:
	s_or_b32 exec_lo, exec_lo, s6
.LBB9_1243:
	s_or_b32 exec_lo, exec_lo, s5
	s_waitcnt vmcnt(0)
	v_mov_b32_e32 v2, 0
	v_readfirstlane_b32 s6, v8
	v_readfirstlane_b32 s7, v9
	s_mov_b32 s5, exec_lo
	s_clause 0x1
	global_load_dwordx2 v[10:11], v2, s[40:41] offset:40
	global_load_dwordx4 v[4:7], v2, s[40:41]
	s_waitcnt vmcnt(1)
	v_readfirstlane_b32 s10, v10
	v_readfirstlane_b32 s11, v11
	s_and_b64 s[10:11], s[6:7], s[10:11]
	s_mul_i32 s16, s11, 24
	s_mul_hi_u32 s17, s10, 24
	s_mul_i32 s18, s10, 24
	s_add_i32 s17, s17, s16
	s_waitcnt vmcnt(0)
	v_add_co_u32 v8, vcc_lo, v4, s18
	v_add_co_ci_u32_e32 v9, vcc_lo, s17, v5, vcc_lo
	s_and_saveexec_b32 s16, s4
	s_cbranch_execz .LBB9_1245
; %bb.1244:
	v_mov_b32_e32 v10, s5
	v_mov_b32_e32 v11, v2
	;; [unrolled: 1-line block ×4, first 2 shown]
	global_store_dwordx4 v[8:9], v[10:13], off offset:8
.LBB9_1245:
	s_or_b32 exec_lo, exec_lo, s16
	s_lshl_b64 s[10:11], s[10:11], 12
	s_mov_b32 s16, 0
	v_add_co_u32 v6, vcc_lo, v6, s10
	v_add_co_ci_u32_e32 v7, vcc_lo, s11, v7, vcc_lo
	s_mov_b32 s17, s16
	v_readfirstlane_b32 s10, v6
	v_add_co_u32 v6, vcc_lo, v6, v68
	s_mov_b32 s18, s16
	s_mov_b32 s19, s16
	v_and_or_b32 v0, 0xffffff1f, v0, 32
	v_mov_b32_e32 v3, v2
	v_readfirstlane_b32 s11, v7
	v_mov_b32_e32 v10, s16
	v_add_co_ci_u32_e32 v7, vcc_lo, 0, v7, vcc_lo
	v_mov_b32_e32 v11, s17
	v_mov_b32_e32 v12, s18
	;; [unrolled: 1-line block ×3, first 2 shown]
	global_store_dwordx4 v68, v[0:3], s[10:11]
	global_store_dwordx4 v68, v[10:13], s[10:11] offset:16
	global_store_dwordx4 v68, v[10:13], s[10:11] offset:32
	;; [unrolled: 1-line block ×3, first 2 shown]
	s_and_saveexec_b32 s5, s4
	s_cbranch_execz .LBB9_1253
; %bb.1246:
	v_mov_b32_e32 v10, 0
	v_mov_b32_e32 v11, s6
	v_mov_b32_e32 v12, s7
	s_clause 0x1
	global_load_dwordx2 v[13:14], v10, s[40:41] offset:32 glc dlc
	global_load_dwordx2 v[0:1], v10, s[40:41] offset:40
	s_waitcnt vmcnt(0)
	v_readfirstlane_b32 s10, v0
	v_readfirstlane_b32 s11, v1
	s_and_b64 s[10:11], s[10:11], s[6:7]
	s_mul_i32 s11, s11, 24
	s_mul_hi_u32 s16, s10, 24
	s_mul_i32 s10, s10, 24
	s_add_i32 s16, s16, s11
	v_add_co_u32 v4, vcc_lo, v4, s10
	v_add_co_ci_u32_e32 v5, vcc_lo, s16, v5, vcc_lo
	s_mov_b32 s10, exec_lo
	global_store_dwordx2 v[4:5], v[13:14], off
	s_waitcnt_vscnt null, 0x0
	global_atomic_cmpswap_x2 v[2:3], v10, v[11:14], s[40:41] offset:32 glc
	s_waitcnt vmcnt(0)
	v_cmpx_ne_u64_e64 v[2:3], v[13:14]
	s_cbranch_execz .LBB9_1249
; %bb.1247:
	s_mov_b32 s11, 0
.LBB9_1248:                             ; =>This Inner Loop Header: Depth=1
	v_mov_b32_e32 v0, s6
	v_mov_b32_e32 v1, s7
	s_sleep 1
	global_store_dwordx2 v[4:5], v[2:3], off
	s_waitcnt_vscnt null, 0x0
	global_atomic_cmpswap_x2 v[0:1], v10, v[0:3], s[40:41] offset:32 glc
	s_waitcnt vmcnt(0)
	v_cmp_eq_u64_e32 vcc_lo, v[0:1], v[2:3]
	v_mov_b32_e32 v3, v1
	v_mov_b32_e32 v2, v0
	s_or_b32 s11, vcc_lo, s11
	s_andn2_b32 exec_lo, exec_lo, s11
	s_cbranch_execnz .LBB9_1248
.LBB9_1249:
	s_or_b32 exec_lo, exec_lo, s10
	v_mov_b32_e32 v3, 0
	s_mov_b32 s11, exec_lo
	s_mov_b32 s10, exec_lo
	v_mbcnt_lo_u32_b32 v2, s11, 0
	global_load_dwordx2 v[0:1], v3, s[40:41] offset:16
	v_cmpx_eq_u32_e32 0, v2
	s_cbranch_execz .LBB9_1251
; %bb.1250:
	s_bcnt1_i32_b32 s11, s11
	v_mov_b32_e32 v2, s11
	s_waitcnt vmcnt(0)
	global_atomic_add_x2 v[0:1], v[2:3], off offset:8
.LBB9_1251:
	s_or_b32 exec_lo, exec_lo, s10
	s_waitcnt vmcnt(0)
	global_load_dwordx2 v[2:3], v[0:1], off offset:16
	s_waitcnt vmcnt(0)
	v_cmp_eq_u64_e32 vcc_lo, 0, v[2:3]
	s_cbranch_vccnz .LBB9_1253
; %bb.1252:
	global_load_dword v0, v[0:1], off offset:24
	v_mov_b32_e32 v1, 0
	s_waitcnt vmcnt(0)
	v_and_b32_e32 v4, 0x7fffff, v0
	s_waitcnt_vscnt null, 0x0
	global_store_dwordx2 v[2:3], v[0:1], off
	v_readfirstlane_b32 m0, v4
	s_sendmsg sendmsg(MSG_INTERRUPT)
.LBB9_1253:
	s_or_b32 exec_lo, exec_lo, s5
	s_branch .LBB9_1257
	.p2align	6
.LBB9_1254:                             ;   in Loop: Header=BB9_1257 Depth=1
	s_or_b32 exec_lo, exec_lo, s5
	v_readfirstlane_b32 s5, v0
	s_cmp_eq_u32 s5, 0
	s_cbranch_scc1 .LBB9_1256
; %bb.1255:                             ;   in Loop: Header=BB9_1257 Depth=1
	s_sleep 1
	s_cbranch_execnz .LBB9_1257
	s_branch .LBB9_1259
	.p2align	6
.LBB9_1256:
	s_branch .LBB9_1259
.LBB9_1257:                             ; =>This Inner Loop Header: Depth=1
	v_mov_b32_e32 v0, 1
	s_and_saveexec_b32 s5, s4
	s_cbranch_execz .LBB9_1254
; %bb.1258:                             ;   in Loop: Header=BB9_1257 Depth=1
	global_load_dword v0, v[8:9], off offset:20 glc dlc
	s_waitcnt vmcnt(0)
	buffer_gl1_inv
	buffer_gl0_inv
	v_and_b32_e32 v0, 1, v0
	s_branch .LBB9_1254
.LBB9_1259:
	global_load_dwordx2 v[2:3], v[6:7], off
	s_and_saveexec_b32 s5, s4
	s_cbranch_execz .LBB9_1263
; %bb.1260:
	v_mov_b32_e32 v8, 0
	s_clause 0x2
	global_load_dwordx2 v[0:1], v8, s[40:41] offset:40
	global_load_dwordx2 v[9:10], v8, s[40:41] offset:24 glc dlc
	global_load_dwordx2 v[6:7], v8, s[40:41]
	s_waitcnt vmcnt(2)
	v_add_co_u32 v11, vcc_lo, v0, 1
	v_add_co_ci_u32_e32 v12, vcc_lo, 0, v1, vcc_lo
	v_add_co_u32 v4, vcc_lo, v11, s6
	v_add_co_ci_u32_e32 v5, vcc_lo, s7, v12, vcc_lo
	v_cmp_eq_u64_e32 vcc_lo, 0, v[4:5]
	v_cndmask_b32_e32 v5, v5, v12, vcc_lo
	v_cndmask_b32_e32 v4, v4, v11, vcc_lo
	v_and_b32_e32 v1, v5, v1
	v_and_b32_e32 v0, v4, v0
	v_mul_lo_u32 v1, v1, 24
	v_mul_hi_u32 v11, v0, 24
	v_mul_lo_u32 v0, v0, 24
	v_add_nc_u32_e32 v1, v11, v1
	s_waitcnt vmcnt(0)
	v_add_co_u32 v0, vcc_lo, v6, v0
	v_mov_b32_e32 v6, v9
	v_add_co_ci_u32_e32 v1, vcc_lo, v7, v1, vcc_lo
	v_mov_b32_e32 v7, v10
	global_store_dwordx2 v[0:1], v[9:10], off
	s_waitcnt_vscnt null, 0x0
	global_atomic_cmpswap_x2 v[6:7], v8, v[4:7], s[40:41] offset:24 glc
	s_waitcnt vmcnt(0)
	v_cmp_ne_u64_e32 vcc_lo, v[6:7], v[9:10]
	s_and_b32 exec_lo, exec_lo, vcc_lo
	s_cbranch_execz .LBB9_1263
; %bb.1261:
	s_mov_b32 s4, 0
.LBB9_1262:                             ; =>This Inner Loop Header: Depth=1
	s_sleep 1
	global_store_dwordx2 v[0:1], v[6:7], off
	s_waitcnt_vscnt null, 0x0
	global_atomic_cmpswap_x2 v[9:10], v8, v[4:7], s[40:41] offset:24 glc
	s_waitcnt vmcnt(0)
	v_cmp_eq_u64_e32 vcc_lo, v[9:10], v[6:7]
	v_mov_b32_e32 v6, v9
	v_mov_b32_e32 v7, v10
	s_or_b32 s4, vcc_lo, s4
	s_andn2_b32 exec_lo, exec_lo, s4
	s_cbranch_execnz .LBB9_1262
.LBB9_1263:
	s_or_b32 exec_lo, exec_lo, s5
.LBB9_1264:
	v_readfirstlane_b32 s4, v69
	s_waitcnt vmcnt(0)
	v_mov_b32_e32 v0, 0
	v_mov_b32_e32 v1, 0
	v_cmp_eq_u32_e64 s4, s4, v69
	s_and_saveexec_b32 s5, s4
	s_cbranch_execz .LBB9_1270
; %bb.1265:
	v_mov_b32_e32 v4, 0
	s_mov_b32 s6, exec_lo
	global_load_dwordx2 v[7:8], v4, s[40:41] offset:24 glc dlc
	s_waitcnt vmcnt(0)
	buffer_gl1_inv
	buffer_gl0_inv
	s_clause 0x1
	global_load_dwordx2 v[0:1], v4, s[40:41] offset:40
	global_load_dwordx2 v[5:6], v4, s[40:41]
	s_waitcnt vmcnt(1)
	v_and_b32_e32 v1, v1, v8
	v_and_b32_e32 v0, v0, v7
	v_mul_lo_u32 v1, v1, 24
	v_mul_hi_u32 v9, v0, 24
	v_mul_lo_u32 v0, v0, 24
	v_add_nc_u32_e32 v1, v9, v1
	s_waitcnt vmcnt(0)
	v_add_co_u32 v0, vcc_lo, v5, v0
	v_add_co_ci_u32_e32 v1, vcc_lo, v6, v1, vcc_lo
	global_load_dwordx2 v[5:6], v[0:1], off glc dlc
	s_waitcnt vmcnt(0)
	global_atomic_cmpswap_x2 v[0:1], v4, v[5:8], s[40:41] offset:24 glc
	s_waitcnt vmcnt(0)
	buffer_gl1_inv
	buffer_gl0_inv
	v_cmpx_ne_u64_e64 v[0:1], v[7:8]
	s_cbranch_execz .LBB9_1269
; %bb.1266:
	s_mov_b32 s7, 0
	.p2align	6
.LBB9_1267:                             ; =>This Inner Loop Header: Depth=1
	s_sleep 1
	s_clause 0x1
	global_load_dwordx2 v[5:6], v4, s[40:41] offset:40
	global_load_dwordx2 v[9:10], v4, s[40:41]
	v_mov_b32_e32 v8, v1
	v_mov_b32_e32 v7, v0
	s_waitcnt vmcnt(1)
	v_and_b32_e32 v0, v5, v7
	v_and_b32_e32 v5, v6, v8
	s_waitcnt vmcnt(0)
	v_mad_u64_u32 v[0:1], null, v0, 24, v[9:10]
	v_mad_u64_u32 v[5:6], null, v5, 24, v[1:2]
	v_mov_b32_e32 v1, v5
	global_load_dwordx2 v[5:6], v[0:1], off glc dlc
	s_waitcnt vmcnt(0)
	global_atomic_cmpswap_x2 v[0:1], v4, v[5:8], s[40:41] offset:24 glc
	s_waitcnt vmcnt(0)
	buffer_gl1_inv
	buffer_gl0_inv
	v_cmp_eq_u64_e32 vcc_lo, v[0:1], v[7:8]
	s_or_b32 s7, vcc_lo, s7
	s_andn2_b32 exec_lo, exec_lo, s7
	s_cbranch_execnz .LBB9_1267
; %bb.1268:
	s_or_b32 exec_lo, exec_lo, s7
.LBB9_1269:
	s_or_b32 exec_lo, exec_lo, s6
.LBB9_1270:
	s_or_b32 exec_lo, exec_lo, s5
	v_mov_b32_e32 v5, 0
	v_readfirstlane_b32 s6, v0
	v_readfirstlane_b32 s7, v1
	s_mov_b32 s5, exec_lo
	s_clause 0x1
	global_load_dwordx2 v[10:11], v5, s[40:41] offset:40
	global_load_dwordx4 v[6:9], v5, s[40:41]
	s_waitcnt vmcnt(1)
	v_readfirstlane_b32 s10, v10
	v_readfirstlane_b32 s11, v11
	s_and_b64 s[10:11], s[6:7], s[10:11]
	s_mul_i32 s16, s11, 24
	s_mul_hi_u32 s17, s10, 24
	s_mul_i32 s18, s10, 24
	s_add_i32 s17, s17, s16
	s_waitcnt vmcnt(0)
	v_add_co_u32 v10, vcc_lo, v6, s18
	v_add_co_ci_u32_e32 v11, vcc_lo, s17, v7, vcc_lo
	s_and_saveexec_b32 s16, s4
	s_cbranch_execz .LBB9_1272
; %bb.1271:
	v_mov_b32_e32 v4, s5
	v_mov_b32_e32 v13, v5
	;; [unrolled: 1-line block ×5, first 2 shown]
	global_store_dwordx4 v[10:11], v[12:15], off offset:8
.LBB9_1272:
	s_or_b32 exec_lo, exec_lo, s16
	s_lshl_b64 s[10:11], s[10:11], 12
	s_mov_b32 s16, 0
	v_add_co_u32 v0, vcc_lo, v8, s10
	v_add_co_ci_u32_e32 v1, vcc_lo, s11, v9, vcc_lo
	s_mov_b32 s17, s16
	s_mov_b32 s18, s16
	;; [unrolled: 1-line block ×3, first 2 shown]
	v_and_or_b32 v2, 0xffffff1d, v2, 34
	v_mov_b32_e32 v4, 10
	v_readfirstlane_b32 s10, v0
	v_readfirstlane_b32 s11, v1
	v_mov_b32_e32 v12, s16
	v_mov_b32_e32 v13, s17
	;; [unrolled: 1-line block ×4, first 2 shown]
	global_store_dwordx4 v68, v[2:5], s[10:11]
	global_store_dwordx4 v68, v[12:15], s[10:11] offset:16
	global_store_dwordx4 v68, v[12:15], s[10:11] offset:32
	;; [unrolled: 1-line block ×3, first 2 shown]
	s_and_saveexec_b32 s5, s4
	s_cbranch_execz .LBB9_1280
; %bb.1273:
	v_mov_b32_e32 v8, 0
	v_mov_b32_e32 v12, s6
	;; [unrolled: 1-line block ×3, first 2 shown]
	s_clause 0x1
	global_load_dwordx2 v[14:15], v8, s[40:41] offset:32 glc dlc
	global_load_dwordx2 v[0:1], v8, s[40:41] offset:40
	s_waitcnt vmcnt(0)
	v_readfirstlane_b32 s10, v0
	v_readfirstlane_b32 s11, v1
	s_and_b64 s[10:11], s[10:11], s[6:7]
	s_mul_i32 s11, s11, 24
	s_mul_hi_u32 s16, s10, 24
	s_mul_i32 s10, s10, 24
	s_add_i32 s16, s16, s11
	v_add_co_u32 v4, vcc_lo, v6, s10
	v_add_co_ci_u32_e32 v5, vcc_lo, s16, v7, vcc_lo
	s_mov_b32 s10, exec_lo
	global_store_dwordx2 v[4:5], v[14:15], off
	s_waitcnt_vscnt null, 0x0
	global_atomic_cmpswap_x2 v[2:3], v8, v[12:15], s[40:41] offset:32 glc
	s_waitcnt vmcnt(0)
	v_cmpx_ne_u64_e64 v[2:3], v[14:15]
	s_cbranch_execz .LBB9_1276
; %bb.1274:
	s_mov_b32 s11, 0
.LBB9_1275:                             ; =>This Inner Loop Header: Depth=1
	v_mov_b32_e32 v0, s6
	v_mov_b32_e32 v1, s7
	s_sleep 1
	global_store_dwordx2 v[4:5], v[2:3], off
	s_waitcnt_vscnt null, 0x0
	global_atomic_cmpswap_x2 v[0:1], v8, v[0:3], s[40:41] offset:32 glc
	s_waitcnt vmcnt(0)
	v_cmp_eq_u64_e32 vcc_lo, v[0:1], v[2:3]
	v_mov_b32_e32 v3, v1
	v_mov_b32_e32 v2, v0
	s_or_b32 s11, vcc_lo, s11
	s_andn2_b32 exec_lo, exec_lo, s11
	s_cbranch_execnz .LBB9_1275
.LBB9_1276:
	s_or_b32 exec_lo, exec_lo, s10
	v_mov_b32_e32 v3, 0
	s_mov_b32 s11, exec_lo
	s_mov_b32 s10, exec_lo
	v_mbcnt_lo_u32_b32 v2, s11, 0
	global_load_dwordx2 v[0:1], v3, s[40:41] offset:16
	v_cmpx_eq_u32_e32 0, v2
	s_cbranch_execz .LBB9_1278
; %bb.1277:
	s_bcnt1_i32_b32 s11, s11
	v_mov_b32_e32 v2, s11
	s_waitcnt vmcnt(0)
	global_atomic_add_x2 v[0:1], v[2:3], off offset:8
.LBB9_1278:
	s_or_b32 exec_lo, exec_lo, s10
	s_waitcnt vmcnt(0)
	global_load_dwordx2 v[2:3], v[0:1], off offset:16
	s_waitcnt vmcnt(0)
	v_cmp_eq_u64_e32 vcc_lo, 0, v[2:3]
	s_cbranch_vccnz .LBB9_1280
; %bb.1279:
	global_load_dword v0, v[0:1], off offset:24
	v_mov_b32_e32 v1, 0
	s_waitcnt vmcnt(0)
	v_and_b32_e32 v4, 0x7fffff, v0
	s_waitcnt_vscnt null, 0x0
	global_store_dwordx2 v[2:3], v[0:1], off
	v_readfirstlane_b32 m0, v4
	s_sendmsg sendmsg(MSG_INTERRUPT)
.LBB9_1280:
	s_or_b32 exec_lo, exec_lo, s5
	s_branch .LBB9_1284
	.p2align	6
.LBB9_1281:                             ;   in Loop: Header=BB9_1284 Depth=1
	s_or_b32 exec_lo, exec_lo, s5
	v_readfirstlane_b32 s5, v0
	s_cmp_eq_u32 s5, 0
	s_cbranch_scc1 .LBB9_1283
; %bb.1282:                             ;   in Loop: Header=BB9_1284 Depth=1
	s_sleep 1
	s_cbranch_execnz .LBB9_1284
	s_branch .LBB9_1286
	.p2align	6
.LBB9_1283:
	s_branch .LBB9_1286
.LBB9_1284:                             ; =>This Inner Loop Header: Depth=1
	v_mov_b32_e32 v0, 1
	s_and_saveexec_b32 s5, s4
	s_cbranch_execz .LBB9_1281
; %bb.1285:                             ;   in Loop: Header=BB9_1284 Depth=1
	global_load_dword v0, v[10:11], off offset:20 glc dlc
	s_waitcnt vmcnt(0)
	buffer_gl1_inv
	buffer_gl0_inv
	v_and_b32_e32 v0, 1, v0
	s_branch .LBB9_1281
.LBB9_1286:
	s_and_saveexec_b32 s5, s4
	s_cbranch_execz .LBB9_1290
; %bb.1287:
	v_mov_b32_e32 v6, 0
	s_clause 0x2
	global_load_dwordx2 v[2:3], v6, s[40:41] offset:40
	global_load_dwordx2 v[7:8], v6, s[40:41] offset:24 glc dlc
	global_load_dwordx2 v[4:5], v6, s[40:41]
	s_waitcnt vmcnt(2)
	v_add_co_u32 v9, vcc_lo, v2, 1
	v_add_co_ci_u32_e32 v10, vcc_lo, 0, v3, vcc_lo
	v_add_co_u32 v0, vcc_lo, v9, s6
	v_add_co_ci_u32_e32 v1, vcc_lo, s7, v10, vcc_lo
	v_cmp_eq_u64_e32 vcc_lo, 0, v[0:1]
	v_cndmask_b32_e32 v1, v1, v10, vcc_lo
	v_cndmask_b32_e32 v0, v0, v9, vcc_lo
	v_and_b32_e32 v3, v1, v3
	v_and_b32_e32 v2, v0, v2
	v_mul_lo_u32 v3, v3, 24
	v_mul_hi_u32 v9, v2, 24
	v_mul_lo_u32 v2, v2, 24
	v_add_nc_u32_e32 v3, v9, v3
	s_waitcnt vmcnt(0)
	v_add_co_u32 v4, vcc_lo, v4, v2
	v_mov_b32_e32 v2, v7
	v_add_co_ci_u32_e32 v5, vcc_lo, v5, v3, vcc_lo
	v_mov_b32_e32 v3, v8
	global_store_dwordx2 v[4:5], v[7:8], off
	s_waitcnt_vscnt null, 0x0
	global_atomic_cmpswap_x2 v[2:3], v6, v[0:3], s[40:41] offset:24 glc
	s_waitcnt vmcnt(0)
	v_cmp_ne_u64_e32 vcc_lo, v[2:3], v[7:8]
	s_and_b32 exec_lo, exec_lo, vcc_lo
	s_cbranch_execz .LBB9_1290
; %bb.1288:
	s_mov_b32 s4, 0
.LBB9_1289:                             ; =>This Inner Loop Header: Depth=1
	s_sleep 1
	global_store_dwordx2 v[4:5], v[2:3], off
	s_waitcnt_vscnt null, 0x0
	global_atomic_cmpswap_x2 v[7:8], v6, v[0:3], s[40:41] offset:24 glc
	s_waitcnt vmcnt(0)
	v_cmp_eq_u64_e32 vcc_lo, v[7:8], v[2:3]
	v_mov_b32_e32 v2, v7
	v_mov_b32_e32 v3, v8
	s_or_b32 s4, vcc_lo, s4
	s_andn2_b32 exec_lo, exec_lo, s4
	s_cbranch_execnz .LBB9_1289
.LBB9_1290:
	s_or_b32 exec_lo, exec_lo, s5
	v_readfirstlane_b32 s4, v69
	v_mov_b32_e32 v6, 0
	v_mov_b32_e32 v7, 0
	v_cmp_eq_u32_e64 s4, s4, v69
	s_and_saveexec_b32 s5, s4
	s_cbranch_execz .LBB9_1296
; %bb.1291:
	v_mov_b32_e32 v0, 0
	s_mov_b32 s6, exec_lo
	global_load_dwordx2 v[3:4], v0, s[40:41] offset:24 glc dlc
	s_waitcnt vmcnt(0)
	buffer_gl1_inv
	buffer_gl0_inv
	s_clause 0x1
	global_load_dwordx2 v[1:2], v0, s[40:41] offset:40
	global_load_dwordx2 v[5:6], v0, s[40:41]
	s_waitcnt vmcnt(1)
	v_and_b32_e32 v2, v2, v4
	v_and_b32_e32 v1, v1, v3
	v_mul_lo_u32 v2, v2, 24
	v_mul_hi_u32 v7, v1, 24
	v_mul_lo_u32 v1, v1, 24
	v_add_nc_u32_e32 v2, v7, v2
	s_waitcnt vmcnt(0)
	v_add_co_u32 v1, vcc_lo, v5, v1
	v_add_co_ci_u32_e32 v2, vcc_lo, v6, v2, vcc_lo
	global_load_dwordx2 v[1:2], v[1:2], off glc dlc
	s_waitcnt vmcnt(0)
	global_atomic_cmpswap_x2 v[6:7], v0, v[1:4], s[40:41] offset:24 glc
	s_waitcnt vmcnt(0)
	buffer_gl1_inv
	buffer_gl0_inv
	v_cmpx_ne_u64_e64 v[6:7], v[3:4]
	s_cbranch_execz .LBB9_1295
; %bb.1292:
	s_mov_b32 s7, 0
	.p2align	6
.LBB9_1293:                             ; =>This Inner Loop Header: Depth=1
	s_sleep 1
	s_clause 0x1
	global_load_dwordx2 v[1:2], v0, s[40:41] offset:40
	global_load_dwordx2 v[8:9], v0, s[40:41]
	v_mov_b32_e32 v3, v6
	v_mov_b32_e32 v4, v7
	s_waitcnt vmcnt(1)
	v_and_b32_e32 v1, v1, v3
	v_and_b32_e32 v2, v2, v4
	s_waitcnt vmcnt(0)
	v_mad_u64_u32 v[5:6], null, v1, 24, v[8:9]
	v_mov_b32_e32 v1, v6
	v_mad_u64_u32 v[1:2], null, v2, 24, v[1:2]
	v_mov_b32_e32 v6, v1
	global_load_dwordx2 v[1:2], v[5:6], off glc dlc
	s_waitcnt vmcnt(0)
	global_atomic_cmpswap_x2 v[6:7], v0, v[1:4], s[40:41] offset:24 glc
	s_waitcnt vmcnt(0)
	buffer_gl1_inv
	buffer_gl0_inv
	v_cmp_eq_u64_e32 vcc_lo, v[6:7], v[3:4]
	s_or_b32 s7, vcc_lo, s7
	s_andn2_b32 exec_lo, exec_lo, s7
	s_cbranch_execnz .LBB9_1293
; %bb.1294:
	s_or_b32 exec_lo, exec_lo, s7
.LBB9_1295:
	s_or_b32 exec_lo, exec_lo, s6
.LBB9_1296:
	s_or_b32 exec_lo, exec_lo, s5
	v_mov_b32_e32 v5, 0
	v_readfirstlane_b32 s6, v6
	v_readfirstlane_b32 s7, v7
	s_mov_b32 s5, exec_lo
	s_clause 0x1
	global_load_dwordx2 v[8:9], v5, s[40:41] offset:40
	global_load_dwordx4 v[0:3], v5, s[40:41]
	s_waitcnt vmcnt(1)
	v_readfirstlane_b32 s10, v8
	v_readfirstlane_b32 s11, v9
	s_and_b64 s[10:11], s[6:7], s[10:11]
	s_mul_i32 s16, s11, 24
	s_mul_hi_u32 s17, s10, 24
	s_mul_i32 s18, s10, 24
	s_add_i32 s17, s17, s16
	s_waitcnt vmcnt(0)
	v_add_co_u32 v8, vcc_lo, v0, s18
	v_add_co_ci_u32_e32 v9, vcc_lo, s17, v1, vcc_lo
	s_and_saveexec_b32 s16, s4
	s_cbranch_execz .LBB9_1298
; %bb.1297:
	v_mov_b32_e32 v4, s5
	v_mov_b32_e32 v6, 2
	v_mov_b32_e32 v7, 1
	global_store_dwordx4 v[8:9], v[4:7], off offset:8
.LBB9_1298:
	s_or_b32 exec_lo, exec_lo, s16
	s_lshl_b64 s[10:11], s[10:11], 12
	s_mov_b32 s16, 0
	v_add_co_u32 v2, vcc_lo, v2, s10
	v_add_co_ci_u32_e32 v3, vcc_lo, s11, v3, vcc_lo
	s_mov_b32 s17, s16
	v_add_co_u32 v10, vcc_lo, v2, v68
	s_mov_b32 s18, s16
	s_mov_b32 s19, s16
	v_mov_b32_e32 v4, 33
	v_mov_b32_e32 v6, v5
	;; [unrolled: 1-line block ×3, first 2 shown]
	v_readfirstlane_b32 s10, v2
	v_readfirstlane_b32 s11, v3
	v_mov_b32_e32 v12, s16
	v_add_co_ci_u32_e32 v11, vcc_lo, 0, v3, vcc_lo
	v_mov_b32_e32 v13, s17
	v_mov_b32_e32 v14, s18
	;; [unrolled: 1-line block ×3, first 2 shown]
	global_store_dwordx4 v68, v[4:7], s[10:11]
	global_store_dwordx4 v68, v[12:15], s[10:11] offset:16
	global_store_dwordx4 v68, v[12:15], s[10:11] offset:32
	;; [unrolled: 1-line block ×3, first 2 shown]
	s_and_saveexec_b32 s5, s4
	s_cbranch_execz .LBB9_1306
; %bb.1299:
	v_mov_b32_e32 v6, 0
	v_mov_b32_e32 v12, s6
	;; [unrolled: 1-line block ×3, first 2 shown]
	s_clause 0x1
	global_load_dwordx2 v[14:15], v6, s[40:41] offset:32 glc dlc
	global_load_dwordx2 v[2:3], v6, s[40:41] offset:40
	s_waitcnt vmcnt(0)
	v_readfirstlane_b32 s10, v2
	v_readfirstlane_b32 s11, v3
	s_and_b64 s[10:11], s[10:11], s[6:7]
	s_mul_i32 s11, s11, 24
	s_mul_hi_u32 s16, s10, 24
	s_mul_i32 s10, s10, 24
	s_add_i32 s16, s16, s11
	v_add_co_u32 v4, vcc_lo, v0, s10
	v_add_co_ci_u32_e32 v5, vcc_lo, s16, v1, vcc_lo
	s_mov_b32 s10, exec_lo
	global_store_dwordx2 v[4:5], v[14:15], off
	s_waitcnt_vscnt null, 0x0
	global_atomic_cmpswap_x2 v[2:3], v6, v[12:15], s[40:41] offset:32 glc
	s_waitcnt vmcnt(0)
	v_cmpx_ne_u64_e64 v[2:3], v[14:15]
	s_cbranch_execz .LBB9_1302
; %bb.1300:
	s_mov_b32 s11, 0
.LBB9_1301:                             ; =>This Inner Loop Header: Depth=1
	v_mov_b32_e32 v0, s6
	v_mov_b32_e32 v1, s7
	s_sleep 1
	global_store_dwordx2 v[4:5], v[2:3], off
	s_waitcnt_vscnt null, 0x0
	global_atomic_cmpswap_x2 v[0:1], v6, v[0:3], s[40:41] offset:32 glc
	s_waitcnt vmcnt(0)
	v_cmp_eq_u64_e32 vcc_lo, v[0:1], v[2:3]
	v_mov_b32_e32 v3, v1
	v_mov_b32_e32 v2, v0
	s_or_b32 s11, vcc_lo, s11
	s_andn2_b32 exec_lo, exec_lo, s11
	s_cbranch_execnz .LBB9_1301
.LBB9_1302:
	s_or_b32 exec_lo, exec_lo, s10
	v_mov_b32_e32 v3, 0
	s_mov_b32 s11, exec_lo
	s_mov_b32 s10, exec_lo
	v_mbcnt_lo_u32_b32 v2, s11, 0
	global_load_dwordx2 v[0:1], v3, s[40:41] offset:16
	v_cmpx_eq_u32_e32 0, v2
	s_cbranch_execz .LBB9_1304
; %bb.1303:
	s_bcnt1_i32_b32 s11, s11
	v_mov_b32_e32 v2, s11
	s_waitcnt vmcnt(0)
	global_atomic_add_x2 v[0:1], v[2:3], off offset:8
.LBB9_1304:
	s_or_b32 exec_lo, exec_lo, s10
	s_waitcnt vmcnt(0)
	global_load_dwordx2 v[2:3], v[0:1], off offset:16
	s_waitcnt vmcnt(0)
	v_cmp_eq_u64_e32 vcc_lo, 0, v[2:3]
	s_cbranch_vccnz .LBB9_1306
; %bb.1305:
	global_load_dword v0, v[0:1], off offset:24
	v_mov_b32_e32 v1, 0
	s_waitcnt vmcnt(0)
	v_and_b32_e32 v4, 0x7fffff, v0
	s_waitcnt_vscnt null, 0x0
	global_store_dwordx2 v[2:3], v[0:1], off
	v_readfirstlane_b32 m0, v4
	s_sendmsg sendmsg(MSG_INTERRUPT)
.LBB9_1306:
	s_or_b32 exec_lo, exec_lo, s5
	s_branch .LBB9_1310
	.p2align	6
.LBB9_1307:                             ;   in Loop: Header=BB9_1310 Depth=1
	s_or_b32 exec_lo, exec_lo, s5
	v_readfirstlane_b32 s5, v0
	s_cmp_eq_u32 s5, 0
	s_cbranch_scc1 .LBB9_1309
; %bb.1308:                             ;   in Loop: Header=BB9_1310 Depth=1
	s_sleep 1
	s_cbranch_execnz .LBB9_1310
	s_branch .LBB9_1312
	.p2align	6
.LBB9_1309:
	s_branch .LBB9_1312
.LBB9_1310:                             ; =>This Inner Loop Header: Depth=1
	v_mov_b32_e32 v0, 1
	s_and_saveexec_b32 s5, s4
	s_cbranch_execz .LBB9_1307
; %bb.1311:                             ;   in Loop: Header=BB9_1310 Depth=1
	global_load_dword v0, v[8:9], off offset:20 glc dlc
	s_waitcnt vmcnt(0)
	buffer_gl1_inv
	buffer_gl0_inv
	v_and_b32_e32 v0, 1, v0
	s_branch .LBB9_1307
.LBB9_1312:
	global_load_dwordx2 v[4:5], v[10:11], off
	s_and_saveexec_b32 s5, s4
	s_cbranch_execz .LBB9_1316
; %bb.1313:
	v_mov_b32_e32 v8, 0
	s_clause 0x2
	global_load_dwordx2 v[2:3], v8, s[40:41] offset:40
	global_load_dwordx2 v[9:10], v8, s[40:41] offset:24 glc dlc
	global_load_dwordx2 v[6:7], v8, s[40:41]
	s_waitcnt vmcnt(2)
	v_add_co_u32 v11, vcc_lo, v2, 1
	v_add_co_ci_u32_e32 v12, vcc_lo, 0, v3, vcc_lo
	v_add_co_u32 v0, vcc_lo, v11, s6
	v_add_co_ci_u32_e32 v1, vcc_lo, s7, v12, vcc_lo
	v_cmp_eq_u64_e32 vcc_lo, 0, v[0:1]
	v_cndmask_b32_e32 v1, v1, v12, vcc_lo
	v_cndmask_b32_e32 v0, v0, v11, vcc_lo
	v_and_b32_e32 v3, v1, v3
	v_and_b32_e32 v2, v0, v2
	v_mul_lo_u32 v3, v3, 24
	v_mul_hi_u32 v11, v2, 24
	v_mul_lo_u32 v2, v2, 24
	v_add_nc_u32_e32 v3, v11, v3
	s_waitcnt vmcnt(0)
	v_add_co_u32 v6, vcc_lo, v6, v2
	v_mov_b32_e32 v2, v9
	v_add_co_ci_u32_e32 v7, vcc_lo, v7, v3, vcc_lo
	v_mov_b32_e32 v3, v10
	global_store_dwordx2 v[6:7], v[9:10], off
	s_waitcnt_vscnt null, 0x0
	global_atomic_cmpswap_x2 v[2:3], v8, v[0:3], s[40:41] offset:24 glc
	s_waitcnt vmcnt(0)
	v_cmp_ne_u64_e32 vcc_lo, v[2:3], v[9:10]
	s_and_b32 exec_lo, exec_lo, vcc_lo
	s_cbranch_execz .LBB9_1316
; %bb.1314:
	s_mov_b32 s4, 0
.LBB9_1315:                             ; =>This Inner Loop Header: Depth=1
	s_sleep 1
	global_store_dwordx2 v[6:7], v[2:3], off
	s_waitcnt_vscnt null, 0x0
	global_atomic_cmpswap_x2 v[9:10], v8, v[0:3], s[40:41] offset:24 glc
	s_waitcnt vmcnt(0)
	v_cmp_eq_u64_e32 vcc_lo, v[9:10], v[2:3]
	v_mov_b32_e32 v2, v9
	v_mov_b32_e32 v3, v10
	s_or_b32 s4, vcc_lo, s4
	s_andn2_b32 exec_lo, exec_lo, s4
	s_cbranch_execnz .LBB9_1315
.LBB9_1316:
	s_or_b32 exec_lo, exec_lo, s5
	s_and_b32 vcc_lo, exec_lo, s15
	s_cbranch_vccz .LBB9_1395
; %bb.1317:
	s_waitcnt vmcnt(0)
	v_and_b32_e32 v28, 2, v4
	v_mov_b32_e32 v7, 0
	v_and_b32_e32 v0, -3, v4
	v_mov_b32_e32 v1, v5
	v_mov_b32_e32 v8, 2
	;; [unrolled: 1-line block ×3, first 2 shown]
	s_mov_b64 s[10:11], 3
	s_getpc_b64 s[6:7]
	s_add_u32 s6, s6, .str.5@rel32@lo+4
	s_addc_u32 s7, s7, .str.5@rel32@hi+12
	s_branch .LBB9_1319
.LBB9_1318:                             ;   in Loop: Header=BB9_1319 Depth=1
	s_or_b32 exec_lo, exec_lo, s5
	s_sub_u32 s10, s10, s16
	s_subb_u32 s11, s11, s17
	s_add_u32 s6, s6, s16
	s_addc_u32 s7, s7, s17
	s_cmp_lg_u64 s[10:11], 0
	s_cbranch_scc0 .LBB9_1394
.LBB9_1319:                             ; =>This Loop Header: Depth=1
                                        ;     Child Loop BB9_1328 Depth 2
                                        ;     Child Loop BB9_1324 Depth 2
	;; [unrolled: 1-line block ×11, first 2 shown]
	v_cmp_lt_u64_e64 s4, s[10:11], 56
	v_cmp_gt_u64_e64 s5, s[10:11], 7
                                        ; implicit-def: $vgpr2_vgpr3
                                        ; implicit-def: $sgpr15
	s_and_b32 s4, s4, exec_lo
	s_cselect_b32 s17, s11, 0
	s_cselect_b32 s16, s10, 56
	s_and_b32 vcc_lo, exec_lo, s5
	s_mov_b32 s4, -1
	s_cbranch_vccz .LBB9_1326
; %bb.1320:                             ;   in Loop: Header=BB9_1319 Depth=1
	s_andn2_b32 vcc_lo, exec_lo, s4
	s_mov_b64 s[4:5], s[6:7]
	s_cbranch_vccz .LBB9_1330
.LBB9_1321:                             ;   in Loop: Header=BB9_1319 Depth=1
	s_cmp_gt_u32 s15, 7
	s_cbranch_scc1 .LBB9_1331
.LBB9_1322:                             ;   in Loop: Header=BB9_1319 Depth=1
	v_mov_b32_e32 v10, 0
	v_mov_b32_e32 v11, 0
	s_cmp_eq_u32 s15, 0
	s_cbranch_scc1 .LBB9_1325
; %bb.1323:                             ;   in Loop: Header=BB9_1319 Depth=1
	s_mov_b64 s[18:19], 0
	s_mov_b64 s[20:21], 0
.LBB9_1324:                             ;   Parent Loop BB9_1319 Depth=1
                                        ; =>  This Inner Loop Header: Depth=2
	s_add_u32 s22, s4, s20
	s_addc_u32 s23, s5, s21
	s_add_u32 s20, s20, 1
	global_load_ubyte v6, v7, s[22:23]
	s_addc_u32 s21, s21, 0
	s_waitcnt vmcnt(0)
	v_and_b32_e32 v6, 0xffff, v6
	v_lshlrev_b64 v[12:13], s18, v[6:7]
	s_add_u32 s18, s18, 8
	s_addc_u32 s19, s19, 0
	s_cmp_lg_u32 s15, s20
	v_or_b32_e32 v10, v12, v10
	v_or_b32_e32 v11, v13, v11
	s_cbranch_scc1 .LBB9_1324
.LBB9_1325:                             ;   in Loop: Header=BB9_1319 Depth=1
	s_mov_b32 s22, 0
	s_cbranch_execz .LBB9_1332
	s_branch .LBB9_1333
.LBB9_1326:                             ;   in Loop: Header=BB9_1319 Depth=1
	s_waitcnt vmcnt(0)
	v_mov_b32_e32 v2, 0
	v_mov_b32_e32 v3, 0
	s_cmp_eq_u64 s[10:11], 0
	s_mov_b64 s[4:5], 0
	s_cbranch_scc1 .LBB9_1329
; %bb.1327:                             ;   in Loop: Header=BB9_1319 Depth=1
	v_mov_b32_e32 v2, 0
	v_mov_b32_e32 v3, 0
	s_lshl_b64 s[18:19], s[16:17], 3
	s_mov_b64 s[20:21], s[6:7]
.LBB9_1328:                             ;   Parent Loop BB9_1319 Depth=1
                                        ; =>  This Inner Loop Header: Depth=2
	global_load_ubyte v6, v7, s[20:21]
	s_waitcnt vmcnt(0)
	v_and_b32_e32 v6, 0xffff, v6
	v_lshlrev_b64 v[10:11], s4, v[6:7]
	s_add_u32 s4, s4, 8
	s_addc_u32 s5, s5, 0
	s_add_u32 s20, s20, 1
	s_addc_u32 s21, s21, 0
	s_cmp_lg_u32 s18, s4
	v_or_b32_e32 v2, v10, v2
	v_or_b32_e32 v3, v11, v3
	s_cbranch_scc1 .LBB9_1328
.LBB9_1329:                             ;   in Loop: Header=BB9_1319 Depth=1
	s_mov_b32 s15, 0
	s_mov_b64 s[4:5], s[6:7]
	s_cbranch_execnz .LBB9_1321
.LBB9_1330:                             ;   in Loop: Header=BB9_1319 Depth=1
	global_load_dwordx2 v[2:3], v7, s[6:7]
	s_add_i32 s15, s16, -8
	s_add_u32 s4, s6, 8
	s_addc_u32 s5, s7, 0
	s_cmp_gt_u32 s15, 7
	s_cbranch_scc0 .LBB9_1322
.LBB9_1331:                             ;   in Loop: Header=BB9_1319 Depth=1
                                        ; implicit-def: $vgpr10_vgpr11
                                        ; implicit-def: $sgpr22
.LBB9_1332:                             ;   in Loop: Header=BB9_1319 Depth=1
	global_load_dwordx2 v[10:11], v7, s[4:5]
	s_add_i32 s22, s15, -8
	s_add_u32 s4, s4, 8
	s_addc_u32 s5, s5, 0
.LBB9_1333:                             ;   in Loop: Header=BB9_1319 Depth=1
	s_cmp_gt_u32 s22, 7
	s_cbranch_scc1 .LBB9_1338
; %bb.1334:                             ;   in Loop: Header=BB9_1319 Depth=1
	v_mov_b32_e32 v12, 0
	v_mov_b32_e32 v13, 0
	s_cmp_eq_u32 s22, 0
	s_cbranch_scc1 .LBB9_1337
; %bb.1335:                             ;   in Loop: Header=BB9_1319 Depth=1
	s_mov_b64 s[18:19], 0
	s_mov_b64 s[20:21], 0
.LBB9_1336:                             ;   Parent Loop BB9_1319 Depth=1
                                        ; =>  This Inner Loop Header: Depth=2
	s_add_u32 s24, s4, s20
	s_addc_u32 s25, s5, s21
	s_add_u32 s20, s20, 1
	global_load_ubyte v6, v7, s[24:25]
	s_addc_u32 s21, s21, 0
	s_waitcnt vmcnt(0)
	v_and_b32_e32 v6, 0xffff, v6
	v_lshlrev_b64 v[14:15], s18, v[6:7]
	s_add_u32 s18, s18, 8
	s_addc_u32 s19, s19, 0
	s_cmp_lg_u32 s22, s20
	v_or_b32_e32 v12, v14, v12
	v_or_b32_e32 v13, v15, v13
	s_cbranch_scc1 .LBB9_1336
.LBB9_1337:                             ;   in Loop: Header=BB9_1319 Depth=1
	s_mov_b32 s15, 0
	s_cbranch_execz .LBB9_1339
	s_branch .LBB9_1340
.LBB9_1338:                             ;   in Loop: Header=BB9_1319 Depth=1
                                        ; implicit-def: $sgpr15
.LBB9_1339:                             ;   in Loop: Header=BB9_1319 Depth=1
	global_load_dwordx2 v[12:13], v7, s[4:5]
	s_add_i32 s15, s22, -8
	s_add_u32 s4, s4, 8
	s_addc_u32 s5, s5, 0
.LBB9_1340:                             ;   in Loop: Header=BB9_1319 Depth=1
	s_cmp_gt_u32 s15, 7
	s_cbranch_scc1 .LBB9_1345
; %bb.1341:                             ;   in Loop: Header=BB9_1319 Depth=1
	v_mov_b32_e32 v14, 0
	v_mov_b32_e32 v15, 0
	s_cmp_eq_u32 s15, 0
	s_cbranch_scc1 .LBB9_1344
; %bb.1342:                             ;   in Loop: Header=BB9_1319 Depth=1
	s_mov_b64 s[18:19], 0
	s_mov_b64 s[20:21], 0
.LBB9_1343:                             ;   Parent Loop BB9_1319 Depth=1
                                        ; =>  This Inner Loop Header: Depth=2
	s_add_u32 s22, s4, s20
	s_addc_u32 s23, s5, s21
	s_add_u32 s20, s20, 1
	global_load_ubyte v6, v7, s[22:23]
	s_addc_u32 s21, s21, 0
	s_waitcnt vmcnt(0)
	v_and_b32_e32 v6, 0xffff, v6
	v_lshlrev_b64 v[16:17], s18, v[6:7]
	s_add_u32 s18, s18, 8
	s_addc_u32 s19, s19, 0
	s_cmp_lg_u32 s15, s20
	v_or_b32_e32 v14, v16, v14
	v_or_b32_e32 v15, v17, v15
	s_cbranch_scc1 .LBB9_1343
.LBB9_1344:                             ;   in Loop: Header=BB9_1319 Depth=1
	s_mov_b32 s22, 0
	s_cbranch_execz .LBB9_1346
	s_branch .LBB9_1347
.LBB9_1345:                             ;   in Loop: Header=BB9_1319 Depth=1
                                        ; implicit-def: $vgpr14_vgpr15
                                        ; implicit-def: $sgpr22
.LBB9_1346:                             ;   in Loop: Header=BB9_1319 Depth=1
	global_load_dwordx2 v[14:15], v7, s[4:5]
	s_add_i32 s22, s15, -8
	s_add_u32 s4, s4, 8
	s_addc_u32 s5, s5, 0
.LBB9_1347:                             ;   in Loop: Header=BB9_1319 Depth=1
	s_cmp_gt_u32 s22, 7
	s_cbranch_scc1 .LBB9_1352
; %bb.1348:                             ;   in Loop: Header=BB9_1319 Depth=1
	v_mov_b32_e32 v16, 0
	v_mov_b32_e32 v17, 0
	s_cmp_eq_u32 s22, 0
	s_cbranch_scc1 .LBB9_1351
; %bb.1349:                             ;   in Loop: Header=BB9_1319 Depth=1
	s_mov_b64 s[18:19], 0
	s_mov_b64 s[20:21], 0
.LBB9_1350:                             ;   Parent Loop BB9_1319 Depth=1
                                        ; =>  This Inner Loop Header: Depth=2
	s_add_u32 s24, s4, s20
	s_addc_u32 s25, s5, s21
	s_add_u32 s20, s20, 1
	global_load_ubyte v6, v7, s[24:25]
	s_addc_u32 s21, s21, 0
	s_waitcnt vmcnt(0)
	v_and_b32_e32 v6, 0xffff, v6
	v_lshlrev_b64 v[18:19], s18, v[6:7]
	s_add_u32 s18, s18, 8
	s_addc_u32 s19, s19, 0
	s_cmp_lg_u32 s22, s20
	v_or_b32_e32 v16, v18, v16
	v_or_b32_e32 v17, v19, v17
	s_cbranch_scc1 .LBB9_1350
.LBB9_1351:                             ;   in Loop: Header=BB9_1319 Depth=1
	s_mov_b32 s15, 0
	s_cbranch_execz .LBB9_1353
	s_branch .LBB9_1354
.LBB9_1352:                             ;   in Loop: Header=BB9_1319 Depth=1
                                        ; implicit-def: $sgpr15
.LBB9_1353:                             ;   in Loop: Header=BB9_1319 Depth=1
	global_load_dwordx2 v[16:17], v7, s[4:5]
	s_add_i32 s15, s22, -8
	s_add_u32 s4, s4, 8
	s_addc_u32 s5, s5, 0
.LBB9_1354:                             ;   in Loop: Header=BB9_1319 Depth=1
	s_cmp_gt_u32 s15, 7
	s_cbranch_scc1 .LBB9_1359
; %bb.1355:                             ;   in Loop: Header=BB9_1319 Depth=1
	v_mov_b32_e32 v18, 0
	v_mov_b32_e32 v19, 0
	s_cmp_eq_u32 s15, 0
	s_cbranch_scc1 .LBB9_1358
; %bb.1356:                             ;   in Loop: Header=BB9_1319 Depth=1
	s_mov_b64 s[18:19], 0
	s_mov_b64 s[20:21], 0
.LBB9_1357:                             ;   Parent Loop BB9_1319 Depth=1
                                        ; =>  This Inner Loop Header: Depth=2
	s_add_u32 s22, s4, s20
	s_addc_u32 s23, s5, s21
	s_add_u32 s20, s20, 1
	global_load_ubyte v6, v7, s[22:23]
	s_addc_u32 s21, s21, 0
	s_waitcnt vmcnt(0)
	v_and_b32_e32 v6, 0xffff, v6
	v_lshlrev_b64 v[20:21], s18, v[6:7]
	s_add_u32 s18, s18, 8
	s_addc_u32 s19, s19, 0
	s_cmp_lg_u32 s15, s20
	v_or_b32_e32 v18, v20, v18
	v_or_b32_e32 v19, v21, v19
	s_cbranch_scc1 .LBB9_1357
.LBB9_1358:                             ;   in Loop: Header=BB9_1319 Depth=1
	s_mov_b32 s22, 0
	s_cbranch_execz .LBB9_1360
	s_branch .LBB9_1361
.LBB9_1359:                             ;   in Loop: Header=BB9_1319 Depth=1
                                        ; implicit-def: $vgpr18_vgpr19
                                        ; implicit-def: $sgpr22
.LBB9_1360:                             ;   in Loop: Header=BB9_1319 Depth=1
	global_load_dwordx2 v[18:19], v7, s[4:5]
	s_add_i32 s22, s15, -8
	s_add_u32 s4, s4, 8
	s_addc_u32 s5, s5, 0
.LBB9_1361:                             ;   in Loop: Header=BB9_1319 Depth=1
	s_cmp_gt_u32 s22, 7
	s_cbranch_scc1 .LBB9_1366
; %bb.1362:                             ;   in Loop: Header=BB9_1319 Depth=1
	v_mov_b32_e32 v20, 0
	v_mov_b32_e32 v21, 0
	s_cmp_eq_u32 s22, 0
	s_cbranch_scc1 .LBB9_1365
; %bb.1363:                             ;   in Loop: Header=BB9_1319 Depth=1
	s_mov_b64 s[18:19], 0
	s_mov_b64 s[20:21], s[4:5]
.LBB9_1364:                             ;   Parent Loop BB9_1319 Depth=1
                                        ; =>  This Inner Loop Header: Depth=2
	global_load_ubyte v6, v7, s[20:21]
	s_add_i32 s22, s22, -1
	s_waitcnt vmcnt(0)
	v_and_b32_e32 v6, 0xffff, v6
	v_lshlrev_b64 v[22:23], s18, v[6:7]
	s_add_u32 s18, s18, 8
	s_addc_u32 s19, s19, 0
	s_add_u32 s20, s20, 1
	s_addc_u32 s21, s21, 0
	s_cmp_lg_u32 s22, 0
	v_or_b32_e32 v20, v22, v20
	v_or_b32_e32 v21, v23, v21
	s_cbranch_scc1 .LBB9_1364
.LBB9_1365:                             ;   in Loop: Header=BB9_1319 Depth=1
	s_cbranch_execz .LBB9_1367
	s_branch .LBB9_1368
.LBB9_1366:                             ;   in Loop: Header=BB9_1319 Depth=1
.LBB9_1367:                             ;   in Loop: Header=BB9_1319 Depth=1
	global_load_dwordx2 v[20:21], v7, s[4:5]
.LBB9_1368:                             ;   in Loop: Header=BB9_1319 Depth=1
	v_readfirstlane_b32 s4, v69
	v_mov_b32_e32 v26, 0
	v_mov_b32_e32 v27, 0
	v_cmp_eq_u32_e64 s4, s4, v69
	s_and_saveexec_b32 s5, s4
	s_cbranch_execz .LBB9_1374
; %bb.1369:                             ;   in Loop: Header=BB9_1319 Depth=1
	global_load_dwordx2 v[24:25], v7, s[40:41] offset:24 glc dlc
	s_waitcnt vmcnt(0)
	buffer_gl1_inv
	buffer_gl0_inv
	s_clause 0x1
	global_load_dwordx2 v[22:23], v7, s[40:41] offset:40
	global_load_dwordx2 v[26:27], v7, s[40:41]
	s_mov_b32 s15, exec_lo
	s_waitcnt vmcnt(1)
	v_and_b32_e32 v6, v23, v25
	v_and_b32_e32 v22, v22, v24
	v_mul_lo_u32 v6, v6, 24
	v_mul_hi_u32 v23, v22, 24
	v_mul_lo_u32 v22, v22, 24
	v_add_nc_u32_e32 v6, v23, v6
	s_waitcnt vmcnt(0)
	v_add_co_u32 v22, vcc_lo, v26, v22
	v_add_co_ci_u32_e32 v23, vcc_lo, v27, v6, vcc_lo
	global_load_dwordx2 v[22:23], v[22:23], off glc dlc
	s_waitcnt vmcnt(0)
	global_atomic_cmpswap_x2 v[26:27], v7, v[22:25], s[40:41] offset:24 glc
	s_waitcnt vmcnt(0)
	buffer_gl1_inv
	buffer_gl0_inv
	v_cmpx_ne_u64_e64 v[26:27], v[24:25]
	s_cbranch_execz .LBB9_1373
; %bb.1370:                             ;   in Loop: Header=BB9_1319 Depth=1
	s_mov_b32 s18, 0
	.p2align	6
.LBB9_1371:                             ;   Parent Loop BB9_1319 Depth=1
                                        ; =>  This Inner Loop Header: Depth=2
	s_sleep 1
	s_clause 0x1
	global_load_dwordx2 v[22:23], v7, s[40:41] offset:40
	global_load_dwordx2 v[29:30], v7, s[40:41]
	v_mov_b32_e32 v24, v26
	v_mov_b32_e32 v25, v27
	s_waitcnt vmcnt(1)
	v_and_b32_e32 v6, v22, v24
	v_and_b32_e32 v22, v23, v25
	s_waitcnt vmcnt(0)
	v_mad_u64_u32 v[26:27], null, v6, 24, v[29:30]
	v_mov_b32_e32 v6, v27
	v_mad_u64_u32 v[22:23], null, v22, 24, v[6:7]
	v_mov_b32_e32 v27, v22
	global_load_dwordx2 v[22:23], v[26:27], off glc dlc
	s_waitcnt vmcnt(0)
	global_atomic_cmpswap_x2 v[26:27], v7, v[22:25], s[40:41] offset:24 glc
	s_waitcnt vmcnt(0)
	buffer_gl1_inv
	buffer_gl0_inv
	v_cmp_eq_u64_e32 vcc_lo, v[26:27], v[24:25]
	s_or_b32 s18, vcc_lo, s18
	s_andn2_b32 exec_lo, exec_lo, s18
	s_cbranch_execnz .LBB9_1371
; %bb.1372:                             ;   in Loop: Header=BB9_1319 Depth=1
	s_or_b32 exec_lo, exec_lo, s18
.LBB9_1373:                             ;   in Loop: Header=BB9_1319 Depth=1
	s_or_b32 exec_lo, exec_lo, s15
.LBB9_1374:                             ;   in Loop: Header=BB9_1319 Depth=1
	s_or_b32 exec_lo, exec_lo, s5
	s_clause 0x1
	global_load_dwordx2 v[29:30], v7, s[40:41] offset:40
	global_load_dwordx4 v[22:25], v7, s[40:41]
	v_readfirstlane_b32 s18, v26
	v_readfirstlane_b32 s19, v27
	s_mov_b32 s5, exec_lo
	s_waitcnt vmcnt(1)
	v_readfirstlane_b32 s20, v29
	v_readfirstlane_b32 s21, v30
	s_and_b64 s[20:21], s[18:19], s[20:21]
	s_mul_i32 s15, s21, 24
	s_mul_hi_u32 s22, s20, 24
	s_mul_i32 s23, s20, 24
	s_add_i32 s22, s22, s15
	s_waitcnt vmcnt(0)
	v_add_co_u32 v26, vcc_lo, v22, s23
	v_add_co_ci_u32_e32 v27, vcc_lo, s22, v23, vcc_lo
	s_and_saveexec_b32 s15, s4
	s_cbranch_execz .LBB9_1376
; %bb.1375:                             ;   in Loop: Header=BB9_1319 Depth=1
	v_mov_b32_e32 v6, s5
	global_store_dwordx4 v[26:27], v[6:9], off offset:8
.LBB9_1376:                             ;   in Loop: Header=BB9_1319 Depth=1
	s_or_b32 exec_lo, exec_lo, s15
	s_lshl_b64 s[20:21], s[20:21], 12
	v_cmp_gt_u64_e64 vcc_lo, s[10:11], 56
	v_or_b32_e32 v29, v0, v28
	v_add_co_u32 v24, s5, v24, s20
	v_add_co_ci_u32_e64 v25, s5, s21, v25, s5
	s_lshl_b32 s5, s16, 2
	v_or_b32_e32 v6, 0, v1
	v_cndmask_b32_e32 v0, v29, v0, vcc_lo
	s_add_i32 s5, s5, 28
	v_readfirstlane_b32 s20, v24
	s_and_b32 s5, s5, 0x1e0
	v_cndmask_b32_e32 v1, v6, v1, vcc_lo
	v_readfirstlane_b32 s21, v25
	v_and_or_b32 v0, 0xffffff1f, v0, s5
	global_store_dwordx4 v68, v[0:3], s[20:21]
	global_store_dwordx4 v68, v[10:13], s[20:21] offset:16
	global_store_dwordx4 v68, v[14:17], s[20:21] offset:32
	;; [unrolled: 1-line block ×3, first 2 shown]
	s_and_saveexec_b32 s5, s4
	s_cbranch_execz .LBB9_1384
; %bb.1377:                             ;   in Loop: Header=BB9_1319 Depth=1
	s_clause 0x1
	global_load_dwordx2 v[14:15], v7, s[40:41] offset:32 glc dlc
	global_load_dwordx2 v[0:1], v7, s[40:41] offset:40
	v_mov_b32_e32 v12, s18
	v_mov_b32_e32 v13, s19
	s_waitcnt vmcnt(0)
	v_readfirstlane_b32 s20, v0
	v_readfirstlane_b32 s21, v1
	s_and_b64 s[20:21], s[20:21], s[18:19]
	s_mul_i32 s15, s21, 24
	s_mul_hi_u32 s21, s20, 24
	s_mul_i32 s20, s20, 24
	s_add_i32 s21, s21, s15
	v_add_co_u32 v10, vcc_lo, v22, s20
	v_add_co_ci_u32_e32 v11, vcc_lo, s21, v23, vcc_lo
	s_mov_b32 s15, exec_lo
	global_store_dwordx2 v[10:11], v[14:15], off
	s_waitcnt_vscnt null, 0x0
	global_atomic_cmpswap_x2 v[2:3], v7, v[12:15], s[40:41] offset:32 glc
	s_waitcnt vmcnt(0)
	v_cmpx_ne_u64_e64 v[2:3], v[14:15]
	s_cbranch_execz .LBB9_1380
; %bb.1378:                             ;   in Loop: Header=BB9_1319 Depth=1
	s_mov_b32 s20, 0
.LBB9_1379:                             ;   Parent Loop BB9_1319 Depth=1
                                        ; =>  This Inner Loop Header: Depth=2
	v_mov_b32_e32 v0, s18
	v_mov_b32_e32 v1, s19
	s_sleep 1
	global_store_dwordx2 v[10:11], v[2:3], off
	s_waitcnt_vscnt null, 0x0
	global_atomic_cmpswap_x2 v[0:1], v7, v[0:3], s[40:41] offset:32 glc
	s_waitcnt vmcnt(0)
	v_cmp_eq_u64_e32 vcc_lo, v[0:1], v[2:3]
	v_mov_b32_e32 v3, v1
	v_mov_b32_e32 v2, v0
	s_or_b32 s20, vcc_lo, s20
	s_andn2_b32 exec_lo, exec_lo, s20
	s_cbranch_execnz .LBB9_1379
.LBB9_1380:                             ;   in Loop: Header=BB9_1319 Depth=1
	s_or_b32 exec_lo, exec_lo, s15
	global_load_dwordx2 v[0:1], v7, s[40:41] offset:16
	s_mov_b32 s20, exec_lo
	s_mov_b32 s15, exec_lo
	v_mbcnt_lo_u32_b32 v2, s20, 0
	v_cmpx_eq_u32_e32 0, v2
	s_cbranch_execz .LBB9_1382
; %bb.1381:                             ;   in Loop: Header=BB9_1319 Depth=1
	s_bcnt1_i32_b32 s20, s20
	v_mov_b32_e32 v6, s20
	s_waitcnt vmcnt(0)
	global_atomic_add_x2 v[0:1], v[6:7], off offset:8
.LBB9_1382:                             ;   in Loop: Header=BB9_1319 Depth=1
	s_or_b32 exec_lo, exec_lo, s15
	s_waitcnt vmcnt(0)
	global_load_dwordx2 v[2:3], v[0:1], off offset:16
	s_waitcnt vmcnt(0)
	v_cmp_eq_u64_e32 vcc_lo, 0, v[2:3]
	s_cbranch_vccnz .LBB9_1384
; %bb.1383:                             ;   in Loop: Header=BB9_1319 Depth=1
	global_load_dword v6, v[0:1], off offset:24
	s_waitcnt vmcnt(0)
	v_and_b32_e32 v0, 0x7fffff, v6
	s_waitcnt_vscnt null, 0x0
	global_store_dwordx2 v[2:3], v[6:7], off
	v_readfirstlane_b32 m0, v0
	s_sendmsg sendmsg(MSG_INTERRUPT)
.LBB9_1384:                             ;   in Loop: Header=BB9_1319 Depth=1
	s_or_b32 exec_lo, exec_lo, s5
	v_add_co_u32 v0, vcc_lo, v24, v68
	v_add_co_ci_u32_e32 v1, vcc_lo, 0, v25, vcc_lo
	s_branch .LBB9_1388
	.p2align	6
.LBB9_1385:                             ;   in Loop: Header=BB9_1388 Depth=2
	s_or_b32 exec_lo, exec_lo, s5
	v_readfirstlane_b32 s5, v2
	s_cmp_eq_u32 s5, 0
	s_cbranch_scc1 .LBB9_1387
; %bb.1386:                             ;   in Loop: Header=BB9_1388 Depth=2
	s_sleep 1
	s_cbranch_execnz .LBB9_1388
	s_branch .LBB9_1390
	.p2align	6
.LBB9_1387:                             ;   in Loop: Header=BB9_1319 Depth=1
	s_branch .LBB9_1390
.LBB9_1388:                             ;   Parent Loop BB9_1319 Depth=1
                                        ; =>  This Inner Loop Header: Depth=2
	v_mov_b32_e32 v2, 1
	s_and_saveexec_b32 s5, s4
	s_cbranch_execz .LBB9_1385
; %bb.1389:                             ;   in Loop: Header=BB9_1388 Depth=2
	global_load_dword v2, v[26:27], off offset:20 glc dlc
	s_waitcnt vmcnt(0)
	buffer_gl1_inv
	buffer_gl0_inv
	v_and_b32_e32 v2, 1, v2
	s_branch .LBB9_1385
.LBB9_1390:                             ;   in Loop: Header=BB9_1319 Depth=1
	global_load_dwordx4 v[0:3], v[0:1], off
	s_and_saveexec_b32 s5, s4
	s_cbranch_execz .LBB9_1318
; %bb.1391:                             ;   in Loop: Header=BB9_1319 Depth=1
	s_clause 0x2
	global_load_dwordx2 v[2:3], v7, s[40:41] offset:40
	global_load_dwordx2 v[14:15], v7, s[40:41] offset:24 glc dlc
	global_load_dwordx2 v[12:13], v7, s[40:41]
	s_waitcnt vmcnt(2)
	v_add_co_u32 v6, vcc_lo, v2, 1
	v_add_co_ci_u32_e32 v16, vcc_lo, 0, v3, vcc_lo
	v_add_co_u32 v10, vcc_lo, v6, s18
	v_add_co_ci_u32_e32 v11, vcc_lo, s19, v16, vcc_lo
	v_cmp_eq_u64_e32 vcc_lo, 0, v[10:11]
	v_cndmask_b32_e32 v11, v11, v16, vcc_lo
	v_cndmask_b32_e32 v10, v10, v6, vcc_lo
	v_and_b32_e32 v3, v11, v3
	v_and_b32_e32 v2, v10, v2
	v_mul_lo_u32 v3, v3, 24
	v_mul_hi_u32 v6, v2, 24
	v_mul_lo_u32 v2, v2, 24
	v_add_nc_u32_e32 v3, v6, v3
	s_waitcnt vmcnt(0)
	v_add_co_u32 v2, vcc_lo, v12, v2
	v_mov_b32_e32 v12, v14
	v_add_co_ci_u32_e32 v3, vcc_lo, v13, v3, vcc_lo
	v_mov_b32_e32 v13, v15
	global_store_dwordx2 v[2:3], v[14:15], off
	s_waitcnt_vscnt null, 0x0
	global_atomic_cmpswap_x2 v[12:13], v7, v[10:13], s[40:41] offset:24 glc
	s_waitcnt vmcnt(0)
	v_cmp_ne_u64_e32 vcc_lo, v[12:13], v[14:15]
	s_and_b32 exec_lo, exec_lo, vcc_lo
	s_cbranch_execz .LBB9_1318
; %bb.1392:                             ;   in Loop: Header=BB9_1319 Depth=1
	s_mov_b32 s4, 0
.LBB9_1393:                             ;   Parent Loop BB9_1319 Depth=1
                                        ; =>  This Inner Loop Header: Depth=2
	s_sleep 1
	global_store_dwordx2 v[2:3], v[12:13], off
	s_waitcnt_vscnt null, 0x0
	global_atomic_cmpswap_x2 v[14:15], v7, v[10:13], s[40:41] offset:24 glc
	s_waitcnt vmcnt(0)
	v_cmp_eq_u64_e32 vcc_lo, v[14:15], v[12:13]
	v_mov_b32_e32 v12, v14
	v_mov_b32_e32 v13, v15
	s_or_b32 s4, vcc_lo, s4
	s_andn2_b32 exec_lo, exec_lo, s4
	s_cbranch_execnz .LBB9_1393
	s_branch .LBB9_1318
.LBB9_1394:
	s_branch .LBB9_1423
.LBB9_1395:
                                        ; implicit-def: $vgpr0_vgpr1
	s_cbranch_execz .LBB9_1423
; %bb.1396:
	v_readfirstlane_b32 s4, v69
	v_mov_b32_e32 v7, 0
	v_mov_b32_e32 v8, 0
	v_cmp_eq_u32_e64 s4, s4, v69
	s_and_saveexec_b32 s5, s4
	s_cbranch_execz .LBB9_1402
; %bb.1397:
	s_waitcnt vmcnt(0)
	v_mov_b32_e32 v0, 0
	s_mov_b32 s6, exec_lo
	global_load_dwordx2 v[9:10], v0, s[40:41] offset:24 glc dlc
	s_waitcnt vmcnt(0)
	buffer_gl1_inv
	buffer_gl0_inv
	s_clause 0x1
	global_load_dwordx2 v[1:2], v0, s[40:41] offset:40
	global_load_dwordx2 v[6:7], v0, s[40:41]
	s_waitcnt vmcnt(1)
	v_and_b32_e32 v2, v2, v10
	v_and_b32_e32 v1, v1, v9
	v_mul_lo_u32 v2, v2, 24
	v_mul_hi_u32 v3, v1, 24
	v_mul_lo_u32 v1, v1, 24
	v_add_nc_u32_e32 v2, v3, v2
	s_waitcnt vmcnt(0)
	v_add_co_u32 v1, vcc_lo, v6, v1
	v_add_co_ci_u32_e32 v2, vcc_lo, v7, v2, vcc_lo
	global_load_dwordx2 v[7:8], v[1:2], off glc dlc
	s_waitcnt vmcnt(0)
	global_atomic_cmpswap_x2 v[7:8], v0, v[7:10], s[40:41] offset:24 glc
	s_waitcnt vmcnt(0)
	buffer_gl1_inv
	buffer_gl0_inv
	v_cmpx_ne_u64_e64 v[7:8], v[9:10]
	s_cbranch_execz .LBB9_1401
; %bb.1398:
	s_mov_b32 s7, 0
	.p2align	6
.LBB9_1399:                             ; =>This Inner Loop Header: Depth=1
	s_sleep 1
	s_clause 0x1
	global_load_dwordx2 v[1:2], v0, s[40:41] offset:40
	global_load_dwordx2 v[11:12], v0, s[40:41]
	v_mov_b32_e32 v10, v8
	v_mov_b32_e32 v9, v7
	s_waitcnt vmcnt(1)
	v_and_b32_e32 v1, v1, v9
	v_and_b32_e32 v2, v2, v10
	s_waitcnt vmcnt(0)
	v_mad_u64_u32 v[6:7], null, v1, 24, v[11:12]
	v_mov_b32_e32 v1, v7
	v_mad_u64_u32 v[1:2], null, v2, 24, v[1:2]
	v_mov_b32_e32 v7, v1
	global_load_dwordx2 v[7:8], v[6:7], off glc dlc
	s_waitcnt vmcnt(0)
	global_atomic_cmpswap_x2 v[7:8], v0, v[7:10], s[40:41] offset:24 glc
	s_waitcnt vmcnt(0)
	buffer_gl1_inv
	buffer_gl0_inv
	v_cmp_eq_u64_e32 vcc_lo, v[7:8], v[9:10]
	s_or_b32 s7, vcc_lo, s7
	s_andn2_b32 exec_lo, exec_lo, s7
	s_cbranch_execnz .LBB9_1399
; %bb.1400:
	s_or_b32 exec_lo, exec_lo, s7
.LBB9_1401:
	s_or_b32 exec_lo, exec_lo, s6
.LBB9_1402:
	s_or_b32 exec_lo, exec_lo, s5
	v_mov_b32_e32 v6, 0
	v_readfirstlane_b32 s6, v7
	v_readfirstlane_b32 s7, v8
	s_mov_b32 s5, exec_lo
	s_clause 0x1
	global_load_dwordx2 v[9:10], v6, s[40:41] offset:40
	global_load_dwordx4 v[0:3], v6, s[40:41]
	s_waitcnt vmcnt(1)
	v_readfirstlane_b32 s10, v9
	v_readfirstlane_b32 s11, v10
	s_and_b64 s[10:11], s[6:7], s[10:11]
	s_mul_i32 s15, s11, 24
	s_mul_hi_u32 s16, s10, 24
	s_mul_i32 s17, s10, 24
	s_add_i32 s16, s16, s15
	s_waitcnt vmcnt(0)
	v_add_co_u32 v8, vcc_lo, v0, s17
	v_add_co_ci_u32_e32 v9, vcc_lo, s16, v1, vcc_lo
	s_and_saveexec_b32 s15, s4
	s_cbranch_execz .LBB9_1404
; %bb.1403:
	v_mov_b32_e32 v10, s5
	v_mov_b32_e32 v11, v6
	;; [unrolled: 1-line block ×4, first 2 shown]
	global_store_dwordx4 v[8:9], v[10:13], off offset:8
.LBB9_1404:
	s_or_b32 exec_lo, exec_lo, s15
	s_lshl_b64 s[10:11], s[10:11], 12
	s_mov_b32 s16, 0
	v_add_co_u32 v2, vcc_lo, v2, s10
	v_add_co_ci_u32_e32 v3, vcc_lo, s11, v3, vcc_lo
	s_mov_b32 s17, s16
	v_add_co_u32 v10, vcc_lo, v2, v68
	s_mov_b32 s18, s16
	s_mov_b32 s19, s16
	v_and_or_b32 v4, 0xffffff1f, v4, 32
	v_mov_b32_e32 v7, v6
	v_readfirstlane_b32 s10, v2
	v_readfirstlane_b32 s11, v3
	v_mov_b32_e32 v12, s16
	v_add_co_ci_u32_e32 v11, vcc_lo, 0, v3, vcc_lo
	v_mov_b32_e32 v13, s17
	v_mov_b32_e32 v14, s18
	;; [unrolled: 1-line block ×3, first 2 shown]
	global_store_dwordx4 v68, v[4:7], s[10:11]
	global_store_dwordx4 v68, v[12:15], s[10:11] offset:16
	global_store_dwordx4 v68, v[12:15], s[10:11] offset:32
	;; [unrolled: 1-line block ×3, first 2 shown]
	s_and_saveexec_b32 s5, s4
	s_cbranch_execz .LBB9_1412
; %bb.1405:
	v_mov_b32_e32 v6, 0
	v_mov_b32_e32 v12, s6
	;; [unrolled: 1-line block ×3, first 2 shown]
	s_clause 0x1
	global_load_dwordx2 v[14:15], v6, s[40:41] offset:32 glc dlc
	global_load_dwordx2 v[2:3], v6, s[40:41] offset:40
	s_waitcnt vmcnt(0)
	v_readfirstlane_b32 s10, v2
	v_readfirstlane_b32 s11, v3
	s_and_b64 s[10:11], s[10:11], s[6:7]
	s_mul_i32 s11, s11, 24
	s_mul_hi_u32 s15, s10, 24
	s_mul_i32 s10, s10, 24
	s_add_i32 s15, s15, s11
	v_add_co_u32 v4, vcc_lo, v0, s10
	v_add_co_ci_u32_e32 v5, vcc_lo, s15, v1, vcc_lo
	s_mov_b32 s10, exec_lo
	global_store_dwordx2 v[4:5], v[14:15], off
	s_waitcnt_vscnt null, 0x0
	global_atomic_cmpswap_x2 v[2:3], v6, v[12:15], s[40:41] offset:32 glc
	s_waitcnt vmcnt(0)
	v_cmpx_ne_u64_e64 v[2:3], v[14:15]
	s_cbranch_execz .LBB9_1408
; %bb.1406:
	s_mov_b32 s11, 0
.LBB9_1407:                             ; =>This Inner Loop Header: Depth=1
	v_mov_b32_e32 v0, s6
	v_mov_b32_e32 v1, s7
	s_sleep 1
	global_store_dwordx2 v[4:5], v[2:3], off
	s_waitcnt_vscnt null, 0x0
	global_atomic_cmpswap_x2 v[0:1], v6, v[0:3], s[40:41] offset:32 glc
	s_waitcnt vmcnt(0)
	v_cmp_eq_u64_e32 vcc_lo, v[0:1], v[2:3]
	v_mov_b32_e32 v3, v1
	v_mov_b32_e32 v2, v0
	s_or_b32 s11, vcc_lo, s11
	s_andn2_b32 exec_lo, exec_lo, s11
	s_cbranch_execnz .LBB9_1407
.LBB9_1408:
	s_or_b32 exec_lo, exec_lo, s10
	v_mov_b32_e32 v3, 0
	s_mov_b32 s11, exec_lo
	s_mov_b32 s10, exec_lo
	v_mbcnt_lo_u32_b32 v2, s11, 0
	global_load_dwordx2 v[0:1], v3, s[40:41] offset:16
	v_cmpx_eq_u32_e32 0, v2
	s_cbranch_execz .LBB9_1410
; %bb.1409:
	s_bcnt1_i32_b32 s11, s11
	v_mov_b32_e32 v2, s11
	s_waitcnt vmcnt(0)
	global_atomic_add_x2 v[0:1], v[2:3], off offset:8
.LBB9_1410:
	s_or_b32 exec_lo, exec_lo, s10
	s_waitcnt vmcnt(0)
	global_load_dwordx2 v[2:3], v[0:1], off offset:16
	s_waitcnt vmcnt(0)
	v_cmp_eq_u64_e32 vcc_lo, 0, v[2:3]
	s_cbranch_vccnz .LBB9_1412
; %bb.1411:
	global_load_dword v0, v[0:1], off offset:24
	v_mov_b32_e32 v1, 0
	s_waitcnt vmcnt(0)
	v_and_b32_e32 v4, 0x7fffff, v0
	s_waitcnt_vscnt null, 0x0
	global_store_dwordx2 v[2:3], v[0:1], off
	v_readfirstlane_b32 m0, v4
	s_sendmsg sendmsg(MSG_INTERRUPT)
.LBB9_1412:
	s_or_b32 exec_lo, exec_lo, s5
	s_branch .LBB9_1416
	.p2align	6
.LBB9_1413:                             ;   in Loop: Header=BB9_1416 Depth=1
	s_or_b32 exec_lo, exec_lo, s5
	v_readfirstlane_b32 s5, v0
	s_cmp_eq_u32 s5, 0
	s_cbranch_scc1 .LBB9_1415
; %bb.1414:                             ;   in Loop: Header=BB9_1416 Depth=1
	s_sleep 1
	s_cbranch_execnz .LBB9_1416
	s_branch .LBB9_1418
	.p2align	6
.LBB9_1415:
	s_branch .LBB9_1418
.LBB9_1416:                             ; =>This Inner Loop Header: Depth=1
	v_mov_b32_e32 v0, 1
	s_and_saveexec_b32 s5, s4
	s_cbranch_execz .LBB9_1413
; %bb.1417:                             ;   in Loop: Header=BB9_1416 Depth=1
	global_load_dword v0, v[8:9], off offset:20 glc dlc
	s_waitcnt vmcnt(0)
	buffer_gl1_inv
	buffer_gl0_inv
	v_and_b32_e32 v0, 1, v0
	s_branch .LBB9_1413
.LBB9_1418:
	global_load_dwordx2 v[0:1], v[10:11], off
	s_and_saveexec_b32 s5, s4
	s_cbranch_execz .LBB9_1422
; %bb.1419:
	v_mov_b32_e32 v8, 0
	s_clause 0x2
	global_load_dwordx2 v[4:5], v8, s[40:41] offset:40
	global_load_dwordx2 v[9:10], v8, s[40:41] offset:24 glc dlc
	global_load_dwordx2 v[6:7], v8, s[40:41]
	s_waitcnt vmcnt(2)
	v_add_co_u32 v11, vcc_lo, v4, 1
	v_add_co_ci_u32_e32 v12, vcc_lo, 0, v5, vcc_lo
	v_add_co_u32 v2, vcc_lo, v11, s6
	v_add_co_ci_u32_e32 v3, vcc_lo, s7, v12, vcc_lo
	v_cmp_eq_u64_e32 vcc_lo, 0, v[2:3]
	v_cndmask_b32_e32 v3, v3, v12, vcc_lo
	v_cndmask_b32_e32 v2, v2, v11, vcc_lo
	v_and_b32_e32 v5, v3, v5
	v_and_b32_e32 v4, v2, v4
	v_mul_lo_u32 v5, v5, 24
	v_mul_hi_u32 v11, v4, 24
	v_mul_lo_u32 v4, v4, 24
	v_add_nc_u32_e32 v5, v11, v5
	s_waitcnt vmcnt(0)
	v_add_co_u32 v6, vcc_lo, v6, v4
	v_mov_b32_e32 v4, v9
	v_add_co_ci_u32_e32 v7, vcc_lo, v7, v5, vcc_lo
	v_mov_b32_e32 v5, v10
	global_store_dwordx2 v[6:7], v[9:10], off
	s_waitcnt_vscnt null, 0x0
	global_atomic_cmpswap_x2 v[4:5], v8, v[2:5], s[40:41] offset:24 glc
	s_waitcnt vmcnt(0)
	v_cmp_ne_u64_e32 vcc_lo, v[4:5], v[9:10]
	s_and_b32 exec_lo, exec_lo, vcc_lo
	s_cbranch_execz .LBB9_1422
; %bb.1420:
	s_mov_b32 s4, 0
.LBB9_1421:                             ; =>This Inner Loop Header: Depth=1
	s_sleep 1
	global_store_dwordx2 v[6:7], v[4:5], off
	s_waitcnt_vscnt null, 0x0
	global_atomic_cmpswap_x2 v[9:10], v8, v[2:5], s[40:41] offset:24 glc
	s_waitcnt vmcnt(0)
	v_cmp_eq_u64_e32 vcc_lo, v[9:10], v[4:5]
	v_mov_b32_e32 v4, v9
	v_mov_b32_e32 v5, v10
	s_or_b32 s4, vcc_lo, s4
	s_andn2_b32 exec_lo, exec_lo, s4
	s_cbranch_execnz .LBB9_1421
.LBB9_1422:
	s_or_b32 exec_lo, exec_lo, s5
.LBB9_1423:
	s_getpc_b64 s[6:7]
	s_add_u32 s6, s6, .str.2@rel32@lo+4
	s_addc_u32 s7, s7, .str.2@rel32@hi+12
	s_cmp_lg_u64 s[6:7], 0
	s_cbranch_scc0 .LBB9_1502
; %bb.1424:
	s_waitcnt vmcnt(0)
	v_and_b32_e32 v6, -3, v0
	v_mov_b32_e32 v7, v1
	v_mov_b32_e32 v3, 0
	;; [unrolled: 1-line block ×4, first 2 shown]
	s_mov_b64 s[10:11], 13
	s_branch .LBB9_1426
.LBB9_1425:                             ;   in Loop: Header=BB9_1426 Depth=1
	s_or_b32 exec_lo, exec_lo, s5
	s_sub_u32 s10, s10, s16
	s_subb_u32 s11, s11, s17
	s_add_u32 s6, s6, s16
	s_addc_u32 s7, s7, s17
	s_cmp_lg_u64 s[10:11], 0
	s_cbranch_scc0 .LBB9_1501
.LBB9_1426:                             ; =>This Loop Header: Depth=1
                                        ;     Child Loop BB9_1435 Depth 2
                                        ;     Child Loop BB9_1431 Depth 2
	;; [unrolled: 1-line block ×11, first 2 shown]
	v_cmp_lt_u64_e64 s4, s[10:11], 56
	v_cmp_gt_u64_e64 s5, s[10:11], 7
                                        ; implicit-def: $sgpr15
	s_and_b32 s4, s4, exec_lo
	s_cselect_b32 s17, s11, 0
	s_cselect_b32 s16, s10, 56
	s_and_b32 vcc_lo, exec_lo, s5
	s_mov_b32 s4, -1
	s_cbranch_vccz .LBB9_1433
; %bb.1427:                             ;   in Loop: Header=BB9_1426 Depth=1
	s_andn2_b32 vcc_lo, exec_lo, s4
	s_mov_b64 s[4:5], s[6:7]
	s_cbranch_vccz .LBB9_1437
.LBB9_1428:                             ;   in Loop: Header=BB9_1426 Depth=1
	s_cmp_gt_u32 s15, 7
	s_cbranch_scc1 .LBB9_1438
.LBB9_1429:                             ;   in Loop: Header=BB9_1426 Depth=1
	v_mov_b32_e32 v10, 0
	v_mov_b32_e32 v11, 0
	s_cmp_eq_u32 s15, 0
	s_cbranch_scc1 .LBB9_1432
; %bb.1430:                             ;   in Loop: Header=BB9_1426 Depth=1
	s_mov_b64 s[18:19], 0
	s_mov_b64 s[20:21], 0
.LBB9_1431:                             ;   Parent Loop BB9_1426 Depth=1
                                        ; =>  This Inner Loop Header: Depth=2
	s_add_u32 s22, s4, s20
	s_addc_u32 s23, s5, s21
	s_add_u32 s20, s20, 1
	global_load_ubyte v2, v3, s[22:23]
	s_addc_u32 s21, s21, 0
	s_waitcnt vmcnt(0)
	v_and_b32_e32 v2, 0xffff, v2
	v_lshlrev_b64 v[12:13], s18, v[2:3]
	s_add_u32 s18, s18, 8
	s_addc_u32 s19, s19, 0
	s_cmp_lg_u32 s15, s20
	v_or_b32_e32 v10, v12, v10
	v_or_b32_e32 v11, v13, v11
	s_cbranch_scc1 .LBB9_1431
.LBB9_1432:                             ;   in Loop: Header=BB9_1426 Depth=1
	s_mov_b32 s22, 0
	s_cbranch_execz .LBB9_1439
	s_branch .LBB9_1440
.LBB9_1433:                             ;   in Loop: Header=BB9_1426 Depth=1
	s_waitcnt vmcnt(0)
	v_mov_b32_e32 v8, 0
	v_mov_b32_e32 v9, 0
	s_cmp_eq_u64 s[10:11], 0
	s_mov_b64 s[4:5], 0
	s_cbranch_scc1 .LBB9_1436
; %bb.1434:                             ;   in Loop: Header=BB9_1426 Depth=1
	v_mov_b32_e32 v8, 0
	v_mov_b32_e32 v9, 0
	s_lshl_b64 s[18:19], s[16:17], 3
	s_mov_b64 s[20:21], s[6:7]
.LBB9_1435:                             ;   Parent Loop BB9_1426 Depth=1
                                        ; =>  This Inner Loop Header: Depth=2
	global_load_ubyte v2, v3, s[20:21]
	s_waitcnt vmcnt(0)
	v_and_b32_e32 v2, 0xffff, v2
	v_lshlrev_b64 v[10:11], s4, v[2:3]
	s_add_u32 s4, s4, 8
	s_addc_u32 s5, s5, 0
	s_add_u32 s20, s20, 1
	s_addc_u32 s21, s21, 0
	s_cmp_lg_u32 s18, s4
	v_or_b32_e32 v8, v10, v8
	v_or_b32_e32 v9, v11, v9
	s_cbranch_scc1 .LBB9_1435
.LBB9_1436:                             ;   in Loop: Header=BB9_1426 Depth=1
	s_mov_b32 s15, 0
	s_mov_b64 s[4:5], s[6:7]
	s_cbranch_execnz .LBB9_1428
.LBB9_1437:                             ;   in Loop: Header=BB9_1426 Depth=1
	global_load_dwordx2 v[8:9], v3, s[6:7]
	s_add_i32 s15, s16, -8
	s_add_u32 s4, s6, 8
	s_addc_u32 s5, s7, 0
	s_cmp_gt_u32 s15, 7
	s_cbranch_scc0 .LBB9_1429
.LBB9_1438:                             ;   in Loop: Header=BB9_1426 Depth=1
                                        ; implicit-def: $vgpr10_vgpr11
                                        ; implicit-def: $sgpr22
.LBB9_1439:                             ;   in Loop: Header=BB9_1426 Depth=1
	global_load_dwordx2 v[10:11], v3, s[4:5]
	s_add_i32 s22, s15, -8
	s_add_u32 s4, s4, 8
	s_addc_u32 s5, s5, 0
.LBB9_1440:                             ;   in Loop: Header=BB9_1426 Depth=1
	s_cmp_gt_u32 s22, 7
	s_cbranch_scc1 .LBB9_1445
; %bb.1441:                             ;   in Loop: Header=BB9_1426 Depth=1
	v_mov_b32_e32 v12, 0
	v_mov_b32_e32 v13, 0
	s_cmp_eq_u32 s22, 0
	s_cbranch_scc1 .LBB9_1444
; %bb.1442:                             ;   in Loop: Header=BB9_1426 Depth=1
	s_mov_b64 s[18:19], 0
	s_mov_b64 s[20:21], 0
.LBB9_1443:                             ;   Parent Loop BB9_1426 Depth=1
                                        ; =>  This Inner Loop Header: Depth=2
	s_add_u32 s24, s4, s20
	s_addc_u32 s25, s5, s21
	s_add_u32 s20, s20, 1
	global_load_ubyte v2, v3, s[24:25]
	s_addc_u32 s21, s21, 0
	s_waitcnt vmcnt(0)
	v_and_b32_e32 v2, 0xffff, v2
	v_lshlrev_b64 v[14:15], s18, v[2:3]
	s_add_u32 s18, s18, 8
	s_addc_u32 s19, s19, 0
	s_cmp_lg_u32 s22, s20
	v_or_b32_e32 v12, v14, v12
	v_or_b32_e32 v13, v15, v13
	s_cbranch_scc1 .LBB9_1443
.LBB9_1444:                             ;   in Loop: Header=BB9_1426 Depth=1
	s_mov_b32 s15, 0
	s_cbranch_execz .LBB9_1446
	s_branch .LBB9_1447
.LBB9_1445:                             ;   in Loop: Header=BB9_1426 Depth=1
                                        ; implicit-def: $sgpr15
.LBB9_1446:                             ;   in Loop: Header=BB9_1426 Depth=1
	global_load_dwordx2 v[12:13], v3, s[4:5]
	s_add_i32 s15, s22, -8
	s_add_u32 s4, s4, 8
	s_addc_u32 s5, s5, 0
.LBB9_1447:                             ;   in Loop: Header=BB9_1426 Depth=1
	s_cmp_gt_u32 s15, 7
	s_cbranch_scc1 .LBB9_1452
; %bb.1448:                             ;   in Loop: Header=BB9_1426 Depth=1
	v_mov_b32_e32 v14, 0
	v_mov_b32_e32 v15, 0
	s_cmp_eq_u32 s15, 0
	s_cbranch_scc1 .LBB9_1451
; %bb.1449:                             ;   in Loop: Header=BB9_1426 Depth=1
	s_mov_b64 s[18:19], 0
	s_mov_b64 s[20:21], 0
.LBB9_1450:                             ;   Parent Loop BB9_1426 Depth=1
                                        ; =>  This Inner Loop Header: Depth=2
	s_add_u32 s22, s4, s20
	s_addc_u32 s23, s5, s21
	s_add_u32 s20, s20, 1
	global_load_ubyte v2, v3, s[22:23]
	s_addc_u32 s21, s21, 0
	s_waitcnt vmcnt(0)
	v_and_b32_e32 v2, 0xffff, v2
	v_lshlrev_b64 v[16:17], s18, v[2:3]
	s_add_u32 s18, s18, 8
	s_addc_u32 s19, s19, 0
	s_cmp_lg_u32 s15, s20
	v_or_b32_e32 v14, v16, v14
	v_or_b32_e32 v15, v17, v15
	s_cbranch_scc1 .LBB9_1450
.LBB9_1451:                             ;   in Loop: Header=BB9_1426 Depth=1
	s_mov_b32 s22, 0
	s_cbranch_execz .LBB9_1453
	s_branch .LBB9_1454
.LBB9_1452:                             ;   in Loop: Header=BB9_1426 Depth=1
                                        ; implicit-def: $vgpr14_vgpr15
                                        ; implicit-def: $sgpr22
.LBB9_1453:                             ;   in Loop: Header=BB9_1426 Depth=1
	global_load_dwordx2 v[14:15], v3, s[4:5]
	s_add_i32 s22, s15, -8
	s_add_u32 s4, s4, 8
	s_addc_u32 s5, s5, 0
.LBB9_1454:                             ;   in Loop: Header=BB9_1426 Depth=1
	s_cmp_gt_u32 s22, 7
	s_cbranch_scc1 .LBB9_1459
; %bb.1455:                             ;   in Loop: Header=BB9_1426 Depth=1
	v_mov_b32_e32 v16, 0
	v_mov_b32_e32 v17, 0
	s_cmp_eq_u32 s22, 0
	s_cbranch_scc1 .LBB9_1458
; %bb.1456:                             ;   in Loop: Header=BB9_1426 Depth=1
	s_mov_b64 s[18:19], 0
	s_mov_b64 s[20:21], 0
.LBB9_1457:                             ;   Parent Loop BB9_1426 Depth=1
                                        ; =>  This Inner Loop Header: Depth=2
	s_add_u32 s24, s4, s20
	s_addc_u32 s25, s5, s21
	s_add_u32 s20, s20, 1
	global_load_ubyte v2, v3, s[24:25]
	s_addc_u32 s21, s21, 0
	s_waitcnt vmcnt(0)
	v_and_b32_e32 v2, 0xffff, v2
	v_lshlrev_b64 v[18:19], s18, v[2:3]
	s_add_u32 s18, s18, 8
	s_addc_u32 s19, s19, 0
	s_cmp_lg_u32 s22, s20
	v_or_b32_e32 v16, v18, v16
	v_or_b32_e32 v17, v19, v17
	s_cbranch_scc1 .LBB9_1457
.LBB9_1458:                             ;   in Loop: Header=BB9_1426 Depth=1
	s_mov_b32 s15, 0
	s_cbranch_execz .LBB9_1460
	s_branch .LBB9_1461
.LBB9_1459:                             ;   in Loop: Header=BB9_1426 Depth=1
                                        ; implicit-def: $sgpr15
.LBB9_1460:                             ;   in Loop: Header=BB9_1426 Depth=1
	global_load_dwordx2 v[16:17], v3, s[4:5]
	s_add_i32 s15, s22, -8
	s_add_u32 s4, s4, 8
	s_addc_u32 s5, s5, 0
.LBB9_1461:                             ;   in Loop: Header=BB9_1426 Depth=1
	s_cmp_gt_u32 s15, 7
	s_cbranch_scc1 .LBB9_1466
; %bb.1462:                             ;   in Loop: Header=BB9_1426 Depth=1
	v_mov_b32_e32 v18, 0
	v_mov_b32_e32 v19, 0
	s_cmp_eq_u32 s15, 0
	s_cbranch_scc1 .LBB9_1465
; %bb.1463:                             ;   in Loop: Header=BB9_1426 Depth=1
	s_mov_b64 s[18:19], 0
	s_mov_b64 s[20:21], 0
.LBB9_1464:                             ;   Parent Loop BB9_1426 Depth=1
                                        ; =>  This Inner Loop Header: Depth=2
	s_add_u32 s22, s4, s20
	s_addc_u32 s23, s5, s21
	s_add_u32 s20, s20, 1
	global_load_ubyte v2, v3, s[22:23]
	s_addc_u32 s21, s21, 0
	s_waitcnt vmcnt(0)
	v_and_b32_e32 v2, 0xffff, v2
	v_lshlrev_b64 v[20:21], s18, v[2:3]
	s_add_u32 s18, s18, 8
	s_addc_u32 s19, s19, 0
	s_cmp_lg_u32 s15, s20
	v_or_b32_e32 v18, v20, v18
	v_or_b32_e32 v19, v21, v19
	s_cbranch_scc1 .LBB9_1464
.LBB9_1465:                             ;   in Loop: Header=BB9_1426 Depth=1
	s_mov_b32 s22, 0
	s_cbranch_execz .LBB9_1467
	s_branch .LBB9_1468
.LBB9_1466:                             ;   in Loop: Header=BB9_1426 Depth=1
                                        ; implicit-def: $vgpr18_vgpr19
                                        ; implicit-def: $sgpr22
.LBB9_1467:                             ;   in Loop: Header=BB9_1426 Depth=1
	global_load_dwordx2 v[18:19], v3, s[4:5]
	s_add_i32 s22, s15, -8
	s_add_u32 s4, s4, 8
	s_addc_u32 s5, s5, 0
.LBB9_1468:                             ;   in Loop: Header=BB9_1426 Depth=1
	s_cmp_gt_u32 s22, 7
	s_cbranch_scc1 .LBB9_1473
; %bb.1469:                             ;   in Loop: Header=BB9_1426 Depth=1
	v_mov_b32_e32 v20, 0
	v_mov_b32_e32 v21, 0
	s_cmp_eq_u32 s22, 0
	s_cbranch_scc1 .LBB9_1472
; %bb.1470:                             ;   in Loop: Header=BB9_1426 Depth=1
	s_mov_b64 s[18:19], 0
	s_mov_b64 s[20:21], s[4:5]
.LBB9_1471:                             ;   Parent Loop BB9_1426 Depth=1
                                        ; =>  This Inner Loop Header: Depth=2
	global_load_ubyte v2, v3, s[20:21]
	s_add_i32 s22, s22, -1
	s_waitcnt vmcnt(0)
	v_and_b32_e32 v2, 0xffff, v2
	v_lshlrev_b64 v[22:23], s18, v[2:3]
	s_add_u32 s18, s18, 8
	s_addc_u32 s19, s19, 0
	s_add_u32 s20, s20, 1
	s_addc_u32 s21, s21, 0
	s_cmp_lg_u32 s22, 0
	v_or_b32_e32 v20, v22, v20
	v_or_b32_e32 v21, v23, v21
	s_cbranch_scc1 .LBB9_1471
.LBB9_1472:                             ;   in Loop: Header=BB9_1426 Depth=1
	s_cbranch_execz .LBB9_1474
	s_branch .LBB9_1475
.LBB9_1473:                             ;   in Loop: Header=BB9_1426 Depth=1
.LBB9_1474:                             ;   in Loop: Header=BB9_1426 Depth=1
	global_load_dwordx2 v[20:21], v3, s[4:5]
.LBB9_1475:                             ;   in Loop: Header=BB9_1426 Depth=1
	v_readfirstlane_b32 s4, v69
	v_mov_b32_e32 v26, 0
	v_mov_b32_e32 v27, 0
	v_cmp_eq_u32_e64 s4, s4, v69
	s_and_saveexec_b32 s5, s4
	s_cbranch_execz .LBB9_1481
; %bb.1476:                             ;   in Loop: Header=BB9_1426 Depth=1
	global_load_dwordx2 v[24:25], v3, s[40:41] offset:24 glc dlc
	s_waitcnt vmcnt(0)
	buffer_gl1_inv
	buffer_gl0_inv
	s_clause 0x1
	global_load_dwordx2 v[22:23], v3, s[40:41] offset:40
	global_load_dwordx2 v[26:27], v3, s[40:41]
	s_mov_b32 s15, exec_lo
	s_waitcnt vmcnt(1)
	v_and_b32_e32 v2, v23, v25
	v_and_b32_e32 v22, v22, v24
	v_mul_lo_u32 v2, v2, 24
	v_mul_hi_u32 v23, v22, 24
	v_mul_lo_u32 v22, v22, 24
	v_add_nc_u32_e32 v2, v23, v2
	s_waitcnt vmcnt(0)
	v_add_co_u32 v22, vcc_lo, v26, v22
	v_add_co_ci_u32_e32 v23, vcc_lo, v27, v2, vcc_lo
	global_load_dwordx2 v[22:23], v[22:23], off glc dlc
	s_waitcnt vmcnt(0)
	global_atomic_cmpswap_x2 v[26:27], v3, v[22:25], s[40:41] offset:24 glc
	s_waitcnt vmcnt(0)
	buffer_gl1_inv
	buffer_gl0_inv
	v_cmpx_ne_u64_e64 v[26:27], v[24:25]
	s_cbranch_execz .LBB9_1480
; %bb.1477:                             ;   in Loop: Header=BB9_1426 Depth=1
	s_mov_b32 s18, 0
	.p2align	6
.LBB9_1478:                             ;   Parent Loop BB9_1426 Depth=1
                                        ; =>  This Inner Loop Header: Depth=2
	s_sleep 1
	s_clause 0x1
	global_load_dwordx2 v[22:23], v3, s[40:41] offset:40
	global_load_dwordx2 v[28:29], v3, s[40:41]
	v_mov_b32_e32 v24, v26
	v_mov_b32_e32 v25, v27
	s_waitcnt vmcnt(1)
	v_and_b32_e32 v2, v22, v24
	v_and_b32_e32 v22, v23, v25
	s_waitcnt vmcnt(0)
	v_mad_u64_u32 v[26:27], null, v2, 24, v[28:29]
	v_mov_b32_e32 v2, v27
	v_mad_u64_u32 v[22:23], null, v22, 24, v[2:3]
	v_mov_b32_e32 v27, v22
	global_load_dwordx2 v[22:23], v[26:27], off glc dlc
	s_waitcnt vmcnt(0)
	global_atomic_cmpswap_x2 v[26:27], v3, v[22:25], s[40:41] offset:24 glc
	s_waitcnt vmcnt(0)
	buffer_gl1_inv
	buffer_gl0_inv
	v_cmp_eq_u64_e32 vcc_lo, v[26:27], v[24:25]
	s_or_b32 s18, vcc_lo, s18
	s_andn2_b32 exec_lo, exec_lo, s18
	s_cbranch_execnz .LBB9_1478
; %bb.1479:                             ;   in Loop: Header=BB9_1426 Depth=1
	s_or_b32 exec_lo, exec_lo, s18
.LBB9_1480:                             ;   in Loop: Header=BB9_1426 Depth=1
	s_or_b32 exec_lo, exec_lo, s15
.LBB9_1481:                             ;   in Loop: Header=BB9_1426 Depth=1
	s_or_b32 exec_lo, exec_lo, s5
	s_clause 0x1
	global_load_dwordx2 v[28:29], v3, s[40:41] offset:40
	global_load_dwordx4 v[22:25], v3, s[40:41]
	v_readfirstlane_b32 s18, v26
	v_readfirstlane_b32 s19, v27
	s_mov_b32 s5, exec_lo
	s_waitcnt vmcnt(1)
	v_readfirstlane_b32 s20, v28
	v_readfirstlane_b32 s21, v29
	s_and_b64 s[20:21], s[18:19], s[20:21]
	s_mul_i32 s15, s21, 24
	s_mul_hi_u32 s22, s20, 24
	s_mul_i32 s23, s20, 24
	s_add_i32 s22, s22, s15
	s_waitcnt vmcnt(0)
	v_add_co_u32 v26, vcc_lo, v22, s23
	v_add_co_ci_u32_e32 v27, vcc_lo, s22, v23, vcc_lo
	s_and_saveexec_b32 s15, s4
	s_cbranch_execz .LBB9_1483
; %bb.1482:                             ;   in Loop: Header=BB9_1426 Depth=1
	v_mov_b32_e32 v2, s5
	global_store_dwordx4 v[26:27], v[2:5], off offset:8
.LBB9_1483:                             ;   in Loop: Header=BB9_1426 Depth=1
	s_or_b32 exec_lo, exec_lo, s15
	s_lshl_b64 s[20:21], s[20:21], 12
	v_or_b32_e32 v2, 2, v6
	v_add_co_u32 v24, vcc_lo, v24, s20
	v_add_co_ci_u32_e32 v25, vcc_lo, s21, v25, vcc_lo
	v_cmp_gt_u64_e64 vcc_lo, s[10:11], 56
	s_lshl_b32 s5, s16, 2
	v_readfirstlane_b32 s20, v24
	s_add_i32 s5, s5, 28
	v_readfirstlane_b32 s21, v25
	s_and_b32 s5, s5, 0x1e0
	v_cndmask_b32_e32 v2, v2, v6, vcc_lo
	v_and_or_b32 v6, 0xffffff1f, v2, s5
	global_store_dwordx4 v68, v[10:13], s[20:21] offset:16
	global_store_dwordx4 v68, v[6:9], s[20:21]
	global_store_dwordx4 v68, v[14:17], s[20:21] offset:32
	global_store_dwordx4 v68, v[18:21], s[20:21] offset:48
	s_and_saveexec_b32 s5, s4
	s_cbranch_execz .LBB9_1491
; %bb.1484:                             ;   in Loop: Header=BB9_1426 Depth=1
	s_clause 0x1
	global_load_dwordx2 v[14:15], v3, s[40:41] offset:32 glc dlc
	global_load_dwordx2 v[6:7], v3, s[40:41] offset:40
	v_mov_b32_e32 v12, s18
	v_mov_b32_e32 v13, s19
	s_waitcnt vmcnt(0)
	v_readfirstlane_b32 s20, v6
	v_readfirstlane_b32 s21, v7
	s_and_b64 s[20:21], s[20:21], s[18:19]
	s_mul_i32 s15, s21, 24
	s_mul_hi_u32 s21, s20, 24
	s_mul_i32 s20, s20, 24
	s_add_i32 s21, s21, s15
	v_add_co_u32 v10, vcc_lo, v22, s20
	v_add_co_ci_u32_e32 v11, vcc_lo, s21, v23, vcc_lo
	s_mov_b32 s15, exec_lo
	global_store_dwordx2 v[10:11], v[14:15], off
	s_waitcnt_vscnt null, 0x0
	global_atomic_cmpswap_x2 v[8:9], v3, v[12:15], s[40:41] offset:32 glc
	s_waitcnt vmcnt(0)
	v_cmpx_ne_u64_e64 v[8:9], v[14:15]
	s_cbranch_execz .LBB9_1487
; %bb.1485:                             ;   in Loop: Header=BB9_1426 Depth=1
	s_mov_b32 s20, 0
.LBB9_1486:                             ;   Parent Loop BB9_1426 Depth=1
                                        ; =>  This Inner Loop Header: Depth=2
	v_mov_b32_e32 v6, s18
	v_mov_b32_e32 v7, s19
	s_sleep 1
	global_store_dwordx2 v[10:11], v[8:9], off
	s_waitcnt_vscnt null, 0x0
	global_atomic_cmpswap_x2 v[6:7], v3, v[6:9], s[40:41] offset:32 glc
	s_waitcnt vmcnt(0)
	v_cmp_eq_u64_e32 vcc_lo, v[6:7], v[8:9]
	v_mov_b32_e32 v9, v7
	v_mov_b32_e32 v8, v6
	s_or_b32 s20, vcc_lo, s20
	s_andn2_b32 exec_lo, exec_lo, s20
	s_cbranch_execnz .LBB9_1486
.LBB9_1487:                             ;   in Loop: Header=BB9_1426 Depth=1
	s_or_b32 exec_lo, exec_lo, s15
	global_load_dwordx2 v[6:7], v3, s[40:41] offset:16
	s_mov_b32 s20, exec_lo
	s_mov_b32 s15, exec_lo
	v_mbcnt_lo_u32_b32 v2, s20, 0
	v_cmpx_eq_u32_e32 0, v2
	s_cbranch_execz .LBB9_1489
; %bb.1488:                             ;   in Loop: Header=BB9_1426 Depth=1
	s_bcnt1_i32_b32 s20, s20
	v_mov_b32_e32 v2, s20
	s_waitcnt vmcnt(0)
	global_atomic_add_x2 v[6:7], v[2:3], off offset:8
.LBB9_1489:                             ;   in Loop: Header=BB9_1426 Depth=1
	s_or_b32 exec_lo, exec_lo, s15
	s_waitcnt vmcnt(0)
	global_load_dwordx2 v[8:9], v[6:7], off offset:16
	s_waitcnt vmcnt(0)
	v_cmp_eq_u64_e32 vcc_lo, 0, v[8:9]
	s_cbranch_vccnz .LBB9_1491
; %bb.1490:                             ;   in Loop: Header=BB9_1426 Depth=1
	global_load_dword v2, v[6:7], off offset:24
	s_waitcnt vmcnt(0)
	v_and_b32_e32 v6, 0x7fffff, v2
	s_waitcnt_vscnt null, 0x0
	global_store_dwordx2 v[8:9], v[2:3], off
	v_readfirstlane_b32 m0, v6
	s_sendmsg sendmsg(MSG_INTERRUPT)
.LBB9_1491:                             ;   in Loop: Header=BB9_1426 Depth=1
	s_or_b32 exec_lo, exec_lo, s5
	v_add_co_u32 v6, vcc_lo, v24, v68
	v_add_co_ci_u32_e32 v7, vcc_lo, 0, v25, vcc_lo
	s_branch .LBB9_1495
	.p2align	6
.LBB9_1492:                             ;   in Loop: Header=BB9_1495 Depth=2
	s_or_b32 exec_lo, exec_lo, s5
	v_readfirstlane_b32 s5, v2
	s_cmp_eq_u32 s5, 0
	s_cbranch_scc1 .LBB9_1494
; %bb.1493:                             ;   in Loop: Header=BB9_1495 Depth=2
	s_sleep 1
	s_cbranch_execnz .LBB9_1495
	s_branch .LBB9_1497
	.p2align	6
.LBB9_1494:                             ;   in Loop: Header=BB9_1426 Depth=1
	s_branch .LBB9_1497
.LBB9_1495:                             ;   Parent Loop BB9_1426 Depth=1
                                        ; =>  This Inner Loop Header: Depth=2
	v_mov_b32_e32 v2, 1
	s_and_saveexec_b32 s5, s4
	s_cbranch_execz .LBB9_1492
; %bb.1496:                             ;   in Loop: Header=BB9_1495 Depth=2
	global_load_dword v2, v[26:27], off offset:20 glc dlc
	s_waitcnt vmcnt(0)
	buffer_gl1_inv
	buffer_gl0_inv
	v_and_b32_e32 v2, 1, v2
	s_branch .LBB9_1492
.LBB9_1497:                             ;   in Loop: Header=BB9_1426 Depth=1
	global_load_dwordx4 v[6:9], v[6:7], off
	s_and_saveexec_b32 s5, s4
	s_cbranch_execz .LBB9_1425
; %bb.1498:                             ;   in Loop: Header=BB9_1426 Depth=1
	s_clause 0x2
	global_load_dwordx2 v[10:11], v3, s[40:41] offset:40
	global_load_dwordx2 v[14:15], v3, s[40:41] offset:24 glc dlc
	global_load_dwordx2 v[12:13], v3, s[40:41]
	s_waitcnt vmcnt(2)
	v_add_co_u32 v2, vcc_lo, v10, 1
	v_add_co_ci_u32_e32 v16, vcc_lo, 0, v11, vcc_lo
	v_add_co_u32 v8, vcc_lo, v2, s18
	v_add_co_ci_u32_e32 v9, vcc_lo, s19, v16, vcc_lo
	v_cmp_eq_u64_e32 vcc_lo, 0, v[8:9]
	v_cndmask_b32_e32 v9, v9, v16, vcc_lo
	v_cndmask_b32_e32 v8, v8, v2, vcc_lo
	v_and_b32_e32 v2, v9, v11
	v_and_b32_e32 v10, v8, v10
	v_mul_lo_u32 v2, v2, 24
	v_mul_hi_u32 v11, v10, 24
	v_mul_lo_u32 v10, v10, 24
	v_add_nc_u32_e32 v2, v11, v2
	s_waitcnt vmcnt(0)
	v_add_co_u32 v12, vcc_lo, v12, v10
	v_mov_b32_e32 v10, v14
	v_mov_b32_e32 v11, v15
	v_add_co_ci_u32_e32 v13, vcc_lo, v13, v2, vcc_lo
	global_store_dwordx2 v[12:13], v[14:15], off
	s_waitcnt_vscnt null, 0x0
	global_atomic_cmpswap_x2 v[10:11], v3, v[8:11], s[40:41] offset:24 glc
	s_waitcnt vmcnt(0)
	v_cmp_ne_u64_e32 vcc_lo, v[10:11], v[14:15]
	s_and_b32 exec_lo, exec_lo, vcc_lo
	s_cbranch_execz .LBB9_1425
; %bb.1499:                             ;   in Loop: Header=BB9_1426 Depth=1
	s_mov_b32 s4, 0
.LBB9_1500:                             ;   Parent Loop BB9_1426 Depth=1
                                        ; =>  This Inner Loop Header: Depth=2
	s_sleep 1
	global_store_dwordx2 v[12:13], v[10:11], off
	s_waitcnt_vscnt null, 0x0
	global_atomic_cmpswap_x2 v[14:15], v3, v[8:11], s[40:41] offset:24 glc
	s_waitcnt vmcnt(0)
	v_cmp_eq_u64_e32 vcc_lo, v[14:15], v[10:11]
	v_mov_b32_e32 v10, v14
	v_mov_b32_e32 v11, v15
	s_or_b32 s4, vcc_lo, s4
	s_andn2_b32 exec_lo, exec_lo, s4
	s_cbranch_execnz .LBB9_1500
	s_branch .LBB9_1425
.LBB9_1501:
	s_mov_b32 s4, 0
	s_branch .LBB9_1503
.LBB9_1502:
	s_mov_b32 s4, -1
.LBB9_1503:
	s_mov_b32 s44, s12
	s_mov_b32 s45, s13
	;; [unrolled: 1-line block ×3, first 2 shown]
	s_and_b32 vcc_lo, exec_lo, s4
	s_cbranch_vccz .LBB9_1531
; %bb.1504:
	v_readfirstlane_b32 s4, v69
	s_waitcnt vmcnt(0)
	v_mov_b32_e32 v8, 0
	v_mov_b32_e32 v9, 0
	v_cmp_eq_u32_e64 s4, s4, v69
	s_and_saveexec_b32 s5, s4
	s_cbranch_execz .LBB9_1510
; %bb.1505:
	v_mov_b32_e32 v2, 0
	s_mov_b32 s6, exec_lo
	global_load_dwordx2 v[5:6], v2, s[40:41] offset:24 glc dlc
	s_waitcnt vmcnt(0)
	buffer_gl1_inv
	buffer_gl0_inv
	s_clause 0x1
	global_load_dwordx2 v[3:4], v2, s[40:41] offset:40
	global_load_dwordx2 v[7:8], v2, s[40:41]
	s_waitcnt vmcnt(1)
	v_and_b32_e32 v4, v4, v6
	v_and_b32_e32 v3, v3, v5
	v_mul_lo_u32 v4, v4, 24
	v_mul_hi_u32 v9, v3, 24
	v_mul_lo_u32 v3, v3, 24
	v_add_nc_u32_e32 v4, v9, v4
	s_waitcnt vmcnt(0)
	v_add_co_u32 v3, vcc_lo, v7, v3
	v_add_co_ci_u32_e32 v4, vcc_lo, v8, v4, vcc_lo
	global_load_dwordx2 v[3:4], v[3:4], off glc dlc
	s_waitcnt vmcnt(0)
	global_atomic_cmpswap_x2 v[8:9], v2, v[3:6], s[40:41] offset:24 glc
	s_waitcnt vmcnt(0)
	buffer_gl1_inv
	buffer_gl0_inv
	v_cmpx_ne_u64_e64 v[8:9], v[5:6]
	s_cbranch_execz .LBB9_1509
; %bb.1506:
	s_mov_b32 s7, 0
	.p2align	6
.LBB9_1507:                             ; =>This Inner Loop Header: Depth=1
	s_sleep 1
	s_clause 0x1
	global_load_dwordx2 v[3:4], v2, s[40:41] offset:40
	global_load_dwordx2 v[10:11], v2, s[40:41]
	v_mov_b32_e32 v5, v8
	v_mov_b32_e32 v6, v9
	s_waitcnt vmcnt(1)
	v_and_b32_e32 v3, v3, v5
	v_and_b32_e32 v4, v4, v6
	s_waitcnt vmcnt(0)
	v_mad_u64_u32 v[7:8], null, v3, 24, v[10:11]
	v_mov_b32_e32 v3, v8
	v_mad_u64_u32 v[3:4], null, v4, 24, v[3:4]
	v_mov_b32_e32 v8, v3
	global_load_dwordx2 v[3:4], v[7:8], off glc dlc
	s_waitcnt vmcnt(0)
	global_atomic_cmpswap_x2 v[8:9], v2, v[3:6], s[40:41] offset:24 glc
	s_waitcnt vmcnt(0)
	buffer_gl1_inv
	buffer_gl0_inv
	v_cmp_eq_u64_e32 vcc_lo, v[8:9], v[5:6]
	s_or_b32 s7, vcc_lo, s7
	s_andn2_b32 exec_lo, exec_lo, s7
	s_cbranch_execnz .LBB9_1507
; %bb.1508:
	s_or_b32 exec_lo, exec_lo, s7
.LBB9_1509:
	s_or_b32 exec_lo, exec_lo, s6
.LBB9_1510:
	s_or_b32 exec_lo, exec_lo, s5
	v_mov_b32_e32 v2, 0
	v_readfirstlane_b32 s6, v8
	v_readfirstlane_b32 s7, v9
	s_mov_b32 s5, exec_lo
	s_clause 0x1
	global_load_dwordx2 v[10:11], v2, s[40:41] offset:40
	global_load_dwordx4 v[4:7], v2, s[40:41]
	s_waitcnt vmcnt(1)
	v_readfirstlane_b32 s10, v10
	v_readfirstlane_b32 s11, v11
	s_and_b64 s[10:11], s[6:7], s[10:11]
	s_mul_i32 s12, s11, 24
	s_mul_hi_u32 s13, s10, 24
	s_mul_i32 s14, s10, 24
	s_add_i32 s13, s13, s12
	s_waitcnt vmcnt(0)
	v_add_co_u32 v8, vcc_lo, v4, s14
	v_add_co_ci_u32_e32 v9, vcc_lo, s13, v5, vcc_lo
	s_and_saveexec_b32 s12, s4
	s_cbranch_execz .LBB9_1512
; %bb.1511:
	v_mov_b32_e32 v10, s5
	v_mov_b32_e32 v11, v2
	;; [unrolled: 1-line block ×4, first 2 shown]
	global_store_dwordx4 v[8:9], v[10:13], off offset:8
.LBB9_1512:
	s_or_b32 exec_lo, exec_lo, s12
	s_lshl_b64 s[10:11], s[10:11], 12
	s_mov_b32 s12, 0
	v_add_co_u32 v6, vcc_lo, v6, s10
	v_add_co_ci_u32_e32 v7, vcc_lo, s11, v7, vcc_lo
	s_mov_b32 s13, s12
	s_mov_b32 s14, s12
	;; [unrolled: 1-line block ×3, first 2 shown]
	v_and_or_b32 v0, 0xffffff1d, v0, 34
	v_mov_b32_e32 v3, v2
	v_readfirstlane_b32 s10, v6
	v_readfirstlane_b32 s11, v7
	v_mov_b32_e32 v10, s12
	v_mov_b32_e32 v11, s13
	;; [unrolled: 1-line block ×4, first 2 shown]
	global_store_dwordx4 v68, v[0:3], s[10:11]
	global_store_dwordx4 v68, v[10:13], s[10:11] offset:16
	global_store_dwordx4 v68, v[10:13], s[10:11] offset:32
	;; [unrolled: 1-line block ×3, first 2 shown]
	s_and_saveexec_b32 s5, s4
	s_cbranch_execz .LBB9_1520
; %bb.1513:
	v_mov_b32_e32 v6, 0
	v_mov_b32_e32 v10, s6
	;; [unrolled: 1-line block ×3, first 2 shown]
	s_clause 0x1
	global_load_dwordx2 v[12:13], v6, s[40:41] offset:32 glc dlc
	global_load_dwordx2 v[0:1], v6, s[40:41] offset:40
	s_waitcnt vmcnt(0)
	v_readfirstlane_b32 s10, v0
	v_readfirstlane_b32 s11, v1
	s_and_b64 s[10:11], s[10:11], s[6:7]
	s_mul_i32 s11, s11, 24
	s_mul_hi_u32 s12, s10, 24
	s_mul_i32 s10, s10, 24
	s_add_i32 s12, s12, s11
	v_add_co_u32 v4, vcc_lo, v4, s10
	v_add_co_ci_u32_e32 v5, vcc_lo, s12, v5, vcc_lo
	s_mov_b32 s10, exec_lo
	global_store_dwordx2 v[4:5], v[12:13], off
	s_waitcnt_vscnt null, 0x0
	global_atomic_cmpswap_x2 v[2:3], v6, v[10:13], s[40:41] offset:32 glc
	s_waitcnt vmcnt(0)
	v_cmpx_ne_u64_e64 v[2:3], v[12:13]
	s_cbranch_execz .LBB9_1516
; %bb.1514:
	s_mov_b32 s11, 0
.LBB9_1515:                             ; =>This Inner Loop Header: Depth=1
	v_mov_b32_e32 v0, s6
	v_mov_b32_e32 v1, s7
	s_sleep 1
	global_store_dwordx2 v[4:5], v[2:3], off
	s_waitcnt_vscnt null, 0x0
	global_atomic_cmpswap_x2 v[0:1], v6, v[0:3], s[40:41] offset:32 glc
	s_waitcnt vmcnt(0)
	v_cmp_eq_u64_e32 vcc_lo, v[0:1], v[2:3]
	v_mov_b32_e32 v3, v1
	v_mov_b32_e32 v2, v0
	s_or_b32 s11, vcc_lo, s11
	s_andn2_b32 exec_lo, exec_lo, s11
	s_cbranch_execnz .LBB9_1515
.LBB9_1516:
	s_or_b32 exec_lo, exec_lo, s10
	v_mov_b32_e32 v3, 0
	s_mov_b32 s11, exec_lo
	s_mov_b32 s10, exec_lo
	v_mbcnt_lo_u32_b32 v2, s11, 0
	global_load_dwordx2 v[0:1], v3, s[40:41] offset:16
	v_cmpx_eq_u32_e32 0, v2
	s_cbranch_execz .LBB9_1518
; %bb.1517:
	s_bcnt1_i32_b32 s11, s11
	v_mov_b32_e32 v2, s11
	s_waitcnt vmcnt(0)
	global_atomic_add_x2 v[0:1], v[2:3], off offset:8
.LBB9_1518:
	s_or_b32 exec_lo, exec_lo, s10
	s_waitcnt vmcnt(0)
	global_load_dwordx2 v[2:3], v[0:1], off offset:16
	s_waitcnt vmcnt(0)
	v_cmp_eq_u64_e32 vcc_lo, 0, v[2:3]
	s_cbranch_vccnz .LBB9_1520
; %bb.1519:
	global_load_dword v0, v[0:1], off offset:24
	v_mov_b32_e32 v1, 0
	s_waitcnt vmcnt(0)
	v_and_b32_e32 v4, 0x7fffff, v0
	s_waitcnt_vscnt null, 0x0
	global_store_dwordx2 v[2:3], v[0:1], off
	v_readfirstlane_b32 m0, v4
	s_sendmsg sendmsg(MSG_INTERRUPT)
.LBB9_1520:
	s_or_b32 exec_lo, exec_lo, s5
	s_branch .LBB9_1524
	.p2align	6
.LBB9_1521:                             ;   in Loop: Header=BB9_1524 Depth=1
	s_or_b32 exec_lo, exec_lo, s5
	v_readfirstlane_b32 s5, v0
	s_cmp_eq_u32 s5, 0
	s_cbranch_scc1 .LBB9_1523
; %bb.1522:                             ;   in Loop: Header=BB9_1524 Depth=1
	s_sleep 1
	s_cbranch_execnz .LBB9_1524
	s_branch .LBB9_1526
	.p2align	6
.LBB9_1523:
	s_branch .LBB9_1526
.LBB9_1524:                             ; =>This Inner Loop Header: Depth=1
	v_mov_b32_e32 v0, 1
	s_and_saveexec_b32 s5, s4
	s_cbranch_execz .LBB9_1521
; %bb.1525:                             ;   in Loop: Header=BB9_1524 Depth=1
	global_load_dword v0, v[8:9], off offset:20 glc dlc
	s_waitcnt vmcnt(0)
	buffer_gl1_inv
	buffer_gl0_inv
	v_and_b32_e32 v0, 1, v0
	s_branch .LBB9_1521
.LBB9_1526:
	s_and_saveexec_b32 s5, s4
	s_cbranch_execz .LBB9_1530
; %bb.1527:
	v_mov_b32_e32 v6, 0
	s_clause 0x2
	global_load_dwordx2 v[2:3], v6, s[40:41] offset:40
	global_load_dwordx2 v[7:8], v6, s[40:41] offset:24 glc dlc
	global_load_dwordx2 v[4:5], v6, s[40:41]
	s_waitcnt vmcnt(2)
	v_add_co_u32 v9, vcc_lo, v2, 1
	v_add_co_ci_u32_e32 v10, vcc_lo, 0, v3, vcc_lo
	v_add_co_u32 v0, vcc_lo, v9, s6
	v_add_co_ci_u32_e32 v1, vcc_lo, s7, v10, vcc_lo
	v_cmp_eq_u64_e32 vcc_lo, 0, v[0:1]
	v_cndmask_b32_e32 v1, v1, v10, vcc_lo
	v_cndmask_b32_e32 v0, v0, v9, vcc_lo
	v_and_b32_e32 v3, v1, v3
	v_and_b32_e32 v2, v0, v2
	v_mul_lo_u32 v3, v3, 24
	v_mul_hi_u32 v9, v2, 24
	v_mul_lo_u32 v2, v2, 24
	v_add_nc_u32_e32 v3, v9, v3
	s_waitcnt vmcnt(0)
	v_add_co_u32 v4, vcc_lo, v4, v2
	v_mov_b32_e32 v2, v7
	v_add_co_ci_u32_e32 v5, vcc_lo, v5, v3, vcc_lo
	v_mov_b32_e32 v3, v8
	global_store_dwordx2 v[4:5], v[7:8], off
	s_waitcnt_vscnt null, 0x0
	global_atomic_cmpswap_x2 v[2:3], v6, v[0:3], s[40:41] offset:24 glc
	s_waitcnt vmcnt(0)
	v_cmp_ne_u64_e32 vcc_lo, v[2:3], v[7:8]
	s_and_b32 exec_lo, exec_lo, vcc_lo
	s_cbranch_execz .LBB9_1530
; %bb.1528:
	s_mov_b32 s4, 0
.LBB9_1529:                             ; =>This Inner Loop Header: Depth=1
	s_sleep 1
	global_store_dwordx2 v[4:5], v[2:3], off
	s_waitcnt_vscnt null, 0x0
	global_atomic_cmpswap_x2 v[7:8], v6, v[0:3], s[40:41] offset:24 glc
	s_waitcnt vmcnt(0)
	v_cmp_eq_u64_e32 vcc_lo, v[7:8], v[2:3]
	v_mov_b32_e32 v2, v7
	v_mov_b32_e32 v3, v8
	s_or_b32 s4, vcc_lo, s4
	s_andn2_b32 exec_lo, exec_lo, s4
	s_cbranch_execnz .LBB9_1529
.LBB9_1530:
	s_or_b32 exec_lo, exec_lo, s5
.LBB9_1531:
	s_getpc_b64 s[4:5]
	s_add_u32 s4, s4, .str@rel32@lo+4
	s_addc_u32 s5, s5, .str@rel32@hi+12
	s_waitcnt vmcnt(0)
	v_mov_b32_e32 v0, s4
	v_mov_b32_e32 v1, s5
	s_mov_b64 s[22:23], src_private_base
	s_getpc_b64 s[48:49]
	s_add_u32 s48, s48, _ZNK8migraphx13basic_printerIZNS_4coutEvEUlT_E_ElsEPKc@rel32@lo+4
	s_addc_u32 s49, s49, _ZNK8migraphx13basic_printerIZNS_4coutEvEUlT_E_ElsEPKc@rel32@hi+12
	s_mov_b64 s[38:39], s[8:9]
	s_swappc_b64 s[30:31], s[48:49]
	s_getpc_b64 s[4:5]
	s_add_u32 s4, s4, .str.3@rel32@lo+4
	s_addc_u32 s5, s5, .str.3@rel32@hi+12
	v_mov_b32_e32 v0, s4
	v_mov_b32_e32 v1, s5
	s_mov_b64 s[8:9], s[38:39]
	s_swappc_b64 s[30:31], s[48:49]
	v_lshrrev_b32_e64 v0, 5, s33
	v_mov_b32_e32 v1, s23
	s_mov_b64 s[8:9], s[38:39]
	s_getpc_b64 s[4:5]
	s_add_u32 s4, s4, _ZN8migraphx4testlsIKNS_13basic_printerIZNS_4coutEvEUlT_E_EEEERS3_S7_RKNS0_10expressionINS0_14lhs_expressionIRNS_5arrayIiLj5EEENS0_3nopEEESC_NS0_5equalEEE@rel32@lo+4
	s_addc_u32 s5, s5, _ZN8migraphx4testlsIKNS_13basic_printerIZNS_4coutEvEUlT_E_EEEERS3_S7_RKNS0_10expressionINS0_14lhs_expressionIRNS_5arrayIiLj5EEENS0_3nopEEESC_NS0_5equalEEE@rel32@hi+12
	v_add_nc_u32_e32 v0, 64, v0
	s_swappc_b64 s[30:31], s[4:5]
	s_getpc_b64 s[4:5]
	s_add_u32 s4, s4, .str.4@rel32@lo+4
	s_addc_u32 s5, s5, .str.4@rel32@hi+12
	v_mov_b32_e32 v0, s4
	v_mov_b32_e32 v1, s5
	s_mov_b64 s[8:9], s[38:39]
	s_mov_b64 s[22:23], s[38:39]
	s_swappc_b64 s[30:31], s[48:49]
	v_readfirstlane_b32 s4, v69
	v_mov_b32_e32 v6, 0
	v_mov_b32_e32 v7, 0
	v_cmp_eq_u32_e64 s4, s4, v69
	s_and_saveexec_b32 s5, s4
	s_mov_b32 s14, s46
	s_mov_b32 s13, s45
	;; [unrolled: 1-line block ×3, first 2 shown]
	s_cbranch_execz .LBB9_1537
; %bb.1532:
	v_mov_b32_e32 v0, 0
	s_mov_b32 s6, exec_lo
	global_load_dwordx2 v[3:4], v0, s[40:41] offset:24 glc dlc
	s_waitcnt vmcnt(0)
	buffer_gl1_inv
	buffer_gl0_inv
	s_clause 0x1
	global_load_dwordx2 v[1:2], v0, s[40:41] offset:40
	global_load_dwordx2 v[5:6], v0, s[40:41]
	s_waitcnt vmcnt(1)
	v_and_b32_e32 v2, v2, v4
	v_and_b32_e32 v1, v1, v3
	v_mul_lo_u32 v2, v2, 24
	v_mul_hi_u32 v7, v1, 24
	v_mul_lo_u32 v1, v1, 24
	v_add_nc_u32_e32 v2, v7, v2
	s_waitcnt vmcnt(0)
	v_add_co_u32 v1, vcc_lo, v5, v1
	v_add_co_ci_u32_e32 v2, vcc_lo, v6, v2, vcc_lo
	global_load_dwordx2 v[1:2], v[1:2], off glc dlc
	s_waitcnt vmcnt(0)
	global_atomic_cmpswap_x2 v[6:7], v0, v[1:4], s[40:41] offset:24 glc
	s_waitcnt vmcnt(0)
	buffer_gl1_inv
	buffer_gl0_inv
	v_cmpx_ne_u64_e64 v[6:7], v[3:4]
	s_cbranch_execz .LBB9_1536
; %bb.1533:
	s_mov_b32 s7, 0
	.p2align	6
.LBB9_1534:                             ; =>This Inner Loop Header: Depth=1
	s_sleep 1
	s_clause 0x1
	global_load_dwordx2 v[1:2], v0, s[40:41] offset:40
	global_load_dwordx2 v[8:9], v0, s[40:41]
	v_mov_b32_e32 v3, v6
	v_mov_b32_e32 v4, v7
	s_waitcnt vmcnt(1)
	v_and_b32_e32 v1, v1, v3
	v_and_b32_e32 v2, v2, v4
	s_waitcnt vmcnt(0)
	v_mad_u64_u32 v[5:6], null, v1, 24, v[8:9]
	v_mov_b32_e32 v1, v6
	v_mad_u64_u32 v[1:2], null, v2, 24, v[1:2]
	v_mov_b32_e32 v6, v1
	global_load_dwordx2 v[1:2], v[5:6], off glc dlc
	s_waitcnt vmcnt(0)
	global_atomic_cmpswap_x2 v[6:7], v0, v[1:4], s[40:41] offset:24 glc
	s_waitcnt vmcnt(0)
	buffer_gl1_inv
	buffer_gl0_inv
	v_cmp_eq_u64_e32 vcc_lo, v[6:7], v[3:4]
	s_or_b32 s7, vcc_lo, s7
	s_andn2_b32 exec_lo, exec_lo, s7
	s_cbranch_execnz .LBB9_1534
; %bb.1535:
	s_or_b32 exec_lo, exec_lo, s7
.LBB9_1536:
	s_or_b32 exec_lo, exec_lo, s6
.LBB9_1537:
	s_or_b32 exec_lo, exec_lo, s5
	v_mov_b32_e32 v5, 0
	v_readfirstlane_b32 s6, v6
	v_readfirstlane_b32 s7, v7
	s_mov_b32 s5, exec_lo
	s_clause 0x1
	global_load_dwordx2 v[8:9], v5, s[40:41] offset:40
	global_load_dwordx4 v[0:3], v5, s[40:41]
	s_waitcnt vmcnt(1)
	v_readfirstlane_b32 s8, v8
	v_readfirstlane_b32 s9, v9
	s_and_b64 s[8:9], s[6:7], s[8:9]
	s_mul_i32 s10, s9, 24
	s_mul_hi_u32 s11, s8, 24
	s_mul_i32 s15, s8, 24
	s_add_i32 s11, s11, s10
	s_waitcnt vmcnt(0)
	v_add_co_u32 v8, vcc_lo, v0, s15
	v_add_co_ci_u32_e32 v9, vcc_lo, s11, v1, vcc_lo
	s_and_saveexec_b32 s10, s4
	s_cbranch_execz .LBB9_1539
; %bb.1538:
	v_mov_b32_e32 v4, s5
	v_mov_b32_e32 v6, 2
	;; [unrolled: 1-line block ×3, first 2 shown]
	global_store_dwordx4 v[8:9], v[4:7], off offset:8
.LBB9_1539:
	s_or_b32 exec_lo, exec_lo, s10
	s_lshl_b64 s[8:9], s[8:9], 12
	v_mov_b32_e32 v4, 33
	v_add_co_u32 v2, vcc_lo, v2, s8
	v_add_co_ci_u32_e32 v3, vcc_lo, s9, v3, vcc_lo
	s_mov_b32 s8, 0
	v_add_co_u32 v10, vcc_lo, v2, v68
	s_mov_b32 s11, s8
	s_mov_b32 s9, s8
	;; [unrolled: 1-line block ×3, first 2 shown]
	v_mov_b32_e32 v6, v5
	v_mov_b32_e32 v7, v5
	v_readfirstlane_b32 s16, v2
	v_readfirstlane_b32 s17, v3
	v_mov_b32_e32 v15, s11
	v_add_co_ci_u32_e32 v11, vcc_lo, 0, v3, vcc_lo
	v_mov_b32_e32 v14, s10
	v_mov_b32_e32 v13, s9
	;; [unrolled: 1-line block ×3, first 2 shown]
	global_store_dwordx4 v68, v[4:7], s[16:17]
	global_store_dwordx4 v68, v[12:15], s[16:17] offset:16
	global_store_dwordx4 v68, v[12:15], s[16:17] offset:32
	;; [unrolled: 1-line block ×3, first 2 shown]
	s_and_saveexec_b32 s5, s4
	s_mov_b64 s[8:9], s[22:23]
	s_cbranch_execz .LBB9_1547
; %bb.1540:
	v_mov_b32_e32 v6, 0
	v_mov_b32_e32 v12, s6
	;; [unrolled: 1-line block ×3, first 2 shown]
	s_clause 0x1
	global_load_dwordx2 v[14:15], v6, s[40:41] offset:32 glc dlc
	global_load_dwordx2 v[2:3], v6, s[40:41] offset:40
	s_waitcnt vmcnt(0)
	v_readfirstlane_b32 s10, v2
	v_readfirstlane_b32 s11, v3
	s_and_b64 s[10:11], s[10:11], s[6:7]
	s_mul_i32 s11, s11, 24
	s_mul_hi_u32 s15, s10, 24
	s_mul_i32 s10, s10, 24
	s_add_i32 s15, s15, s11
	v_add_co_u32 v4, vcc_lo, v0, s10
	v_add_co_ci_u32_e32 v5, vcc_lo, s15, v1, vcc_lo
	s_mov_b32 s10, exec_lo
	global_store_dwordx2 v[4:5], v[14:15], off
	s_waitcnt_vscnt null, 0x0
	global_atomic_cmpswap_x2 v[2:3], v6, v[12:15], s[40:41] offset:32 glc
	s_waitcnt vmcnt(0)
	v_cmpx_ne_u64_e64 v[2:3], v[14:15]
	s_cbranch_execz .LBB9_1543
; %bb.1541:
	s_mov_b32 s11, 0
.LBB9_1542:                             ; =>This Inner Loop Header: Depth=1
	v_mov_b32_e32 v0, s6
	v_mov_b32_e32 v1, s7
	s_sleep 1
	global_store_dwordx2 v[4:5], v[2:3], off
	s_waitcnt_vscnt null, 0x0
	global_atomic_cmpswap_x2 v[0:1], v6, v[0:3], s[40:41] offset:32 glc
	s_waitcnt vmcnt(0)
	v_cmp_eq_u64_e32 vcc_lo, v[0:1], v[2:3]
	v_mov_b32_e32 v3, v1
	v_mov_b32_e32 v2, v0
	s_or_b32 s11, vcc_lo, s11
	s_andn2_b32 exec_lo, exec_lo, s11
	s_cbranch_execnz .LBB9_1542
.LBB9_1543:
	s_or_b32 exec_lo, exec_lo, s10
	v_mov_b32_e32 v3, 0
	s_mov_b32 s11, exec_lo
	s_mov_b32 s10, exec_lo
	v_mbcnt_lo_u32_b32 v2, s11, 0
	global_load_dwordx2 v[0:1], v3, s[40:41] offset:16
	v_cmpx_eq_u32_e32 0, v2
	s_cbranch_execz .LBB9_1545
; %bb.1544:
	s_bcnt1_i32_b32 s11, s11
	v_mov_b32_e32 v2, s11
	s_waitcnt vmcnt(0)
	global_atomic_add_x2 v[0:1], v[2:3], off offset:8
.LBB9_1545:
	s_or_b32 exec_lo, exec_lo, s10
	s_waitcnt vmcnt(0)
	global_load_dwordx2 v[2:3], v[0:1], off offset:16
	s_waitcnt vmcnt(0)
	v_cmp_eq_u64_e32 vcc_lo, 0, v[2:3]
	s_cbranch_vccnz .LBB9_1547
; %bb.1546:
	global_load_dword v0, v[0:1], off offset:24
	v_mov_b32_e32 v1, 0
	s_waitcnt vmcnt(0)
	v_and_b32_e32 v4, 0x7fffff, v0
	s_waitcnt_vscnt null, 0x0
	global_store_dwordx2 v[2:3], v[0:1], off
	v_readfirstlane_b32 m0, v4
	s_sendmsg sendmsg(MSG_INTERRUPT)
.LBB9_1547:
	s_or_b32 exec_lo, exec_lo, s5
	s_branch .LBB9_1551
	.p2align	6
.LBB9_1548:                             ;   in Loop: Header=BB9_1551 Depth=1
	s_or_b32 exec_lo, exec_lo, s5
	v_readfirstlane_b32 s5, v0
	s_cmp_eq_u32 s5, 0
	s_cbranch_scc1 .LBB9_1550
; %bb.1549:                             ;   in Loop: Header=BB9_1551 Depth=1
	s_sleep 1
	s_cbranch_execnz .LBB9_1551
	s_branch .LBB9_1553
	.p2align	6
.LBB9_1550:
	s_branch .LBB9_1553
.LBB9_1551:                             ; =>This Inner Loop Header: Depth=1
	v_mov_b32_e32 v0, 1
	s_and_saveexec_b32 s5, s4
	s_cbranch_execz .LBB9_1548
; %bb.1552:                             ;   in Loop: Header=BB9_1551 Depth=1
	global_load_dword v0, v[8:9], off offset:20 glc dlc
	s_waitcnt vmcnt(0)
	buffer_gl1_inv
	buffer_gl0_inv
	v_and_b32_e32 v0, 1, v0
	s_branch .LBB9_1548
.LBB9_1553:
	global_load_dwordx2 v[0:1], v[10:11], off
	s_and_saveexec_b32 s5, s4
	s_cbranch_execz .LBB9_1557
; %bb.1554:
	v_mov_b32_e32 v8, 0
	s_clause 0x2
	global_load_dwordx2 v[4:5], v8, s[40:41] offset:40
	global_load_dwordx2 v[9:10], v8, s[40:41] offset:24 glc dlc
	global_load_dwordx2 v[6:7], v8, s[40:41]
	s_waitcnt vmcnt(2)
	v_add_co_u32 v11, vcc_lo, v4, 1
	v_add_co_ci_u32_e32 v12, vcc_lo, 0, v5, vcc_lo
	v_add_co_u32 v2, vcc_lo, v11, s6
	v_add_co_ci_u32_e32 v3, vcc_lo, s7, v12, vcc_lo
	v_cmp_eq_u64_e32 vcc_lo, 0, v[2:3]
	v_cndmask_b32_e32 v3, v3, v12, vcc_lo
	v_cndmask_b32_e32 v2, v2, v11, vcc_lo
	v_and_b32_e32 v5, v3, v5
	v_and_b32_e32 v4, v2, v4
	v_mul_lo_u32 v5, v5, 24
	v_mul_hi_u32 v11, v4, 24
	v_mul_lo_u32 v4, v4, 24
	v_add_nc_u32_e32 v5, v11, v5
	s_waitcnt vmcnt(0)
	v_add_co_u32 v6, vcc_lo, v6, v4
	v_mov_b32_e32 v4, v9
	v_add_co_ci_u32_e32 v7, vcc_lo, v7, v5, vcc_lo
	v_mov_b32_e32 v5, v10
	global_store_dwordx2 v[6:7], v[9:10], off
	s_waitcnt_vscnt null, 0x0
	global_atomic_cmpswap_x2 v[4:5], v8, v[2:5], s[40:41] offset:24 glc
	s_waitcnt vmcnt(0)
	v_cmp_ne_u64_e32 vcc_lo, v[4:5], v[9:10]
	s_and_b32 exec_lo, exec_lo, vcc_lo
	s_cbranch_execz .LBB9_1557
; %bb.1555:
	s_mov_b32 s4, 0
.LBB9_1556:                             ; =>This Inner Loop Header: Depth=1
	s_sleep 1
	global_store_dwordx2 v[6:7], v[4:5], off
	s_waitcnt_vscnt null, 0x0
	global_atomic_cmpswap_x2 v[9:10], v8, v[2:5], s[40:41] offset:24 glc
	s_waitcnt vmcnt(0)
	v_cmp_eq_u64_e32 vcc_lo, v[9:10], v[4:5]
	v_mov_b32_e32 v4, v9
	v_mov_b32_e32 v5, v10
	s_or_b32 s4, vcc_lo, s4
	s_andn2_b32 exec_lo, exec_lo, s4
	s_cbranch_execnz .LBB9_1556
.LBB9_1557:
	s_or_b32 exec_lo, exec_lo, s5
	s_and_b32 vcc_lo, exec_lo, s43
	s_cbranch_vccz .LBB9_1636
; %bb.1558:
	s_waitcnt vmcnt(0)
	v_and_b32_e32 v31, 2, v0
	v_mov_b32_e32 v6, 0
	v_and_b32_e32 v2, -3, v0
	v_mov_b32_e32 v3, v1
	v_mov_b32_e32 v7, 2
	v_mov_b32_e32 v8, 1
	s_mov_b64 s[10:11], 3
	s_getpc_b64 s[6:7]
	s_add_u32 s6, s6, .str.6@rel32@lo+4
	s_addc_u32 s7, s7, .str.6@rel32@hi+12
	s_branch .LBB9_1560
.LBB9_1559:                             ;   in Loop: Header=BB9_1560 Depth=1
	s_or_b32 exec_lo, exec_lo, s5
	s_sub_u32 s10, s10, s16
	s_subb_u32 s11, s11, s17
	s_add_u32 s6, s6, s16
	s_addc_u32 s7, s7, s17
	s_cmp_lg_u64 s[10:11], 0
	s_cbranch_scc0 .LBB9_1635
.LBB9_1560:                             ; =>This Loop Header: Depth=1
                                        ;     Child Loop BB9_1569 Depth 2
                                        ;     Child Loop BB9_1565 Depth 2
                                        ;     Child Loop BB9_1577 Depth 2
                                        ;     Child Loop BB9_1584 Depth 2
                                        ;     Child Loop BB9_1591 Depth 2
                                        ;     Child Loop BB9_1598 Depth 2
                                        ;     Child Loop BB9_1605 Depth 2
                                        ;     Child Loop BB9_1612 Depth 2
                                        ;     Child Loop BB9_1620 Depth 2
                                        ;     Child Loop BB9_1629 Depth 2
                                        ;     Child Loop BB9_1634 Depth 2
	v_cmp_lt_u64_e64 s4, s[10:11], 56
	v_cmp_gt_u64_e64 s5, s[10:11], 7
                                        ; implicit-def: $vgpr11_vgpr12
                                        ; implicit-def: $sgpr15
	s_and_b32 s4, s4, exec_lo
	s_cselect_b32 s17, s11, 0
	s_cselect_b32 s16, s10, 56
	s_and_b32 vcc_lo, exec_lo, s5
	s_mov_b32 s4, -1
	s_cbranch_vccz .LBB9_1567
; %bb.1561:                             ;   in Loop: Header=BB9_1560 Depth=1
	s_andn2_b32 vcc_lo, exec_lo, s4
	s_mov_b64 s[4:5], s[6:7]
	s_cbranch_vccz .LBB9_1571
.LBB9_1562:                             ;   in Loop: Header=BB9_1560 Depth=1
	s_cmp_gt_u32 s15, 7
	s_cbranch_scc1 .LBB9_1572
.LBB9_1563:                             ;   in Loop: Header=BB9_1560 Depth=1
	v_mov_b32_e32 v13, 0
	v_mov_b32_e32 v14, 0
	s_cmp_eq_u32 s15, 0
	s_cbranch_scc1 .LBB9_1566
; %bb.1564:                             ;   in Loop: Header=BB9_1560 Depth=1
	s_mov_b64 s[18:19], 0
	s_mov_b64 s[20:21], 0
.LBB9_1565:                             ;   Parent Loop BB9_1560 Depth=1
                                        ; =>  This Inner Loop Header: Depth=2
	s_add_u32 s22, s4, s20
	s_addc_u32 s23, s5, s21
	s_add_u32 s20, s20, 1
	global_load_ubyte v4, v6, s[22:23]
	s_addc_u32 s21, s21, 0
	s_waitcnt vmcnt(0)
	v_and_b32_e32 v5, 0xffff, v4
	v_lshlrev_b64 v[4:5], s18, v[5:6]
	s_add_u32 s18, s18, 8
	s_addc_u32 s19, s19, 0
	s_cmp_lg_u32 s15, s20
	v_or_b32_e32 v13, v4, v13
	v_or_b32_e32 v14, v5, v14
	s_cbranch_scc1 .LBB9_1565
.LBB9_1566:                             ;   in Loop: Header=BB9_1560 Depth=1
	s_mov_b32 s22, 0
	s_cbranch_execz .LBB9_1573
	s_branch .LBB9_1574
.LBB9_1567:                             ;   in Loop: Header=BB9_1560 Depth=1
	v_mov_b32_e32 v11, 0
	v_mov_b32_e32 v12, 0
	s_cmp_eq_u64 s[10:11], 0
	s_mov_b64 s[4:5], 0
	s_cbranch_scc1 .LBB9_1570
; %bb.1568:                             ;   in Loop: Header=BB9_1560 Depth=1
	v_mov_b32_e32 v11, 0
	v_mov_b32_e32 v12, 0
	s_lshl_b64 s[18:19], s[16:17], 3
	s_mov_b64 s[20:21], s[6:7]
.LBB9_1569:                             ;   Parent Loop BB9_1560 Depth=1
                                        ; =>  This Inner Loop Header: Depth=2
	global_load_ubyte v4, v6, s[20:21]
	s_waitcnt vmcnt(0)
	v_and_b32_e32 v5, 0xffff, v4
	v_lshlrev_b64 v[4:5], s4, v[5:6]
	s_add_u32 s4, s4, 8
	s_addc_u32 s5, s5, 0
	s_add_u32 s20, s20, 1
	s_addc_u32 s21, s21, 0
	s_cmp_lg_u32 s18, s4
	v_or_b32_e32 v11, v4, v11
	v_or_b32_e32 v12, v5, v12
	s_cbranch_scc1 .LBB9_1569
.LBB9_1570:                             ;   in Loop: Header=BB9_1560 Depth=1
	s_mov_b32 s15, 0
	s_mov_b64 s[4:5], s[6:7]
	s_cbranch_execnz .LBB9_1562
.LBB9_1571:                             ;   in Loop: Header=BB9_1560 Depth=1
	global_load_dwordx2 v[11:12], v6, s[6:7]
	s_add_i32 s15, s16, -8
	s_add_u32 s4, s6, 8
	s_addc_u32 s5, s7, 0
	s_cmp_gt_u32 s15, 7
	s_cbranch_scc0 .LBB9_1563
.LBB9_1572:                             ;   in Loop: Header=BB9_1560 Depth=1
                                        ; implicit-def: $vgpr13_vgpr14
                                        ; implicit-def: $sgpr22
.LBB9_1573:                             ;   in Loop: Header=BB9_1560 Depth=1
	global_load_dwordx2 v[13:14], v6, s[4:5]
	s_add_i32 s22, s15, -8
	s_add_u32 s4, s4, 8
	s_addc_u32 s5, s5, 0
.LBB9_1574:                             ;   in Loop: Header=BB9_1560 Depth=1
	s_cmp_gt_u32 s22, 7
	s_cbranch_scc1 .LBB9_1579
; %bb.1575:                             ;   in Loop: Header=BB9_1560 Depth=1
	v_mov_b32_e32 v15, 0
	v_mov_b32_e32 v16, 0
	s_cmp_eq_u32 s22, 0
	s_cbranch_scc1 .LBB9_1578
; %bb.1576:                             ;   in Loop: Header=BB9_1560 Depth=1
	s_mov_b64 s[18:19], 0
	s_mov_b64 s[20:21], 0
.LBB9_1577:                             ;   Parent Loop BB9_1560 Depth=1
                                        ; =>  This Inner Loop Header: Depth=2
	s_add_u32 s24, s4, s20
	s_addc_u32 s25, s5, s21
	s_add_u32 s20, s20, 1
	global_load_ubyte v4, v6, s[24:25]
	s_addc_u32 s21, s21, 0
	s_waitcnt vmcnt(0)
	v_and_b32_e32 v5, 0xffff, v4
	v_lshlrev_b64 v[4:5], s18, v[5:6]
	s_add_u32 s18, s18, 8
	s_addc_u32 s19, s19, 0
	s_cmp_lg_u32 s22, s20
	v_or_b32_e32 v15, v4, v15
	v_or_b32_e32 v16, v5, v16
	s_cbranch_scc1 .LBB9_1577
.LBB9_1578:                             ;   in Loop: Header=BB9_1560 Depth=1
	s_mov_b32 s15, 0
	s_cbranch_execz .LBB9_1580
	s_branch .LBB9_1581
.LBB9_1579:                             ;   in Loop: Header=BB9_1560 Depth=1
                                        ; implicit-def: $sgpr15
.LBB9_1580:                             ;   in Loop: Header=BB9_1560 Depth=1
	global_load_dwordx2 v[15:16], v6, s[4:5]
	s_add_i32 s15, s22, -8
	s_add_u32 s4, s4, 8
	s_addc_u32 s5, s5, 0
.LBB9_1581:                             ;   in Loop: Header=BB9_1560 Depth=1
	s_cmp_gt_u32 s15, 7
	s_cbranch_scc1 .LBB9_1586
; %bb.1582:                             ;   in Loop: Header=BB9_1560 Depth=1
	v_mov_b32_e32 v17, 0
	v_mov_b32_e32 v18, 0
	s_cmp_eq_u32 s15, 0
	s_cbranch_scc1 .LBB9_1585
; %bb.1583:                             ;   in Loop: Header=BB9_1560 Depth=1
	s_mov_b64 s[18:19], 0
	s_mov_b64 s[20:21], 0
.LBB9_1584:                             ;   Parent Loop BB9_1560 Depth=1
                                        ; =>  This Inner Loop Header: Depth=2
	s_add_u32 s22, s4, s20
	s_addc_u32 s23, s5, s21
	s_add_u32 s20, s20, 1
	global_load_ubyte v4, v6, s[22:23]
	s_addc_u32 s21, s21, 0
	s_waitcnt vmcnt(0)
	v_and_b32_e32 v5, 0xffff, v4
	v_lshlrev_b64 v[4:5], s18, v[5:6]
	s_add_u32 s18, s18, 8
	s_addc_u32 s19, s19, 0
	s_cmp_lg_u32 s15, s20
	v_or_b32_e32 v17, v4, v17
	v_or_b32_e32 v18, v5, v18
	s_cbranch_scc1 .LBB9_1584
.LBB9_1585:                             ;   in Loop: Header=BB9_1560 Depth=1
	s_mov_b32 s22, 0
	s_cbranch_execz .LBB9_1587
	s_branch .LBB9_1588
.LBB9_1586:                             ;   in Loop: Header=BB9_1560 Depth=1
                                        ; implicit-def: $vgpr17_vgpr18
                                        ; implicit-def: $sgpr22
.LBB9_1587:                             ;   in Loop: Header=BB9_1560 Depth=1
	global_load_dwordx2 v[17:18], v6, s[4:5]
	s_add_i32 s22, s15, -8
	s_add_u32 s4, s4, 8
	s_addc_u32 s5, s5, 0
.LBB9_1588:                             ;   in Loop: Header=BB9_1560 Depth=1
	s_cmp_gt_u32 s22, 7
	s_cbranch_scc1 .LBB9_1593
; %bb.1589:                             ;   in Loop: Header=BB9_1560 Depth=1
	v_mov_b32_e32 v19, 0
	v_mov_b32_e32 v20, 0
	s_cmp_eq_u32 s22, 0
	s_cbranch_scc1 .LBB9_1592
; %bb.1590:                             ;   in Loop: Header=BB9_1560 Depth=1
	s_mov_b64 s[18:19], 0
	s_mov_b64 s[20:21], 0
.LBB9_1591:                             ;   Parent Loop BB9_1560 Depth=1
                                        ; =>  This Inner Loop Header: Depth=2
	s_add_u32 s24, s4, s20
	s_addc_u32 s25, s5, s21
	s_add_u32 s20, s20, 1
	global_load_ubyte v4, v6, s[24:25]
	s_addc_u32 s21, s21, 0
	s_waitcnt vmcnt(0)
	v_and_b32_e32 v5, 0xffff, v4
	v_lshlrev_b64 v[4:5], s18, v[5:6]
	s_add_u32 s18, s18, 8
	s_addc_u32 s19, s19, 0
	s_cmp_lg_u32 s22, s20
	v_or_b32_e32 v19, v4, v19
	v_or_b32_e32 v20, v5, v20
	s_cbranch_scc1 .LBB9_1591
.LBB9_1592:                             ;   in Loop: Header=BB9_1560 Depth=1
	s_mov_b32 s15, 0
	s_cbranch_execz .LBB9_1594
	s_branch .LBB9_1595
.LBB9_1593:                             ;   in Loop: Header=BB9_1560 Depth=1
                                        ; implicit-def: $sgpr15
.LBB9_1594:                             ;   in Loop: Header=BB9_1560 Depth=1
	global_load_dwordx2 v[19:20], v6, s[4:5]
	s_add_i32 s15, s22, -8
	s_add_u32 s4, s4, 8
	s_addc_u32 s5, s5, 0
.LBB9_1595:                             ;   in Loop: Header=BB9_1560 Depth=1
	s_cmp_gt_u32 s15, 7
	s_cbranch_scc1 .LBB9_1600
; %bb.1596:                             ;   in Loop: Header=BB9_1560 Depth=1
	v_mov_b32_e32 v21, 0
	v_mov_b32_e32 v22, 0
	s_cmp_eq_u32 s15, 0
	s_cbranch_scc1 .LBB9_1599
; %bb.1597:                             ;   in Loop: Header=BB9_1560 Depth=1
	s_mov_b64 s[18:19], 0
	s_mov_b64 s[20:21], 0
.LBB9_1598:                             ;   Parent Loop BB9_1560 Depth=1
                                        ; =>  This Inner Loop Header: Depth=2
	s_add_u32 s22, s4, s20
	s_addc_u32 s23, s5, s21
	s_add_u32 s20, s20, 1
	global_load_ubyte v4, v6, s[22:23]
	s_addc_u32 s21, s21, 0
	s_waitcnt vmcnt(0)
	v_and_b32_e32 v5, 0xffff, v4
	v_lshlrev_b64 v[4:5], s18, v[5:6]
	s_add_u32 s18, s18, 8
	s_addc_u32 s19, s19, 0
	s_cmp_lg_u32 s15, s20
	v_or_b32_e32 v21, v4, v21
	v_or_b32_e32 v22, v5, v22
	s_cbranch_scc1 .LBB9_1598
.LBB9_1599:                             ;   in Loop: Header=BB9_1560 Depth=1
	s_mov_b32 s22, 0
	s_cbranch_execz .LBB9_1601
	s_branch .LBB9_1602
.LBB9_1600:                             ;   in Loop: Header=BB9_1560 Depth=1
                                        ; implicit-def: $vgpr21_vgpr22
                                        ; implicit-def: $sgpr22
.LBB9_1601:                             ;   in Loop: Header=BB9_1560 Depth=1
	global_load_dwordx2 v[21:22], v6, s[4:5]
	s_add_i32 s22, s15, -8
	s_add_u32 s4, s4, 8
	s_addc_u32 s5, s5, 0
.LBB9_1602:                             ;   in Loop: Header=BB9_1560 Depth=1
	s_cmp_gt_u32 s22, 7
	s_cbranch_scc1 .LBB9_1607
; %bb.1603:                             ;   in Loop: Header=BB9_1560 Depth=1
	v_mov_b32_e32 v23, 0
	v_mov_b32_e32 v24, 0
	s_cmp_eq_u32 s22, 0
	s_cbranch_scc1 .LBB9_1606
; %bb.1604:                             ;   in Loop: Header=BB9_1560 Depth=1
	s_mov_b64 s[18:19], 0
	s_mov_b64 s[20:21], s[4:5]
.LBB9_1605:                             ;   Parent Loop BB9_1560 Depth=1
                                        ; =>  This Inner Loop Header: Depth=2
	global_load_ubyte v4, v6, s[20:21]
	s_add_i32 s22, s22, -1
	s_waitcnt vmcnt(0)
	v_and_b32_e32 v5, 0xffff, v4
	v_lshlrev_b64 v[4:5], s18, v[5:6]
	s_add_u32 s18, s18, 8
	s_addc_u32 s19, s19, 0
	s_add_u32 s20, s20, 1
	s_addc_u32 s21, s21, 0
	s_cmp_lg_u32 s22, 0
	v_or_b32_e32 v23, v4, v23
	v_or_b32_e32 v24, v5, v24
	s_cbranch_scc1 .LBB9_1605
.LBB9_1606:                             ;   in Loop: Header=BB9_1560 Depth=1
	s_cbranch_execz .LBB9_1608
	s_branch .LBB9_1609
.LBB9_1607:                             ;   in Loop: Header=BB9_1560 Depth=1
.LBB9_1608:                             ;   in Loop: Header=BB9_1560 Depth=1
	global_load_dwordx2 v[23:24], v6, s[4:5]
.LBB9_1609:                             ;   in Loop: Header=BB9_1560 Depth=1
	v_readfirstlane_b32 s4, v69
	s_waitcnt vmcnt(0)
	v_mov_b32_e32 v4, 0
	v_mov_b32_e32 v5, 0
	v_cmp_eq_u32_e64 s4, s4, v69
	s_and_saveexec_b32 s5, s4
	s_cbranch_execz .LBB9_1615
; %bb.1610:                             ;   in Loop: Header=BB9_1560 Depth=1
	global_load_dwordx2 v[27:28], v6, s[40:41] offset:24 glc dlc
	s_waitcnt vmcnt(0)
	buffer_gl1_inv
	buffer_gl0_inv
	s_clause 0x1
	global_load_dwordx2 v[4:5], v6, s[40:41] offset:40
	global_load_dwordx2 v[9:10], v6, s[40:41]
	s_mov_b32 s15, exec_lo
	s_waitcnt vmcnt(1)
	v_and_b32_e32 v5, v5, v28
	v_and_b32_e32 v4, v4, v27
	v_mul_lo_u32 v5, v5, 24
	v_mul_hi_u32 v25, v4, 24
	v_mul_lo_u32 v4, v4, 24
	v_add_nc_u32_e32 v5, v25, v5
	s_waitcnt vmcnt(0)
	v_add_co_u32 v4, vcc_lo, v9, v4
	v_add_co_ci_u32_e32 v5, vcc_lo, v10, v5, vcc_lo
	global_load_dwordx2 v[25:26], v[4:5], off glc dlc
	s_waitcnt vmcnt(0)
	global_atomic_cmpswap_x2 v[4:5], v6, v[25:28], s[40:41] offset:24 glc
	s_waitcnt vmcnt(0)
	buffer_gl1_inv
	buffer_gl0_inv
	v_cmpx_ne_u64_e64 v[4:5], v[27:28]
	s_cbranch_execz .LBB9_1614
; %bb.1611:                             ;   in Loop: Header=BB9_1560 Depth=1
	s_mov_b32 s18, 0
	.p2align	6
.LBB9_1612:                             ;   Parent Loop BB9_1560 Depth=1
                                        ; =>  This Inner Loop Header: Depth=2
	s_sleep 1
	s_clause 0x1
	global_load_dwordx2 v[9:10], v6, s[40:41] offset:40
	global_load_dwordx2 v[25:26], v6, s[40:41]
	v_mov_b32_e32 v28, v5
	v_mov_b32_e32 v27, v4
	s_waitcnt vmcnt(1)
	v_and_b32_e32 v4, v9, v27
	v_and_b32_e32 v9, v10, v28
	s_waitcnt vmcnt(0)
	v_mad_u64_u32 v[4:5], null, v4, 24, v[25:26]
	v_mad_u64_u32 v[9:10], null, v9, 24, v[5:6]
	v_mov_b32_e32 v5, v9
	global_load_dwordx2 v[25:26], v[4:5], off glc dlc
	s_waitcnt vmcnt(0)
	global_atomic_cmpswap_x2 v[4:5], v6, v[25:28], s[40:41] offset:24 glc
	s_waitcnt vmcnt(0)
	buffer_gl1_inv
	buffer_gl0_inv
	v_cmp_eq_u64_e32 vcc_lo, v[4:5], v[27:28]
	s_or_b32 s18, vcc_lo, s18
	s_andn2_b32 exec_lo, exec_lo, s18
	s_cbranch_execnz .LBB9_1612
; %bb.1613:                             ;   in Loop: Header=BB9_1560 Depth=1
	s_or_b32 exec_lo, exec_lo, s18
.LBB9_1614:                             ;   in Loop: Header=BB9_1560 Depth=1
	s_or_b32 exec_lo, exec_lo, s15
.LBB9_1615:                             ;   in Loop: Header=BB9_1560 Depth=1
	s_or_b32 exec_lo, exec_lo, s5
	s_clause 0x1
	global_load_dwordx2 v[9:10], v6, s[40:41] offset:40
	global_load_dwordx4 v[25:28], v6, s[40:41]
	v_readfirstlane_b32 s18, v4
	v_readfirstlane_b32 s19, v5
	s_mov_b32 s5, exec_lo
	s_waitcnt vmcnt(1)
	v_readfirstlane_b32 s20, v9
	v_readfirstlane_b32 s21, v10
	s_and_b64 s[20:21], s[18:19], s[20:21]
	s_mul_i32 s15, s21, 24
	s_mul_hi_u32 s22, s20, 24
	s_mul_i32 s23, s20, 24
	s_add_i32 s22, s22, s15
	s_waitcnt vmcnt(0)
	v_add_co_u32 v29, vcc_lo, v25, s23
	v_add_co_ci_u32_e32 v30, vcc_lo, s22, v26, vcc_lo
	s_and_saveexec_b32 s15, s4
	s_cbranch_execz .LBB9_1617
; %bb.1616:                             ;   in Loop: Header=BB9_1560 Depth=1
	v_mov_b32_e32 v5, s5
	global_store_dwordx4 v[29:30], v[5:8], off offset:8
.LBB9_1617:                             ;   in Loop: Header=BB9_1560 Depth=1
	s_or_b32 exec_lo, exec_lo, s15
	s_lshl_b64 s[20:21], s[20:21], 12
	v_cmp_gt_u64_e64 vcc_lo, s[10:11], 56
	v_or_b32_e32 v5, v2, v31
	v_add_co_u32 v27, s5, v27, s20
	v_add_co_ci_u32_e64 v28, s5, s21, v28, s5
	s_lshl_b32 s5, s16, 2
	v_or_b32_e32 v4, 0, v3
	v_cndmask_b32_e32 v2, v5, v2, vcc_lo
	s_add_i32 s5, s5, 28
	v_readfirstlane_b32 s20, v27
	s_and_b32 s5, s5, 0x1e0
	v_cndmask_b32_e32 v10, v4, v3, vcc_lo
	v_readfirstlane_b32 s21, v28
	v_and_or_b32 v9, 0xffffff1f, v2, s5
	global_store_dwordx4 v68, v[9:12], s[20:21]
	global_store_dwordx4 v68, v[13:16], s[20:21] offset:16
	global_store_dwordx4 v68, v[17:20], s[20:21] offset:32
	;; [unrolled: 1-line block ×3, first 2 shown]
	s_and_saveexec_b32 s5, s4
	s_cbranch_execz .LBB9_1625
; %bb.1618:                             ;   in Loop: Header=BB9_1560 Depth=1
	s_clause 0x1
	global_load_dwordx2 v[13:14], v6, s[40:41] offset:32 glc dlc
	global_load_dwordx2 v[2:3], v6, s[40:41] offset:40
	v_mov_b32_e32 v11, s18
	v_mov_b32_e32 v12, s19
	s_waitcnt vmcnt(0)
	v_readfirstlane_b32 s20, v2
	v_readfirstlane_b32 s21, v3
	s_and_b64 s[20:21], s[20:21], s[18:19]
	s_mul_i32 s15, s21, 24
	s_mul_hi_u32 s21, s20, 24
	s_mul_i32 s20, s20, 24
	s_add_i32 s21, s21, s15
	v_add_co_u32 v9, vcc_lo, v25, s20
	v_add_co_ci_u32_e32 v10, vcc_lo, s21, v26, vcc_lo
	s_mov_b32 s15, exec_lo
	global_store_dwordx2 v[9:10], v[13:14], off
	s_waitcnt_vscnt null, 0x0
	global_atomic_cmpswap_x2 v[4:5], v6, v[11:14], s[40:41] offset:32 glc
	s_waitcnt vmcnt(0)
	v_cmpx_ne_u64_e64 v[4:5], v[13:14]
	s_cbranch_execz .LBB9_1621
; %bb.1619:                             ;   in Loop: Header=BB9_1560 Depth=1
	s_mov_b32 s20, 0
.LBB9_1620:                             ;   Parent Loop BB9_1560 Depth=1
                                        ; =>  This Inner Loop Header: Depth=2
	v_mov_b32_e32 v2, s18
	v_mov_b32_e32 v3, s19
	s_sleep 1
	global_store_dwordx2 v[9:10], v[4:5], off
	s_waitcnt_vscnt null, 0x0
	global_atomic_cmpswap_x2 v[2:3], v6, v[2:5], s[40:41] offset:32 glc
	s_waitcnt vmcnt(0)
	v_cmp_eq_u64_e32 vcc_lo, v[2:3], v[4:5]
	v_mov_b32_e32 v5, v3
	v_mov_b32_e32 v4, v2
	s_or_b32 s20, vcc_lo, s20
	s_andn2_b32 exec_lo, exec_lo, s20
	s_cbranch_execnz .LBB9_1620
.LBB9_1621:                             ;   in Loop: Header=BB9_1560 Depth=1
	s_or_b32 exec_lo, exec_lo, s15
	global_load_dwordx2 v[2:3], v6, s[40:41] offset:16
	s_mov_b32 s20, exec_lo
	s_mov_b32 s15, exec_lo
	v_mbcnt_lo_u32_b32 v4, s20, 0
	v_cmpx_eq_u32_e32 0, v4
	s_cbranch_execz .LBB9_1623
; %bb.1622:                             ;   in Loop: Header=BB9_1560 Depth=1
	s_bcnt1_i32_b32 s20, s20
	v_mov_b32_e32 v5, s20
	s_waitcnt vmcnt(0)
	global_atomic_add_x2 v[2:3], v[5:6], off offset:8
.LBB9_1623:                             ;   in Loop: Header=BB9_1560 Depth=1
	s_or_b32 exec_lo, exec_lo, s15
	s_waitcnt vmcnt(0)
	global_load_dwordx2 v[9:10], v[2:3], off offset:16
	s_waitcnt vmcnt(0)
	v_cmp_eq_u64_e32 vcc_lo, 0, v[9:10]
	s_cbranch_vccnz .LBB9_1625
; %bb.1624:                             ;   in Loop: Header=BB9_1560 Depth=1
	global_load_dword v5, v[2:3], off offset:24
	s_waitcnt vmcnt(0)
	v_and_b32_e32 v2, 0x7fffff, v5
	s_waitcnt_vscnt null, 0x0
	global_store_dwordx2 v[9:10], v[5:6], off
	v_readfirstlane_b32 m0, v2
	s_sendmsg sendmsg(MSG_INTERRUPT)
.LBB9_1625:                             ;   in Loop: Header=BB9_1560 Depth=1
	s_or_b32 exec_lo, exec_lo, s5
	v_add_co_u32 v2, vcc_lo, v27, v68
	v_add_co_ci_u32_e32 v3, vcc_lo, 0, v28, vcc_lo
	s_branch .LBB9_1629
	.p2align	6
.LBB9_1626:                             ;   in Loop: Header=BB9_1629 Depth=2
	s_or_b32 exec_lo, exec_lo, s5
	v_readfirstlane_b32 s5, v4
	s_cmp_eq_u32 s5, 0
	s_cbranch_scc1 .LBB9_1628
; %bb.1627:                             ;   in Loop: Header=BB9_1629 Depth=2
	s_sleep 1
	s_cbranch_execnz .LBB9_1629
	s_branch .LBB9_1631
	.p2align	6
.LBB9_1628:                             ;   in Loop: Header=BB9_1560 Depth=1
	s_branch .LBB9_1631
.LBB9_1629:                             ;   Parent Loop BB9_1560 Depth=1
                                        ; =>  This Inner Loop Header: Depth=2
	v_mov_b32_e32 v4, 1
	s_and_saveexec_b32 s5, s4
	s_cbranch_execz .LBB9_1626
; %bb.1630:                             ;   in Loop: Header=BB9_1629 Depth=2
	global_load_dword v4, v[29:30], off offset:20 glc dlc
	s_waitcnt vmcnt(0)
	buffer_gl1_inv
	buffer_gl0_inv
	v_and_b32_e32 v4, 1, v4
	s_branch .LBB9_1626
.LBB9_1631:                             ;   in Loop: Header=BB9_1560 Depth=1
	global_load_dwordx4 v[2:5], v[2:3], off
	s_and_saveexec_b32 s5, s4
	s_cbranch_execz .LBB9_1559
; %bb.1632:                             ;   in Loop: Header=BB9_1560 Depth=1
	s_clause 0x2
	global_load_dwordx2 v[4:5], v6, s[40:41] offset:40
	global_load_dwordx2 v[13:14], v6, s[40:41] offset:24 glc dlc
	global_load_dwordx2 v[11:12], v6, s[40:41]
	s_waitcnt vmcnt(2)
	v_add_co_u32 v15, vcc_lo, v4, 1
	v_add_co_ci_u32_e32 v16, vcc_lo, 0, v5, vcc_lo
	v_add_co_u32 v9, vcc_lo, v15, s18
	v_add_co_ci_u32_e32 v10, vcc_lo, s19, v16, vcc_lo
	v_cmp_eq_u64_e32 vcc_lo, 0, v[9:10]
	v_cndmask_b32_e32 v10, v10, v16, vcc_lo
	v_cndmask_b32_e32 v9, v9, v15, vcc_lo
	v_and_b32_e32 v5, v10, v5
	v_and_b32_e32 v4, v9, v4
	v_mul_lo_u32 v5, v5, 24
	v_mul_hi_u32 v15, v4, 24
	v_mul_lo_u32 v4, v4, 24
	v_add_nc_u32_e32 v5, v15, v5
	s_waitcnt vmcnt(0)
	v_add_co_u32 v4, vcc_lo, v11, v4
	v_mov_b32_e32 v11, v13
	v_add_co_ci_u32_e32 v5, vcc_lo, v12, v5, vcc_lo
	v_mov_b32_e32 v12, v14
	global_store_dwordx2 v[4:5], v[13:14], off
	s_waitcnt_vscnt null, 0x0
	global_atomic_cmpswap_x2 v[11:12], v6, v[9:12], s[40:41] offset:24 glc
	s_waitcnt vmcnt(0)
	v_cmp_ne_u64_e32 vcc_lo, v[11:12], v[13:14]
	s_and_b32 exec_lo, exec_lo, vcc_lo
	s_cbranch_execz .LBB9_1559
; %bb.1633:                             ;   in Loop: Header=BB9_1560 Depth=1
	s_mov_b32 s4, 0
.LBB9_1634:                             ;   Parent Loop BB9_1560 Depth=1
                                        ; =>  This Inner Loop Header: Depth=2
	s_sleep 1
	global_store_dwordx2 v[4:5], v[11:12], off
	s_waitcnt_vscnt null, 0x0
	global_atomic_cmpswap_x2 v[13:14], v6, v[9:12], s[40:41] offset:24 glc
	s_waitcnt vmcnt(0)
	v_cmp_eq_u64_e32 vcc_lo, v[13:14], v[11:12]
	v_mov_b32_e32 v11, v13
	v_mov_b32_e32 v12, v14
	s_or_b32 s4, vcc_lo, s4
	s_andn2_b32 exec_lo, exec_lo, s4
	s_cbranch_execnz .LBB9_1634
	s_branch .LBB9_1559
.LBB9_1635:
	s_branch .LBB9_1664
.LBB9_1636:
                                        ; implicit-def: $vgpr2_vgpr3
	s_cbranch_execz .LBB9_1664
; %bb.1637:
	v_readfirstlane_b32 s4, v69
	v_mov_b32_e32 v8, 0
	v_mov_b32_e32 v9, 0
	v_cmp_eq_u32_e64 s4, s4, v69
	s_and_saveexec_b32 s5, s4
	s_cbranch_execz .LBB9_1643
; %bb.1638:
	s_waitcnt vmcnt(0)
	v_mov_b32_e32 v2, 0
	s_mov_b32 s6, exec_lo
	global_load_dwordx2 v[5:6], v2, s[40:41] offset:24 glc dlc
	s_waitcnt vmcnt(0)
	buffer_gl1_inv
	buffer_gl0_inv
	s_clause 0x1
	global_load_dwordx2 v[3:4], v2, s[40:41] offset:40
	global_load_dwordx2 v[7:8], v2, s[40:41]
	s_waitcnt vmcnt(1)
	v_and_b32_e32 v4, v4, v6
	v_and_b32_e32 v3, v3, v5
	v_mul_lo_u32 v4, v4, 24
	v_mul_hi_u32 v9, v3, 24
	v_mul_lo_u32 v3, v3, 24
	v_add_nc_u32_e32 v4, v9, v4
	s_waitcnt vmcnt(0)
	v_add_co_u32 v3, vcc_lo, v7, v3
	v_add_co_ci_u32_e32 v4, vcc_lo, v8, v4, vcc_lo
	global_load_dwordx2 v[3:4], v[3:4], off glc dlc
	s_waitcnt vmcnt(0)
	global_atomic_cmpswap_x2 v[8:9], v2, v[3:6], s[40:41] offset:24 glc
	s_waitcnt vmcnt(0)
	buffer_gl1_inv
	buffer_gl0_inv
	v_cmpx_ne_u64_e64 v[8:9], v[5:6]
	s_cbranch_execz .LBB9_1642
; %bb.1639:
	s_mov_b32 s7, 0
	.p2align	6
.LBB9_1640:                             ; =>This Inner Loop Header: Depth=1
	s_sleep 1
	s_clause 0x1
	global_load_dwordx2 v[3:4], v2, s[40:41] offset:40
	global_load_dwordx2 v[10:11], v2, s[40:41]
	v_mov_b32_e32 v5, v8
	v_mov_b32_e32 v6, v9
	s_waitcnt vmcnt(1)
	v_and_b32_e32 v3, v3, v5
	v_and_b32_e32 v4, v4, v6
	s_waitcnt vmcnt(0)
	v_mad_u64_u32 v[7:8], null, v3, 24, v[10:11]
	v_mov_b32_e32 v3, v8
	v_mad_u64_u32 v[3:4], null, v4, 24, v[3:4]
	v_mov_b32_e32 v8, v3
	global_load_dwordx2 v[3:4], v[7:8], off glc dlc
	s_waitcnt vmcnt(0)
	global_atomic_cmpswap_x2 v[8:9], v2, v[3:6], s[40:41] offset:24 glc
	s_waitcnt vmcnt(0)
	buffer_gl1_inv
	buffer_gl0_inv
	v_cmp_eq_u64_e32 vcc_lo, v[8:9], v[5:6]
	s_or_b32 s7, vcc_lo, s7
	s_andn2_b32 exec_lo, exec_lo, s7
	s_cbranch_execnz .LBB9_1640
; %bb.1641:
	s_or_b32 exec_lo, exec_lo, s7
.LBB9_1642:
	s_or_b32 exec_lo, exec_lo, s6
.LBB9_1643:
	s_or_b32 exec_lo, exec_lo, s5
	s_waitcnt vmcnt(0)
	v_mov_b32_e32 v2, 0
	v_readfirstlane_b32 s6, v8
	v_readfirstlane_b32 s7, v9
	s_mov_b32 s5, exec_lo
	s_clause 0x1
	global_load_dwordx2 v[10:11], v2, s[40:41] offset:40
	global_load_dwordx4 v[4:7], v2, s[40:41]
	s_waitcnt vmcnt(1)
	v_readfirstlane_b32 s10, v10
	v_readfirstlane_b32 s11, v11
	s_and_b64 s[10:11], s[6:7], s[10:11]
	s_mul_i32 s15, s11, 24
	s_mul_hi_u32 s16, s10, 24
	s_mul_i32 s17, s10, 24
	s_add_i32 s16, s16, s15
	s_waitcnt vmcnt(0)
	v_add_co_u32 v8, vcc_lo, v4, s17
	v_add_co_ci_u32_e32 v9, vcc_lo, s16, v5, vcc_lo
	s_and_saveexec_b32 s15, s4
	s_cbranch_execz .LBB9_1645
; %bb.1644:
	v_mov_b32_e32 v10, s5
	v_mov_b32_e32 v11, v2
	;; [unrolled: 1-line block ×4, first 2 shown]
	global_store_dwordx4 v[8:9], v[10:13], off offset:8
.LBB9_1645:
	s_or_b32 exec_lo, exec_lo, s15
	s_lshl_b64 s[10:11], s[10:11], 12
	s_mov_b32 s16, 0
	v_add_co_u32 v6, vcc_lo, v6, s10
	v_add_co_ci_u32_e32 v7, vcc_lo, s11, v7, vcc_lo
	s_mov_b32 s17, s16
	v_readfirstlane_b32 s10, v6
	v_add_co_u32 v6, vcc_lo, v6, v68
	s_mov_b32 s18, s16
	s_mov_b32 s19, s16
	v_and_or_b32 v0, 0xffffff1f, v0, 32
	v_mov_b32_e32 v3, v2
	v_readfirstlane_b32 s11, v7
	v_mov_b32_e32 v10, s16
	v_add_co_ci_u32_e32 v7, vcc_lo, 0, v7, vcc_lo
	v_mov_b32_e32 v11, s17
	v_mov_b32_e32 v12, s18
	;; [unrolled: 1-line block ×3, first 2 shown]
	global_store_dwordx4 v68, v[0:3], s[10:11]
	global_store_dwordx4 v68, v[10:13], s[10:11] offset:16
	global_store_dwordx4 v68, v[10:13], s[10:11] offset:32
	;; [unrolled: 1-line block ×3, first 2 shown]
	s_and_saveexec_b32 s5, s4
	s_cbranch_execz .LBB9_1653
; %bb.1646:
	v_mov_b32_e32 v10, 0
	v_mov_b32_e32 v11, s6
	;; [unrolled: 1-line block ×3, first 2 shown]
	s_clause 0x1
	global_load_dwordx2 v[13:14], v10, s[40:41] offset:32 glc dlc
	global_load_dwordx2 v[0:1], v10, s[40:41] offset:40
	s_waitcnt vmcnt(0)
	v_readfirstlane_b32 s10, v0
	v_readfirstlane_b32 s11, v1
	s_and_b64 s[10:11], s[10:11], s[6:7]
	s_mul_i32 s11, s11, 24
	s_mul_hi_u32 s15, s10, 24
	s_mul_i32 s10, s10, 24
	s_add_i32 s15, s15, s11
	v_add_co_u32 v4, vcc_lo, v4, s10
	v_add_co_ci_u32_e32 v5, vcc_lo, s15, v5, vcc_lo
	s_mov_b32 s10, exec_lo
	global_store_dwordx2 v[4:5], v[13:14], off
	s_waitcnt_vscnt null, 0x0
	global_atomic_cmpswap_x2 v[2:3], v10, v[11:14], s[40:41] offset:32 glc
	s_waitcnt vmcnt(0)
	v_cmpx_ne_u64_e64 v[2:3], v[13:14]
	s_cbranch_execz .LBB9_1649
; %bb.1647:
	s_mov_b32 s11, 0
.LBB9_1648:                             ; =>This Inner Loop Header: Depth=1
	v_mov_b32_e32 v0, s6
	v_mov_b32_e32 v1, s7
	s_sleep 1
	global_store_dwordx2 v[4:5], v[2:3], off
	s_waitcnt_vscnt null, 0x0
	global_atomic_cmpswap_x2 v[0:1], v10, v[0:3], s[40:41] offset:32 glc
	s_waitcnt vmcnt(0)
	v_cmp_eq_u64_e32 vcc_lo, v[0:1], v[2:3]
	v_mov_b32_e32 v3, v1
	v_mov_b32_e32 v2, v0
	s_or_b32 s11, vcc_lo, s11
	s_andn2_b32 exec_lo, exec_lo, s11
	s_cbranch_execnz .LBB9_1648
.LBB9_1649:
	s_or_b32 exec_lo, exec_lo, s10
	v_mov_b32_e32 v3, 0
	s_mov_b32 s11, exec_lo
	s_mov_b32 s10, exec_lo
	v_mbcnt_lo_u32_b32 v2, s11, 0
	global_load_dwordx2 v[0:1], v3, s[40:41] offset:16
	v_cmpx_eq_u32_e32 0, v2
	s_cbranch_execz .LBB9_1651
; %bb.1650:
	s_bcnt1_i32_b32 s11, s11
	v_mov_b32_e32 v2, s11
	s_waitcnt vmcnt(0)
	global_atomic_add_x2 v[0:1], v[2:3], off offset:8
.LBB9_1651:
	s_or_b32 exec_lo, exec_lo, s10
	s_waitcnt vmcnt(0)
	global_load_dwordx2 v[2:3], v[0:1], off offset:16
	s_waitcnt vmcnt(0)
	v_cmp_eq_u64_e32 vcc_lo, 0, v[2:3]
	s_cbranch_vccnz .LBB9_1653
; %bb.1652:
	global_load_dword v0, v[0:1], off offset:24
	v_mov_b32_e32 v1, 0
	s_waitcnt vmcnt(0)
	v_and_b32_e32 v4, 0x7fffff, v0
	s_waitcnt_vscnt null, 0x0
	global_store_dwordx2 v[2:3], v[0:1], off
	v_readfirstlane_b32 m0, v4
	s_sendmsg sendmsg(MSG_INTERRUPT)
.LBB9_1653:
	s_or_b32 exec_lo, exec_lo, s5
	s_branch .LBB9_1657
	.p2align	6
.LBB9_1654:                             ;   in Loop: Header=BB9_1657 Depth=1
	s_or_b32 exec_lo, exec_lo, s5
	v_readfirstlane_b32 s5, v0
	s_cmp_eq_u32 s5, 0
	s_cbranch_scc1 .LBB9_1656
; %bb.1655:                             ;   in Loop: Header=BB9_1657 Depth=1
	s_sleep 1
	s_cbranch_execnz .LBB9_1657
	s_branch .LBB9_1659
	.p2align	6
.LBB9_1656:
	s_branch .LBB9_1659
.LBB9_1657:                             ; =>This Inner Loop Header: Depth=1
	v_mov_b32_e32 v0, 1
	s_and_saveexec_b32 s5, s4
	s_cbranch_execz .LBB9_1654
; %bb.1658:                             ;   in Loop: Header=BB9_1657 Depth=1
	global_load_dword v0, v[8:9], off offset:20 glc dlc
	s_waitcnt vmcnt(0)
	buffer_gl1_inv
	buffer_gl0_inv
	v_and_b32_e32 v0, 1, v0
	s_branch .LBB9_1654
.LBB9_1659:
	global_load_dwordx2 v[2:3], v[6:7], off
	s_and_saveexec_b32 s5, s4
	s_cbranch_execz .LBB9_1663
; %bb.1660:
	v_mov_b32_e32 v8, 0
	s_clause 0x2
	global_load_dwordx2 v[0:1], v8, s[40:41] offset:40
	global_load_dwordx2 v[9:10], v8, s[40:41] offset:24 glc dlc
	global_load_dwordx2 v[6:7], v8, s[40:41]
	s_waitcnt vmcnt(2)
	v_add_co_u32 v11, vcc_lo, v0, 1
	v_add_co_ci_u32_e32 v12, vcc_lo, 0, v1, vcc_lo
	v_add_co_u32 v4, vcc_lo, v11, s6
	v_add_co_ci_u32_e32 v5, vcc_lo, s7, v12, vcc_lo
	v_cmp_eq_u64_e32 vcc_lo, 0, v[4:5]
	v_cndmask_b32_e32 v5, v5, v12, vcc_lo
	v_cndmask_b32_e32 v4, v4, v11, vcc_lo
	v_and_b32_e32 v1, v5, v1
	v_and_b32_e32 v0, v4, v0
	v_mul_lo_u32 v1, v1, 24
	v_mul_hi_u32 v11, v0, 24
	v_mul_lo_u32 v0, v0, 24
	v_add_nc_u32_e32 v1, v11, v1
	s_waitcnt vmcnt(0)
	v_add_co_u32 v0, vcc_lo, v6, v0
	v_mov_b32_e32 v6, v9
	v_add_co_ci_u32_e32 v1, vcc_lo, v7, v1, vcc_lo
	v_mov_b32_e32 v7, v10
	global_store_dwordx2 v[0:1], v[9:10], off
	s_waitcnt_vscnt null, 0x0
	global_atomic_cmpswap_x2 v[6:7], v8, v[4:7], s[40:41] offset:24 glc
	s_waitcnt vmcnt(0)
	v_cmp_ne_u64_e32 vcc_lo, v[6:7], v[9:10]
	s_and_b32 exec_lo, exec_lo, vcc_lo
	s_cbranch_execz .LBB9_1663
; %bb.1661:
	s_mov_b32 s4, 0
.LBB9_1662:                             ; =>This Inner Loop Header: Depth=1
	s_sleep 1
	global_store_dwordx2 v[0:1], v[6:7], off
	s_waitcnt_vscnt null, 0x0
	global_atomic_cmpswap_x2 v[9:10], v8, v[4:7], s[40:41] offset:24 glc
	s_waitcnt vmcnt(0)
	v_cmp_eq_u64_e32 vcc_lo, v[9:10], v[6:7]
	v_mov_b32_e32 v6, v9
	v_mov_b32_e32 v7, v10
	s_or_b32 s4, vcc_lo, s4
	s_andn2_b32 exec_lo, exec_lo, s4
	s_cbranch_execnz .LBB9_1662
.LBB9_1663:
	s_or_b32 exec_lo, exec_lo, s5
.LBB9_1664:
	v_readfirstlane_b32 s4, v69
	s_waitcnt vmcnt(0)
	v_mov_b32_e32 v0, 0
	v_mov_b32_e32 v1, 0
	v_cmp_eq_u32_e64 s4, s4, v69
	s_and_saveexec_b32 s5, s4
	s_cbranch_execz .LBB9_1670
; %bb.1665:
	v_mov_b32_e32 v4, 0
	s_mov_b32 s6, exec_lo
	global_load_dwordx2 v[7:8], v4, s[40:41] offset:24 glc dlc
	s_waitcnt vmcnt(0)
	buffer_gl1_inv
	buffer_gl0_inv
	s_clause 0x1
	global_load_dwordx2 v[0:1], v4, s[40:41] offset:40
	global_load_dwordx2 v[5:6], v4, s[40:41]
	s_waitcnt vmcnt(1)
	v_and_b32_e32 v1, v1, v8
	v_and_b32_e32 v0, v0, v7
	v_mul_lo_u32 v1, v1, 24
	v_mul_hi_u32 v9, v0, 24
	v_mul_lo_u32 v0, v0, 24
	v_add_nc_u32_e32 v1, v9, v1
	s_waitcnt vmcnt(0)
	v_add_co_u32 v0, vcc_lo, v5, v0
	v_add_co_ci_u32_e32 v1, vcc_lo, v6, v1, vcc_lo
	global_load_dwordx2 v[5:6], v[0:1], off glc dlc
	s_waitcnt vmcnt(0)
	global_atomic_cmpswap_x2 v[0:1], v4, v[5:8], s[40:41] offset:24 glc
	s_waitcnt vmcnt(0)
	buffer_gl1_inv
	buffer_gl0_inv
	v_cmpx_ne_u64_e64 v[0:1], v[7:8]
	s_cbranch_execz .LBB9_1669
; %bb.1666:
	s_mov_b32 s7, 0
	.p2align	6
.LBB9_1667:                             ; =>This Inner Loop Header: Depth=1
	s_sleep 1
	s_clause 0x1
	global_load_dwordx2 v[5:6], v4, s[40:41] offset:40
	global_load_dwordx2 v[9:10], v4, s[40:41]
	v_mov_b32_e32 v8, v1
	v_mov_b32_e32 v7, v0
	s_waitcnt vmcnt(1)
	v_and_b32_e32 v0, v5, v7
	v_and_b32_e32 v5, v6, v8
	s_waitcnt vmcnt(0)
	v_mad_u64_u32 v[0:1], null, v0, 24, v[9:10]
	v_mad_u64_u32 v[5:6], null, v5, 24, v[1:2]
	v_mov_b32_e32 v1, v5
	global_load_dwordx2 v[5:6], v[0:1], off glc dlc
	s_waitcnt vmcnt(0)
	global_atomic_cmpswap_x2 v[0:1], v4, v[5:8], s[40:41] offset:24 glc
	s_waitcnt vmcnt(0)
	buffer_gl1_inv
	buffer_gl0_inv
	v_cmp_eq_u64_e32 vcc_lo, v[0:1], v[7:8]
	s_or_b32 s7, vcc_lo, s7
	s_andn2_b32 exec_lo, exec_lo, s7
	s_cbranch_execnz .LBB9_1667
; %bb.1668:
	s_or_b32 exec_lo, exec_lo, s7
.LBB9_1669:
	s_or_b32 exec_lo, exec_lo, s6
.LBB9_1670:
	s_or_b32 exec_lo, exec_lo, s5
	v_mov_b32_e32 v5, 0
	v_readfirstlane_b32 s6, v0
	v_readfirstlane_b32 s7, v1
	s_mov_b32 s5, exec_lo
	s_clause 0x1
	global_load_dwordx2 v[10:11], v5, s[40:41] offset:40
	global_load_dwordx4 v[6:9], v5, s[40:41]
	s_waitcnt vmcnt(1)
	v_readfirstlane_b32 s10, v10
	v_readfirstlane_b32 s11, v11
	s_and_b64 s[10:11], s[6:7], s[10:11]
	s_mul_i32 s15, s11, 24
	s_mul_hi_u32 s16, s10, 24
	s_mul_i32 s17, s10, 24
	s_add_i32 s16, s16, s15
	s_waitcnt vmcnt(0)
	v_add_co_u32 v10, vcc_lo, v6, s17
	v_add_co_ci_u32_e32 v11, vcc_lo, s16, v7, vcc_lo
	s_and_saveexec_b32 s15, s4
	s_cbranch_execz .LBB9_1672
; %bb.1671:
	v_mov_b32_e32 v4, s5
	v_mov_b32_e32 v13, v5
	;; [unrolled: 1-line block ×5, first 2 shown]
	global_store_dwordx4 v[10:11], v[12:15], off offset:8
.LBB9_1672:
	s_or_b32 exec_lo, exec_lo, s15
	s_lshl_b64 s[10:11], s[10:11], 12
	s_mov_b32 s16, 0
	v_add_co_u32 v0, vcc_lo, v8, s10
	v_add_co_ci_u32_e32 v1, vcc_lo, s11, v9, vcc_lo
	s_mov_b32 s17, s16
	s_mov_b32 s18, s16
	;; [unrolled: 1-line block ×3, first 2 shown]
	v_and_or_b32 v2, 0xffffff1d, v2, 34
	v_mov_b32_e32 v4, 10
	v_readfirstlane_b32 s10, v0
	v_readfirstlane_b32 s11, v1
	v_mov_b32_e32 v12, s16
	v_mov_b32_e32 v13, s17
	;; [unrolled: 1-line block ×4, first 2 shown]
	global_store_dwordx4 v68, v[2:5], s[10:11]
	global_store_dwordx4 v68, v[12:15], s[10:11] offset:16
	global_store_dwordx4 v68, v[12:15], s[10:11] offset:32
	;; [unrolled: 1-line block ×3, first 2 shown]
	s_and_saveexec_b32 s5, s4
	s_cbranch_execz .LBB9_1680
; %bb.1673:
	v_mov_b32_e32 v8, 0
	v_mov_b32_e32 v12, s6
	;; [unrolled: 1-line block ×3, first 2 shown]
	s_clause 0x1
	global_load_dwordx2 v[14:15], v8, s[40:41] offset:32 glc dlc
	global_load_dwordx2 v[0:1], v8, s[40:41] offset:40
	s_waitcnt vmcnt(0)
	v_readfirstlane_b32 s10, v0
	v_readfirstlane_b32 s11, v1
	s_and_b64 s[10:11], s[10:11], s[6:7]
	s_mul_i32 s11, s11, 24
	s_mul_hi_u32 s15, s10, 24
	s_mul_i32 s10, s10, 24
	s_add_i32 s15, s15, s11
	v_add_co_u32 v4, vcc_lo, v6, s10
	v_add_co_ci_u32_e32 v5, vcc_lo, s15, v7, vcc_lo
	s_mov_b32 s10, exec_lo
	global_store_dwordx2 v[4:5], v[14:15], off
	s_waitcnt_vscnt null, 0x0
	global_atomic_cmpswap_x2 v[2:3], v8, v[12:15], s[40:41] offset:32 glc
	s_waitcnt vmcnt(0)
	v_cmpx_ne_u64_e64 v[2:3], v[14:15]
	s_cbranch_execz .LBB9_1676
; %bb.1674:
	s_mov_b32 s11, 0
.LBB9_1675:                             ; =>This Inner Loop Header: Depth=1
	v_mov_b32_e32 v0, s6
	v_mov_b32_e32 v1, s7
	s_sleep 1
	global_store_dwordx2 v[4:5], v[2:3], off
	s_waitcnt_vscnt null, 0x0
	global_atomic_cmpswap_x2 v[0:1], v8, v[0:3], s[40:41] offset:32 glc
	s_waitcnt vmcnt(0)
	v_cmp_eq_u64_e32 vcc_lo, v[0:1], v[2:3]
	v_mov_b32_e32 v3, v1
	v_mov_b32_e32 v2, v0
	s_or_b32 s11, vcc_lo, s11
	s_andn2_b32 exec_lo, exec_lo, s11
	s_cbranch_execnz .LBB9_1675
.LBB9_1676:
	s_or_b32 exec_lo, exec_lo, s10
	v_mov_b32_e32 v3, 0
	s_mov_b32 s11, exec_lo
	s_mov_b32 s10, exec_lo
	v_mbcnt_lo_u32_b32 v2, s11, 0
	global_load_dwordx2 v[0:1], v3, s[40:41] offset:16
	v_cmpx_eq_u32_e32 0, v2
	s_cbranch_execz .LBB9_1678
; %bb.1677:
	s_bcnt1_i32_b32 s11, s11
	v_mov_b32_e32 v2, s11
	s_waitcnt vmcnt(0)
	global_atomic_add_x2 v[0:1], v[2:3], off offset:8
.LBB9_1678:
	s_or_b32 exec_lo, exec_lo, s10
	s_waitcnt vmcnt(0)
	global_load_dwordx2 v[2:3], v[0:1], off offset:16
	s_waitcnt vmcnt(0)
	v_cmp_eq_u64_e32 vcc_lo, 0, v[2:3]
	s_cbranch_vccnz .LBB9_1680
; %bb.1679:
	global_load_dword v0, v[0:1], off offset:24
	v_mov_b32_e32 v1, 0
	s_waitcnt vmcnt(0)
	v_and_b32_e32 v4, 0x7fffff, v0
	s_waitcnt_vscnt null, 0x0
	global_store_dwordx2 v[2:3], v[0:1], off
	v_readfirstlane_b32 m0, v4
	s_sendmsg sendmsg(MSG_INTERRUPT)
.LBB9_1680:
	s_or_b32 exec_lo, exec_lo, s5
	s_branch .LBB9_1684
	.p2align	6
.LBB9_1681:                             ;   in Loop: Header=BB9_1684 Depth=1
	s_or_b32 exec_lo, exec_lo, s5
	v_readfirstlane_b32 s5, v0
	s_cmp_eq_u32 s5, 0
	s_cbranch_scc1 .LBB9_1683
; %bb.1682:                             ;   in Loop: Header=BB9_1684 Depth=1
	s_sleep 1
	s_cbranch_execnz .LBB9_1684
	s_branch .LBB9_1686
	.p2align	6
.LBB9_1683:
	s_branch .LBB9_1686
.LBB9_1684:                             ; =>This Inner Loop Header: Depth=1
	v_mov_b32_e32 v0, 1
	s_and_saveexec_b32 s5, s4
	s_cbranch_execz .LBB9_1681
; %bb.1685:                             ;   in Loop: Header=BB9_1684 Depth=1
	global_load_dword v0, v[10:11], off offset:20 glc dlc
	s_waitcnt vmcnt(0)
	buffer_gl1_inv
	buffer_gl0_inv
	v_and_b32_e32 v0, 1, v0
	s_branch .LBB9_1681
.LBB9_1686:
	s_and_saveexec_b32 s5, s4
	s_cbranch_execz .LBB9_1690
; %bb.1687:
	v_mov_b32_e32 v6, 0
	s_clause 0x2
	global_load_dwordx2 v[2:3], v6, s[40:41] offset:40
	global_load_dwordx2 v[7:8], v6, s[40:41] offset:24 glc dlc
	global_load_dwordx2 v[4:5], v6, s[40:41]
	s_waitcnt vmcnt(2)
	v_add_co_u32 v9, vcc_lo, v2, 1
	v_add_co_ci_u32_e32 v10, vcc_lo, 0, v3, vcc_lo
	v_add_co_u32 v0, vcc_lo, v9, s6
	v_add_co_ci_u32_e32 v1, vcc_lo, s7, v10, vcc_lo
	v_cmp_eq_u64_e32 vcc_lo, 0, v[0:1]
	v_cndmask_b32_e32 v1, v1, v10, vcc_lo
	v_cndmask_b32_e32 v0, v0, v9, vcc_lo
	v_and_b32_e32 v3, v1, v3
	v_and_b32_e32 v2, v0, v2
	v_mul_lo_u32 v3, v3, 24
	v_mul_hi_u32 v9, v2, 24
	v_mul_lo_u32 v2, v2, 24
	v_add_nc_u32_e32 v3, v9, v3
	s_waitcnt vmcnt(0)
	v_add_co_u32 v4, vcc_lo, v4, v2
	v_mov_b32_e32 v2, v7
	v_add_co_ci_u32_e32 v5, vcc_lo, v5, v3, vcc_lo
	v_mov_b32_e32 v3, v8
	global_store_dwordx2 v[4:5], v[7:8], off
	s_waitcnt_vscnt null, 0x0
	global_atomic_cmpswap_x2 v[2:3], v6, v[0:3], s[40:41] offset:24 glc
	s_waitcnt vmcnt(0)
	v_cmp_ne_u64_e32 vcc_lo, v[2:3], v[7:8]
	s_and_b32 exec_lo, exec_lo, vcc_lo
	s_cbranch_execz .LBB9_1690
; %bb.1688:
	s_mov_b32 s4, 0
.LBB9_1689:                             ; =>This Inner Loop Header: Depth=1
	s_sleep 1
	global_store_dwordx2 v[4:5], v[2:3], off
	s_waitcnt_vscnt null, 0x0
	global_atomic_cmpswap_x2 v[7:8], v6, v[0:3], s[40:41] offset:24 glc
	s_waitcnt vmcnt(0)
	v_cmp_eq_u64_e32 vcc_lo, v[7:8], v[2:3]
	v_mov_b32_e32 v2, v7
	v_mov_b32_e32 v3, v8
	s_or_b32 s4, vcc_lo, s4
	s_andn2_b32 exec_lo, exec_lo, s4
	s_cbranch_execnz .LBB9_1689
.LBB9_1690:
	s_or_b32 exec_lo, exec_lo, s5
	flat_load_dwordx2 v[0:1], v[66:67]
	s_waitcnt vmcnt(0) lgkmcnt(0)
	flat_load_dword v2, v[0:1]
	s_waitcnt vmcnt(0) lgkmcnt(0)
	v_add_nc_u32_e32 v2, 1, v2
	flat_store_dword v[0:1], v2
.LBB9_1691:
	s_or_b32 exec_lo, exec_lo, s42
	s_getpc_b64 s[4:5]
	s_add_u32 s4, s4, _ZN8migraphx4test4failEv@rel32@lo+4
	s_addc_u32 s5, s5, _ZN8migraphx4test4failEv@rel32@hi+12
	s_swappc_b64 s[30:31], s[4:5]
	; divergent unreachable
.LBB9_1692:
	s_andn2_saveexec_b32 s4, s37
	s_or_b32 exec_lo, exec_lo, s4
	v_readlane_b32 s30, v41, 0
	v_readlane_b32 s31, v41, 1
	;; [unrolled: 1-line block ×3, first 2 shown]
	s_or_saveexec_b32 s5, -1
	buffer_load_dword v41, off, s[0:3], s33 offset:80 ; 4-byte Folded Reload
	s_mov_b32 exec_lo, s5
	s_addk_i32 s32, 0xf400
	s_mov_b32 s33, s4
	s_waitcnt vmcnt(0)
	s_setpc_b64 s[30:31]
.Lfunc_end9:
	.size	_ZL24merge_all_equal_elementsRN8migraphx4test12test_managerE, .Lfunc_end9-_ZL24merge_all_equal_elementsRN8migraphx4test12test_managerE
                                        ; -- End function
	.section	.AMDGPU.csdata,"",@progbits
; Function info:
; codeLenInByte = 61248
; NumSgprs: 52
; NumVgprs: 70
; ScratchSize: 112
; MemoryBound: 0
	.text
	.p2align	2                               ; -- Begin function _ZN8migraphx4testlsIKNS_13basic_printerIZNS_4coutEvEUlT_E_EEEERS3_S7_RKNS0_10expressionINS0_14lhs_expressionIRNS_5arrayIiLj2EEENS0_3nopEEESC_NS0_5equalEEE
	.type	_ZN8migraphx4testlsIKNS_13basic_printerIZNS_4coutEvEUlT_E_EEEERS3_S7_RKNS0_10expressionINS0_14lhs_expressionIRNS_5arrayIiLj2EEENS0_3nopEEESC_NS0_5equalEEE,@function
_ZN8migraphx4testlsIKNS_13basic_printerIZNS_4coutEvEUlT_E_EEEERS3_S7_RKNS0_10expressionINS0_14lhs_expressionIRNS_5arrayIiLj2EEENS0_3nopEEESC_NS0_5equalEEE: ; @_ZN8migraphx4testlsIKNS_13basic_printerIZNS_4coutEvEUlT_E_EEEERS3_S7_RKNS0_10expressionINS0_14lhs_expressionIRNS_5arrayIiLj2EEENS0_3nopEEESC_NS0_5equalEEE
; %bb.0:
	s_waitcnt vmcnt(0) expcnt(0) lgkmcnt(0)
	s_mov_b32 s4, s33
	s_mov_b32 s33, s32
	s_or_saveexec_b32 s5, -1
	buffer_store_dword v40, off, s[0:3], s33 ; 4-byte Folded Spill
	s_mov_b32 exec_lo, s5
	v_writelane_b32 v40, s4, 2
	v_writelane_b32 v40, s30, 0
	s_addk_i32 s32, 0x200
	v_writelane_b32 v40, s31, 1
	v_mov_b32_e32 v37, v1
	v_mov_b32_e32 v36, v0
	v_mbcnt_lo_u32_b32 v65, -1, 0
	v_mov_b32_e32 v49, 0
	s_getpc_b64 s[4:5]
	s_add_u32 s4, s4, .str.7@rel32@lo+4
	s_addc_u32 s5, s5, .str.7@rel32@hi+12
	v_mov_b32_e32 v50, 2
	flat_load_dwordx2 v[38:39], v[36:37]
	v_mov_b32_e32 v51, 1
	v_lshlrev_b32_e32 v64, 6, v65
	v_mov_b32_e32 v52, 33
	v_mov_b32_e32 v53, v49
	;; [unrolled: 1-line block ×4, first 2 shown]
	s_cmp_lg_u64 s[4:5], 0
	s_mov_b32 s24, 0
	s_mov_b64 s[22:23], s[8:9]
	s_mov_b64 s[34:35], 0
	s_mov_b32 s37, -1
	s_cselect_b32 s36, -1, 0
	s_mov_b32 s25, s24
	s_mov_b32 s26, s24
	s_mov_b32 s27, s24
	s_mov_b32 s4, s24
	s_branch .LBB10_2
.LBB10_1:                               ;   in Loop: Header=BB10_2 Depth=1
	s_or_b32 exec_lo, exec_lo, s5
	s_mov_b64 s[34:35], 1
	s_mov_b32 s37, 0
	s_andn2_b32 vcc_lo, exec_lo, s16
	s_mov_b32 s4, -1
	s_cbranch_vccz .LBB10_163
.LBB10_2:                               ; =>This Loop Header: Depth=1
                                        ;     Child Loop BB10_7 Depth 2
                                        ;     Child Loop BB10_15 Depth 2
	;; [unrolled: 1-line block ×9, first 2 shown]
                                        ;       Child Loop BB10_36 Depth 3
                                        ;       Child Loop BB10_43 Depth 3
	;; [unrolled: 1-line block ×11, first 2 shown]
                                        ;     Child Loop BB10_140 Depth 2
                                        ;     Child Loop BB10_148 Depth 2
	;; [unrolled: 1-line block ×4, first 2 shown]
	s_andn2_b32 vcc_lo, exec_lo, s4
	s_cbranch_vccnz .LBB10_4
; %bb.3:                                ;   in Loop: Header=BB10_2 Depth=1
	s_getpc_b64 s[4:5]
	s_add_u32 s4, s4, .str.11@rel32@lo+4
	s_addc_u32 s5, s5, .str.11@rel32@hi+12
	v_mov_b32_e32 v0, s4
	v_mov_b32_e32 v1, s5
	s_mov_b64 s[8:9], s[22:23]
	s_getpc_b64 s[6:7]
	s_add_u32 s6, s6, _ZNK8migraphx13basic_printerIZNS_4coutEvEUlT_E_ElsEPKc@rel32@lo+4
	s_addc_u32 s7, s7, _ZNK8migraphx13basic_printerIZNS_4coutEvEUlT_E_ElsEPKc@rel32@hi+12
	s_swappc_b64 s[30:31], s[6:7]
.LBB10_4:                               ;   in Loop: Header=BB10_2 Depth=1
	s_lshl_b64 s[4:5], s[34:35], 2
	s_load_dwordx2 s[28:29], s[22:23], 0x50
	s_waitcnt vmcnt(0) lgkmcnt(0)
	v_add_co_u32 v0, vcc_lo, v38, s4
	v_add_co_ci_u32_e32 v1, vcc_lo, s5, v39, vcc_lo
	v_readfirstlane_b32 s4, v65
	v_mov_b32_e32 v4, 0
	v_mov_b32_e32 v5, 0
	flat_load_dword v24, v[0:1]
	v_cmp_eq_u32_e64 s4, s4, v65
	s_and_saveexec_b32 s5, s4
	s_cbranch_execz .LBB10_10
; %bb.5:                                ;   in Loop: Header=BB10_2 Depth=1
	global_load_dwordx2 v[2:3], v49, s[28:29] offset:24 glc dlc
	s_waitcnt vmcnt(0)
	buffer_gl1_inv
	buffer_gl0_inv
	s_clause 0x1
	global_load_dwordx2 v[0:1], v49, s[28:29] offset:40
	global_load_dwordx2 v[4:5], v49, s[28:29]
	s_mov_b32 s6, exec_lo
	s_waitcnt vmcnt(1)
	v_and_b32_e32 v1, v1, v3
	v_and_b32_e32 v0, v0, v2
	v_mul_lo_u32 v1, v1, 24
	v_mul_hi_u32 v6, v0, 24
	v_mul_lo_u32 v0, v0, 24
	v_add_nc_u32_e32 v1, v6, v1
	s_waitcnt vmcnt(0)
	v_add_co_u32 v0, vcc_lo, v4, v0
	v_add_co_ci_u32_e32 v1, vcc_lo, v5, v1, vcc_lo
	global_load_dwordx2 v[0:1], v[0:1], off glc dlc
	s_waitcnt vmcnt(0)
	global_atomic_cmpswap_x2 v[4:5], v49, v[0:3], s[28:29] offset:24 glc
	s_waitcnt vmcnt(0)
	buffer_gl1_inv
	buffer_gl0_inv
	v_cmpx_ne_u64_e64 v[4:5], v[2:3]
	s_cbranch_execz .LBB10_9
; %bb.6:                                ;   in Loop: Header=BB10_2 Depth=1
	s_mov_b32 s7, 0
	.p2align	6
.LBB10_7:                               ;   Parent Loop BB10_2 Depth=1
                                        ; =>  This Inner Loop Header: Depth=2
	s_sleep 1
	s_clause 0x1
	global_load_dwordx2 v[0:1], v49, s[28:29] offset:40
	global_load_dwordx2 v[6:7], v49, s[28:29]
	v_mov_b32_e32 v2, v4
	v_mov_b32_e32 v3, v5
	s_waitcnt vmcnt(1)
	v_and_b32_e32 v0, v0, v2
	v_and_b32_e32 v1, v1, v3
	s_waitcnt vmcnt(0)
	v_mad_u64_u32 v[4:5], null, v0, 24, v[6:7]
	v_mov_b32_e32 v0, v5
	v_mad_u64_u32 v[0:1], null, v1, 24, v[0:1]
	v_mov_b32_e32 v5, v0
	global_load_dwordx2 v[0:1], v[4:5], off glc dlc
	s_waitcnt vmcnt(0)
	global_atomic_cmpswap_x2 v[4:5], v49, v[0:3], s[28:29] offset:24 glc
	s_waitcnt vmcnt(0)
	buffer_gl1_inv
	buffer_gl0_inv
	v_cmp_eq_u64_e32 vcc_lo, v[4:5], v[2:3]
	s_or_b32 s7, vcc_lo, s7
	s_andn2_b32 exec_lo, exec_lo, s7
	s_cbranch_execnz .LBB10_7
; %bb.8:                                ;   in Loop: Header=BB10_2 Depth=1
	s_or_b32 exec_lo, exec_lo, s7
.LBB10_9:                               ;   in Loop: Header=BB10_2 Depth=1
	s_or_b32 exec_lo, exec_lo, s6
.LBB10_10:                              ;   in Loop: Header=BB10_2 Depth=1
	s_or_b32 exec_lo, exec_lo, s5
	s_clause 0x1
	global_load_dwordx2 v[6:7], v49, s[28:29] offset:40
	global_load_dwordx4 v[0:3], v49, s[28:29]
	v_readfirstlane_b32 s6, v4
	v_readfirstlane_b32 s7, v5
	s_mov_b32 s5, exec_lo
	s_waitcnt vmcnt(1)
	v_readfirstlane_b32 s8, v6
	v_readfirstlane_b32 s9, v7
	s_and_b64 s[8:9], s[6:7], s[8:9]
	s_mul_i32 s10, s9, 24
	s_mul_hi_u32 s11, s8, 24
	s_mul_i32 s12, s8, 24
	s_add_i32 s11, s11, s10
	s_waitcnt vmcnt(0)
	v_add_co_u32 v4, vcc_lo, v0, s12
	v_add_co_ci_u32_e32 v5, vcc_lo, s11, v1, vcc_lo
	s_and_saveexec_b32 s10, s4
	s_cbranch_execz .LBB10_12
; %bb.11:                               ;   in Loop: Header=BB10_2 Depth=1
	v_mov_b32_e32 v48, s5
	global_store_dwordx4 v[4:5], v[48:51], off offset:8
.LBB10_12:                              ;   in Loop: Header=BB10_2 Depth=1
	s_or_b32 exec_lo, exec_lo, s10
	s_lshl_b64 s[8:9], s[8:9], 12
	v_mov_b32_e32 v10, s24
	v_add_co_u32 v8, vcc_lo, v2, s8
	v_add_co_ci_u32_e32 v9, vcc_lo, s9, v3, vcc_lo
	v_mov_b32_e32 v11, s25
	v_readfirstlane_b32 s8, v8
	v_mov_b32_e32 v12, s26
	v_readfirstlane_b32 s9, v9
	v_mov_b32_e32 v13, s27
	global_store_dwordx4 v64, v[52:55], s[8:9]
	global_store_dwordx4 v64, v[10:13], s[8:9] offset:16
	global_store_dwordx4 v64, v[10:13], s[8:9] offset:32
	global_store_dwordx4 v64, v[10:13], s[8:9] offset:48
	s_and_saveexec_b32 s5, s4
	s_cbranch_execz .LBB10_20
; %bb.13:                               ;   in Loop: Header=BB10_2 Depth=1
	s_clause 0x1
	global_load_dwordx2 v[12:13], v49, s[28:29] offset:32 glc dlc
	global_load_dwordx2 v[2:3], v49, s[28:29] offset:40
	v_mov_b32_e32 v10, s6
	v_mov_b32_e32 v11, s7
	s_mov_b32 s8, exec_lo
	s_waitcnt vmcnt(0)
	v_and_b32_e32 v3, s7, v3
	v_and_b32_e32 v2, s6, v2
	v_mul_lo_u32 v3, v3, 24
	v_mul_hi_u32 v6, v2, 24
	v_mul_lo_u32 v2, v2, 24
	v_add_nc_u32_e32 v3, v6, v3
	v_add_co_u32 v6, vcc_lo, v0, v2
	v_add_co_ci_u32_e32 v7, vcc_lo, v1, v3, vcc_lo
	global_store_dwordx2 v[6:7], v[12:13], off
	s_waitcnt_vscnt null, 0x0
	global_atomic_cmpswap_x2 v[2:3], v49, v[10:13], s[28:29] offset:32 glc
	s_waitcnt vmcnt(0)
	v_cmpx_ne_u64_e64 v[2:3], v[12:13]
	s_cbranch_execz .LBB10_16
; %bb.14:                               ;   in Loop: Header=BB10_2 Depth=1
	s_mov_b32 s9, 0
.LBB10_15:                              ;   Parent Loop BB10_2 Depth=1
                                        ; =>  This Inner Loop Header: Depth=2
	v_mov_b32_e32 v0, s6
	v_mov_b32_e32 v1, s7
	s_sleep 1
	global_store_dwordx2 v[6:7], v[2:3], off
	s_waitcnt_vscnt null, 0x0
	global_atomic_cmpswap_x2 v[0:1], v49, v[0:3], s[28:29] offset:32 glc
	s_waitcnt vmcnt(0)
	v_cmp_eq_u64_e32 vcc_lo, v[0:1], v[2:3]
	v_mov_b32_e32 v3, v1
	v_mov_b32_e32 v2, v0
	s_or_b32 s9, vcc_lo, s9
	s_andn2_b32 exec_lo, exec_lo, s9
	s_cbranch_execnz .LBB10_15
.LBB10_16:                              ;   in Loop: Header=BB10_2 Depth=1
	s_or_b32 exec_lo, exec_lo, s8
	global_load_dwordx2 v[0:1], v49, s[28:29] offset:16
	s_mov_b32 s9, exec_lo
	s_mov_b32 s8, exec_lo
	v_mbcnt_lo_u32_b32 v2, s9, 0
	v_cmpx_eq_u32_e32 0, v2
	s_cbranch_execz .LBB10_18
; %bb.17:                               ;   in Loop: Header=BB10_2 Depth=1
	s_bcnt1_i32_b32 s9, s9
	v_mov_b32_e32 v48, s9
	s_waitcnt vmcnt(0)
	global_atomic_add_x2 v[0:1], v[48:49], off offset:8
.LBB10_18:                              ;   in Loop: Header=BB10_2 Depth=1
	s_or_b32 exec_lo, exec_lo, s8
	s_waitcnt vmcnt(0)
	global_load_dwordx2 v[2:3], v[0:1], off offset:16
	s_waitcnt vmcnt(0)
	v_cmp_eq_u64_e32 vcc_lo, 0, v[2:3]
	s_cbranch_vccnz .LBB10_20
; %bb.19:                               ;   in Loop: Header=BB10_2 Depth=1
	global_load_dword v48, v[0:1], off offset:24
	s_waitcnt vmcnt(0)
	v_and_b32_e32 v0, 0x7fffff, v48
	s_waitcnt_vscnt null, 0x0
	global_store_dwordx2 v[2:3], v[48:49], off
	v_readfirstlane_b32 m0, v0
	s_sendmsg sendmsg(MSG_INTERRUPT)
.LBB10_20:                              ;   in Loop: Header=BB10_2 Depth=1
	s_or_b32 exec_lo, exec_lo, s5
	v_add_co_u32 v0, vcc_lo, v8, v64
	v_add_co_ci_u32_e32 v1, vcc_lo, 0, v9, vcc_lo
	s_xor_b32 s16, s37, -1
	s_branch .LBB10_24
	.p2align	6
.LBB10_21:                              ;   in Loop: Header=BB10_24 Depth=2
	s_or_b32 exec_lo, exec_lo, s5
	v_readfirstlane_b32 s5, v2
	s_cmp_eq_u32 s5, 0
	s_cbranch_scc1 .LBB10_23
; %bb.22:                               ;   in Loop: Header=BB10_24 Depth=2
	s_sleep 1
	s_cbranch_execnz .LBB10_24
	s_branch .LBB10_26
	.p2align	6
.LBB10_23:                              ;   in Loop: Header=BB10_2 Depth=1
	s_branch .LBB10_26
.LBB10_24:                              ;   Parent Loop BB10_2 Depth=1
                                        ; =>  This Inner Loop Header: Depth=2
	v_mov_b32_e32 v2, 1
	s_and_saveexec_b32 s5, s4
	s_cbranch_execz .LBB10_21
; %bb.25:                               ;   in Loop: Header=BB10_24 Depth=2
	global_load_dword v2, v[4:5], off offset:20 glc dlc
	s_waitcnt vmcnt(0)
	buffer_gl1_inv
	buffer_gl0_inv
	v_and_b32_e32 v2, 1, v2
	s_branch .LBB10_21
.LBB10_26:                              ;   in Loop: Header=BB10_2 Depth=1
	global_load_dwordx2 v[0:1], v[0:1], off
	s_and_saveexec_b32 s5, s4
	s_cbranch_execz .LBB10_30
; %bb.27:                               ;   in Loop: Header=BB10_2 Depth=1
	s_clause 0x2
	global_load_dwordx2 v[4:5], v49, s[28:29] offset:40
	global_load_dwordx2 v[8:9], v49, s[28:29] offset:24 glc dlc
	global_load_dwordx2 v[6:7], v49, s[28:29]
	s_waitcnt vmcnt(2)
	v_add_co_u32 v10, vcc_lo, v4, 1
	v_add_co_ci_u32_e32 v11, vcc_lo, 0, v5, vcc_lo
	v_add_co_u32 v2, vcc_lo, v10, s6
	v_add_co_ci_u32_e32 v3, vcc_lo, s7, v11, vcc_lo
	v_cmp_eq_u64_e32 vcc_lo, 0, v[2:3]
	v_cndmask_b32_e32 v3, v3, v11, vcc_lo
	v_cndmask_b32_e32 v2, v2, v10, vcc_lo
	v_and_b32_e32 v5, v3, v5
	v_and_b32_e32 v4, v2, v4
	v_mul_lo_u32 v5, v5, 24
	v_mul_hi_u32 v10, v4, 24
	v_mul_lo_u32 v4, v4, 24
	v_add_nc_u32_e32 v5, v10, v5
	s_waitcnt vmcnt(0)
	v_add_co_u32 v6, vcc_lo, v6, v4
	v_mov_b32_e32 v4, v8
	v_add_co_ci_u32_e32 v7, vcc_lo, v7, v5, vcc_lo
	v_mov_b32_e32 v5, v9
	global_store_dwordx2 v[6:7], v[8:9], off
	s_waitcnt_vscnt null, 0x0
	global_atomic_cmpswap_x2 v[4:5], v49, v[2:5], s[28:29] offset:24 glc
	s_waitcnt vmcnt(0)
	v_cmp_ne_u64_e32 vcc_lo, v[4:5], v[8:9]
	s_and_b32 exec_lo, exec_lo, vcc_lo
	s_cbranch_execz .LBB10_30
; %bb.28:                               ;   in Loop: Header=BB10_2 Depth=1
	s_mov_b32 s4, 0
.LBB10_29:                              ;   Parent Loop BB10_2 Depth=1
                                        ; =>  This Inner Loop Header: Depth=2
	s_sleep 1
	global_store_dwordx2 v[6:7], v[4:5], off
	s_waitcnt_vscnt null, 0x0
	global_atomic_cmpswap_x2 v[8:9], v49, v[2:5], s[28:29] offset:24 glc
	s_waitcnt vmcnt(0)
	v_cmp_eq_u64_e32 vcc_lo, v[8:9], v[4:5]
	v_mov_b32_e32 v4, v8
	v_mov_b32_e32 v5, v9
	s_or_b32 s4, vcc_lo, s4
	s_andn2_b32 exec_lo, exec_lo, s4
	s_cbranch_execnz .LBB10_29
.LBB10_30:                              ;   in Loop: Header=BB10_2 Depth=1
	s_or_b32 exec_lo, exec_lo, s5
	s_and_b32 vcc_lo, exec_lo, s36
	s_cbranch_vccz .LBB10_109
; %bb.31:                               ;   in Loop: Header=BB10_2 Depth=1
	s_waitcnt vmcnt(0)
	v_and_b32_e32 v25, 2, v0
	v_and_b32_e32 v2, -3, v0
	v_mov_b32_e32 v3, v1
	s_mov_b64 s[8:9], 4
	s_getpc_b64 s[6:7]
	s_add_u32 s6, s6, .str.7@rel32@lo+4
	s_addc_u32 s7, s7, .str.7@rel32@hi+12
	s_branch .LBB10_33
.LBB10_32:                              ;   in Loop: Header=BB10_33 Depth=2
	s_or_b32 exec_lo, exec_lo, s5
	s_sub_u32 s8, s8, s10
	s_subb_u32 s9, s9, s11
	s_add_u32 s6, s6, s10
	s_addc_u32 s7, s7, s11
	s_cmp_lg_u64 s[8:9], 0
	s_cbranch_scc0 .LBB10_108
.LBB10_33:                              ;   Parent Loop BB10_2 Depth=1
                                        ; =>  This Loop Header: Depth=2
                                        ;       Child Loop BB10_36 Depth 3
                                        ;       Child Loop BB10_43 Depth 3
	;; [unrolled: 1-line block ×11, first 2 shown]
	v_cmp_lt_u64_e64 s4, s[8:9], 56
	v_cmp_gt_u64_e64 s5, s[8:9], 7
	s_and_b32 s4, s4, exec_lo
	s_cselect_b32 s11, s9, 0
	s_cselect_b32 s10, s8, 56
	s_and_b32 vcc_lo, exec_lo, s5
	s_cbranch_vccnz .LBB10_38
; %bb.34:                               ;   in Loop: Header=BB10_33 Depth=2
	s_waitcnt vmcnt(0)
	v_mov_b32_e32 v4, 0
	v_mov_b32_e32 v5, 0
	s_cmp_eq_u64 s[8:9], 0
	s_mov_b64 s[4:5], 0
	s_cbranch_scc1 .LBB10_37
; %bb.35:                               ;   in Loop: Header=BB10_33 Depth=2
	v_mov_b32_e32 v4, 0
	v_mov_b32_e32 v5, 0
	s_lshl_b64 s[12:13], s[10:11], 3
	s_mov_b64 s[14:15], s[6:7]
.LBB10_36:                              ;   Parent Loop BB10_2 Depth=1
                                        ;     Parent Loop BB10_33 Depth=2
                                        ; =>    This Inner Loop Header: Depth=3
	global_load_ubyte v6, v49, s[14:15]
	s_waitcnt vmcnt(0)
	v_and_b32_e32 v48, 0xffff, v6
	v_lshlrev_b64 v[6:7], s4, v[48:49]
	s_add_u32 s4, s4, 8
	s_addc_u32 s5, s5, 0
	s_add_u32 s14, s14, 1
	s_addc_u32 s15, s15, 0
	s_cmp_lg_u32 s12, s4
	v_or_b32_e32 v4, v6, v4
	v_or_b32_e32 v5, v7, v5
	s_cbranch_scc1 .LBB10_36
.LBB10_37:                              ;   in Loop: Header=BB10_33 Depth=2
	s_mov_b32 s17, 0
	s_mov_b64 s[4:5], s[6:7]
	s_cbranch_execz .LBB10_39
	s_branch .LBB10_40
.LBB10_38:                              ;   in Loop: Header=BB10_33 Depth=2
                                        ; implicit-def: $vgpr4_vgpr5
                                        ; implicit-def: $sgpr17
	s_mov_b64 s[4:5], s[6:7]
.LBB10_39:                              ;   in Loop: Header=BB10_33 Depth=2
	global_load_dwordx2 v[4:5], v49, s[6:7]
	s_add_i32 s17, s10, -8
	s_add_u32 s4, s6, 8
	s_addc_u32 s5, s7, 0
.LBB10_40:                              ;   in Loop: Header=BB10_33 Depth=2
	s_cmp_gt_u32 s17, 7
	s_cbranch_scc1 .LBB10_45
; %bb.41:                               ;   in Loop: Header=BB10_33 Depth=2
	v_mov_b32_e32 v6, 0
	v_mov_b32_e32 v7, 0
	s_cmp_eq_u32 s17, 0
	s_cbranch_scc1 .LBB10_44
; %bb.42:                               ;   in Loop: Header=BB10_33 Depth=2
	s_mov_b64 s[12:13], 0
	s_mov_b64 s[14:15], 0
.LBB10_43:                              ;   Parent Loop BB10_2 Depth=1
                                        ;     Parent Loop BB10_33 Depth=2
                                        ; =>    This Inner Loop Header: Depth=3
	s_add_u32 s18, s4, s14
	s_addc_u32 s19, s5, s15
	s_add_u32 s14, s14, 1
	global_load_ubyte v8, v49, s[18:19]
	s_addc_u32 s15, s15, 0
	s_waitcnt vmcnt(0)
	v_and_b32_e32 v48, 0xffff, v8
	v_lshlrev_b64 v[8:9], s12, v[48:49]
	s_add_u32 s12, s12, 8
	s_addc_u32 s13, s13, 0
	s_cmp_lg_u32 s17, s14
	v_or_b32_e32 v6, v8, v6
	v_or_b32_e32 v7, v9, v7
	s_cbranch_scc1 .LBB10_43
.LBB10_44:                              ;   in Loop: Header=BB10_33 Depth=2
	s_mov_b32 s18, 0
	s_cbranch_execz .LBB10_46
	s_branch .LBB10_47
.LBB10_45:                              ;   in Loop: Header=BB10_33 Depth=2
                                        ; implicit-def: $vgpr6_vgpr7
                                        ; implicit-def: $sgpr18
.LBB10_46:                              ;   in Loop: Header=BB10_33 Depth=2
	global_load_dwordx2 v[6:7], v49, s[4:5]
	s_add_i32 s18, s17, -8
	s_add_u32 s4, s4, 8
	s_addc_u32 s5, s5, 0
.LBB10_47:                              ;   in Loop: Header=BB10_33 Depth=2
	s_cmp_gt_u32 s18, 7
	s_cbranch_scc1 .LBB10_52
; %bb.48:                               ;   in Loop: Header=BB10_33 Depth=2
	v_mov_b32_e32 v8, 0
	v_mov_b32_e32 v9, 0
	s_cmp_eq_u32 s18, 0
	s_cbranch_scc1 .LBB10_51
; %bb.49:                               ;   in Loop: Header=BB10_33 Depth=2
	s_mov_b64 s[12:13], 0
	s_mov_b64 s[14:15], 0
.LBB10_50:                              ;   Parent Loop BB10_2 Depth=1
                                        ;     Parent Loop BB10_33 Depth=2
                                        ; =>    This Inner Loop Header: Depth=3
	s_add_u32 s20, s4, s14
	s_addc_u32 s21, s5, s15
	s_add_u32 s14, s14, 1
	global_load_ubyte v10, v49, s[20:21]
	s_addc_u32 s15, s15, 0
	s_waitcnt vmcnt(0)
	v_and_b32_e32 v48, 0xffff, v10
	v_lshlrev_b64 v[10:11], s12, v[48:49]
	s_add_u32 s12, s12, 8
	s_addc_u32 s13, s13, 0
	s_cmp_lg_u32 s18, s14
	v_or_b32_e32 v8, v10, v8
	v_or_b32_e32 v9, v11, v9
	s_cbranch_scc1 .LBB10_50
.LBB10_51:                              ;   in Loop: Header=BB10_33 Depth=2
	s_mov_b32 s17, 0
	s_cbranch_execz .LBB10_53
	s_branch .LBB10_54
.LBB10_52:                              ;   in Loop: Header=BB10_33 Depth=2
                                        ; implicit-def: $sgpr17
.LBB10_53:                              ;   in Loop: Header=BB10_33 Depth=2
	global_load_dwordx2 v[8:9], v49, s[4:5]
	s_add_i32 s17, s18, -8
	s_add_u32 s4, s4, 8
	s_addc_u32 s5, s5, 0
.LBB10_54:                              ;   in Loop: Header=BB10_33 Depth=2
	s_cmp_gt_u32 s17, 7
	s_cbranch_scc1 .LBB10_59
; %bb.55:                               ;   in Loop: Header=BB10_33 Depth=2
	v_mov_b32_e32 v10, 0
	v_mov_b32_e32 v11, 0
	s_cmp_eq_u32 s17, 0
	s_cbranch_scc1 .LBB10_58
; %bb.56:                               ;   in Loop: Header=BB10_33 Depth=2
	s_mov_b64 s[12:13], 0
	s_mov_b64 s[14:15], 0
.LBB10_57:                              ;   Parent Loop BB10_2 Depth=1
                                        ;     Parent Loop BB10_33 Depth=2
                                        ; =>    This Inner Loop Header: Depth=3
	s_add_u32 s18, s4, s14
	s_addc_u32 s19, s5, s15
	s_add_u32 s14, s14, 1
	global_load_ubyte v12, v49, s[18:19]
	s_addc_u32 s15, s15, 0
	s_waitcnt vmcnt(0)
	v_and_b32_e32 v48, 0xffff, v12
	v_lshlrev_b64 v[12:13], s12, v[48:49]
	s_add_u32 s12, s12, 8
	s_addc_u32 s13, s13, 0
	s_cmp_lg_u32 s17, s14
	v_or_b32_e32 v10, v12, v10
	v_or_b32_e32 v11, v13, v11
	s_cbranch_scc1 .LBB10_57
.LBB10_58:                              ;   in Loop: Header=BB10_33 Depth=2
	s_mov_b32 s18, 0
	s_cbranch_execz .LBB10_60
	s_branch .LBB10_61
.LBB10_59:                              ;   in Loop: Header=BB10_33 Depth=2
                                        ; implicit-def: $vgpr10_vgpr11
                                        ; implicit-def: $sgpr18
.LBB10_60:                              ;   in Loop: Header=BB10_33 Depth=2
	global_load_dwordx2 v[10:11], v49, s[4:5]
	s_add_i32 s18, s17, -8
	s_add_u32 s4, s4, 8
	s_addc_u32 s5, s5, 0
.LBB10_61:                              ;   in Loop: Header=BB10_33 Depth=2
	s_cmp_gt_u32 s18, 7
	s_cbranch_scc1 .LBB10_66
; %bb.62:                               ;   in Loop: Header=BB10_33 Depth=2
	v_mov_b32_e32 v12, 0
	v_mov_b32_e32 v13, 0
	s_cmp_eq_u32 s18, 0
	s_cbranch_scc1 .LBB10_65
; %bb.63:                               ;   in Loop: Header=BB10_33 Depth=2
	s_mov_b64 s[12:13], 0
	s_mov_b64 s[14:15], 0
.LBB10_64:                              ;   Parent Loop BB10_2 Depth=1
                                        ;     Parent Loop BB10_33 Depth=2
                                        ; =>    This Inner Loop Header: Depth=3
	s_add_u32 s20, s4, s14
	s_addc_u32 s21, s5, s15
	s_add_u32 s14, s14, 1
	global_load_ubyte v14, v49, s[20:21]
	s_addc_u32 s15, s15, 0
	s_waitcnt vmcnt(0)
	v_and_b32_e32 v48, 0xffff, v14
	v_lshlrev_b64 v[14:15], s12, v[48:49]
	s_add_u32 s12, s12, 8
	s_addc_u32 s13, s13, 0
	s_cmp_lg_u32 s18, s14
	v_or_b32_e32 v12, v14, v12
	v_or_b32_e32 v13, v15, v13
	s_cbranch_scc1 .LBB10_64
.LBB10_65:                              ;   in Loop: Header=BB10_33 Depth=2
	s_mov_b32 s17, 0
	s_cbranch_execz .LBB10_67
	s_branch .LBB10_68
.LBB10_66:                              ;   in Loop: Header=BB10_33 Depth=2
                                        ; implicit-def: $sgpr17
.LBB10_67:                              ;   in Loop: Header=BB10_33 Depth=2
	global_load_dwordx2 v[12:13], v49, s[4:5]
	s_add_i32 s17, s18, -8
	s_add_u32 s4, s4, 8
	s_addc_u32 s5, s5, 0
.LBB10_68:                              ;   in Loop: Header=BB10_33 Depth=2
	s_cmp_gt_u32 s17, 7
	s_cbranch_scc1 .LBB10_73
; %bb.69:                               ;   in Loop: Header=BB10_33 Depth=2
	v_mov_b32_e32 v14, 0
	v_mov_b32_e32 v15, 0
	s_cmp_eq_u32 s17, 0
	s_cbranch_scc1 .LBB10_72
; %bb.70:                               ;   in Loop: Header=BB10_33 Depth=2
	s_mov_b64 s[12:13], 0
	s_mov_b64 s[14:15], 0
.LBB10_71:                              ;   Parent Loop BB10_2 Depth=1
                                        ;     Parent Loop BB10_33 Depth=2
                                        ; =>    This Inner Loop Header: Depth=3
	s_add_u32 s18, s4, s14
	s_addc_u32 s19, s5, s15
	s_add_u32 s14, s14, 1
	global_load_ubyte v16, v49, s[18:19]
	s_addc_u32 s15, s15, 0
	s_waitcnt vmcnt(0)
	v_and_b32_e32 v48, 0xffff, v16
	v_lshlrev_b64 v[16:17], s12, v[48:49]
	s_add_u32 s12, s12, 8
	s_addc_u32 s13, s13, 0
	s_cmp_lg_u32 s17, s14
	v_or_b32_e32 v14, v16, v14
	v_or_b32_e32 v15, v17, v15
	s_cbranch_scc1 .LBB10_71
.LBB10_72:                              ;   in Loop: Header=BB10_33 Depth=2
	s_mov_b32 s18, 0
	s_cbranch_execz .LBB10_74
	s_branch .LBB10_75
.LBB10_73:                              ;   in Loop: Header=BB10_33 Depth=2
                                        ; implicit-def: $vgpr14_vgpr15
                                        ; implicit-def: $sgpr18
.LBB10_74:                              ;   in Loop: Header=BB10_33 Depth=2
	global_load_dwordx2 v[14:15], v49, s[4:5]
	s_add_i32 s18, s17, -8
	s_add_u32 s4, s4, 8
	s_addc_u32 s5, s5, 0
.LBB10_75:                              ;   in Loop: Header=BB10_33 Depth=2
	s_cmp_gt_u32 s18, 7
	s_cbranch_scc1 .LBB10_80
; %bb.76:                               ;   in Loop: Header=BB10_33 Depth=2
	v_mov_b32_e32 v16, 0
	v_mov_b32_e32 v17, 0
	s_cmp_eq_u32 s18, 0
	s_cbranch_scc1 .LBB10_79
; %bb.77:                               ;   in Loop: Header=BB10_33 Depth=2
	s_mov_b64 s[12:13], 0
	s_mov_b64 s[14:15], s[4:5]
.LBB10_78:                              ;   Parent Loop BB10_2 Depth=1
                                        ;     Parent Loop BB10_33 Depth=2
                                        ; =>    This Inner Loop Header: Depth=3
	global_load_ubyte v18, v49, s[14:15]
	s_add_i32 s18, s18, -1
	s_waitcnt vmcnt(0)
	v_and_b32_e32 v48, 0xffff, v18
	v_lshlrev_b64 v[18:19], s12, v[48:49]
	s_add_u32 s12, s12, 8
	s_addc_u32 s13, s13, 0
	s_add_u32 s14, s14, 1
	s_addc_u32 s15, s15, 0
	s_cmp_lg_u32 s18, 0
	v_or_b32_e32 v16, v18, v16
	v_or_b32_e32 v17, v19, v17
	s_cbranch_scc1 .LBB10_78
.LBB10_79:                              ;   in Loop: Header=BB10_33 Depth=2
	s_cbranch_execz .LBB10_81
	s_branch .LBB10_82
.LBB10_80:                              ;   in Loop: Header=BB10_33 Depth=2
.LBB10_81:                              ;   in Loop: Header=BB10_33 Depth=2
	global_load_dwordx2 v[16:17], v49, s[4:5]
.LBB10_82:                              ;   in Loop: Header=BB10_33 Depth=2
	v_readfirstlane_b32 s4, v65
	v_mov_b32_e32 v22, 0
	v_mov_b32_e32 v23, 0
	v_cmp_eq_u32_e64 s4, s4, v65
	s_and_saveexec_b32 s5, s4
	s_cbranch_execz .LBB10_88
; %bb.83:                               ;   in Loop: Header=BB10_33 Depth=2
	global_load_dwordx2 v[20:21], v49, s[28:29] offset:24 glc dlc
	s_waitcnt vmcnt(0)
	buffer_gl1_inv
	buffer_gl0_inv
	s_clause 0x1
	global_load_dwordx2 v[18:19], v49, s[28:29] offset:40
	global_load_dwordx2 v[22:23], v49, s[28:29]
	s_mov_b32 s12, exec_lo
	s_waitcnt vmcnt(1)
	v_and_b32_e32 v19, v19, v21
	v_and_b32_e32 v18, v18, v20
	v_mul_lo_u32 v19, v19, 24
	v_mul_hi_u32 v26, v18, 24
	v_mul_lo_u32 v18, v18, 24
	v_add_nc_u32_e32 v19, v26, v19
	s_waitcnt vmcnt(0)
	v_add_co_u32 v18, vcc_lo, v22, v18
	v_add_co_ci_u32_e32 v19, vcc_lo, v23, v19, vcc_lo
	global_load_dwordx2 v[18:19], v[18:19], off glc dlc
	s_waitcnt vmcnt(0)
	global_atomic_cmpswap_x2 v[22:23], v49, v[18:21], s[28:29] offset:24 glc
	s_waitcnt vmcnt(0)
	buffer_gl1_inv
	buffer_gl0_inv
	v_cmpx_ne_u64_e64 v[22:23], v[20:21]
	s_cbranch_execz .LBB10_87
; %bb.84:                               ;   in Loop: Header=BB10_33 Depth=2
	s_mov_b32 s13, 0
	.p2align	6
.LBB10_85:                              ;   Parent Loop BB10_2 Depth=1
                                        ;     Parent Loop BB10_33 Depth=2
                                        ; =>    This Inner Loop Header: Depth=3
	s_sleep 1
	s_clause 0x1
	global_load_dwordx2 v[18:19], v49, s[28:29] offset:40
	global_load_dwordx2 v[26:27], v49, s[28:29]
	v_mov_b32_e32 v20, v22
	v_mov_b32_e32 v21, v23
	s_waitcnt vmcnt(1)
	v_and_b32_e32 v18, v18, v20
	v_and_b32_e32 v19, v19, v21
	s_waitcnt vmcnt(0)
	v_mad_u64_u32 v[22:23], null, v18, 24, v[26:27]
	v_mov_b32_e32 v18, v23
	v_mad_u64_u32 v[18:19], null, v19, 24, v[18:19]
	v_mov_b32_e32 v23, v18
	global_load_dwordx2 v[18:19], v[22:23], off glc dlc
	s_waitcnt vmcnt(0)
	global_atomic_cmpswap_x2 v[22:23], v49, v[18:21], s[28:29] offset:24 glc
	s_waitcnt vmcnt(0)
	buffer_gl1_inv
	buffer_gl0_inv
	v_cmp_eq_u64_e32 vcc_lo, v[22:23], v[20:21]
	s_or_b32 s13, vcc_lo, s13
	s_andn2_b32 exec_lo, exec_lo, s13
	s_cbranch_execnz .LBB10_85
; %bb.86:                               ;   in Loop: Header=BB10_33 Depth=2
	s_or_b32 exec_lo, exec_lo, s13
.LBB10_87:                              ;   in Loop: Header=BB10_33 Depth=2
	s_or_b32 exec_lo, exec_lo, s12
.LBB10_88:                              ;   in Loop: Header=BB10_33 Depth=2
	s_or_b32 exec_lo, exec_lo, s5
	s_clause 0x1
	global_load_dwordx2 v[26:27], v49, s[28:29] offset:40
	global_load_dwordx4 v[18:21], v49, s[28:29]
	v_readfirstlane_b32 s12, v22
	v_readfirstlane_b32 s13, v23
	s_mov_b32 s5, exec_lo
	s_waitcnt vmcnt(1)
	v_readfirstlane_b32 s14, v26
	v_readfirstlane_b32 s15, v27
	s_and_b64 s[14:15], s[12:13], s[14:15]
	s_mul_i32 s17, s15, 24
	s_mul_hi_u32 s18, s14, 24
	s_mul_i32 s19, s14, 24
	s_add_i32 s18, s18, s17
	s_waitcnt vmcnt(0)
	v_add_co_u32 v22, vcc_lo, v18, s19
	v_add_co_ci_u32_e32 v23, vcc_lo, s18, v19, vcc_lo
	s_and_saveexec_b32 s17, s4
	s_cbranch_execz .LBB10_90
; %bb.89:                               ;   in Loop: Header=BB10_33 Depth=2
	v_mov_b32_e32 v48, s5
	global_store_dwordx4 v[22:23], v[48:51], off offset:8
.LBB10_90:                              ;   in Loop: Header=BB10_33 Depth=2
	s_or_b32 exec_lo, exec_lo, s17
	v_cmp_gt_u64_e64 vcc_lo, s[8:9], 56
	v_or_b32_e32 v26, 0, v3
	v_or_b32_e32 v27, v2, v25
	s_lshl_b64 s[14:15], s[14:15], 12
	s_lshl_b32 s5, s10, 2
	s_add_i32 s5, s5, 28
	v_cndmask_b32_e32 v3, v26, v3, vcc_lo
	v_cndmask_b32_e32 v2, v27, v2, vcc_lo
	v_add_co_u32 v20, vcc_lo, v20, s14
	v_add_co_ci_u32_e32 v21, vcc_lo, s15, v21, vcc_lo
	s_and_b32 s5, s5, 0x1e0
	v_lshlrev_b32_e32 v26, 6, v65
	v_and_or_b32 v2, 0xffffff1f, v2, s5
	v_readfirstlane_b32 s14, v20
	v_readfirstlane_b32 s15, v21
	global_store_dwordx4 v26, v[2:5], s[14:15]
	global_store_dwordx4 v26, v[6:9], s[14:15] offset:16
	global_store_dwordx4 v26, v[10:13], s[14:15] offset:32
	;; [unrolled: 1-line block ×3, first 2 shown]
	s_and_saveexec_b32 s5, s4
	s_cbranch_execz .LBB10_98
; %bb.91:                               ;   in Loop: Header=BB10_33 Depth=2
	s_clause 0x1
	global_load_dwordx2 v[10:11], v49, s[28:29] offset:32 glc dlc
	global_load_dwordx2 v[2:3], v49, s[28:29] offset:40
	v_mov_b32_e32 v8, s12
	v_mov_b32_e32 v9, s13
	s_waitcnt vmcnt(0)
	v_readfirstlane_b32 s14, v2
	v_readfirstlane_b32 s15, v3
	s_and_b64 s[14:15], s[14:15], s[12:13]
	s_mul_i32 s15, s15, 24
	s_mul_hi_u32 s17, s14, 24
	s_mul_i32 s14, s14, 24
	s_add_i32 s17, s17, s15
	v_add_co_u32 v6, vcc_lo, v18, s14
	v_add_co_ci_u32_e32 v7, vcc_lo, s17, v19, vcc_lo
	s_mov_b32 s14, exec_lo
	global_store_dwordx2 v[6:7], v[10:11], off
	s_waitcnt_vscnt null, 0x0
	global_atomic_cmpswap_x2 v[4:5], v49, v[8:11], s[28:29] offset:32 glc
	s_waitcnt vmcnt(0)
	v_cmpx_ne_u64_e64 v[4:5], v[10:11]
	s_cbranch_execz .LBB10_94
; %bb.92:                               ;   in Loop: Header=BB10_33 Depth=2
	s_mov_b32 s15, 0
.LBB10_93:                              ;   Parent Loop BB10_2 Depth=1
                                        ;     Parent Loop BB10_33 Depth=2
                                        ; =>    This Inner Loop Header: Depth=3
	v_mov_b32_e32 v2, s12
	v_mov_b32_e32 v3, s13
	s_sleep 1
	global_store_dwordx2 v[6:7], v[4:5], off
	s_waitcnt_vscnt null, 0x0
	global_atomic_cmpswap_x2 v[2:3], v49, v[2:5], s[28:29] offset:32 glc
	s_waitcnt vmcnt(0)
	v_cmp_eq_u64_e32 vcc_lo, v[2:3], v[4:5]
	v_mov_b32_e32 v5, v3
	v_mov_b32_e32 v4, v2
	s_or_b32 s15, vcc_lo, s15
	s_andn2_b32 exec_lo, exec_lo, s15
	s_cbranch_execnz .LBB10_93
.LBB10_94:                              ;   in Loop: Header=BB10_33 Depth=2
	s_or_b32 exec_lo, exec_lo, s14
	global_load_dwordx2 v[2:3], v49, s[28:29] offset:16
	s_mov_b32 s15, exec_lo
	s_mov_b32 s14, exec_lo
	v_mbcnt_lo_u32_b32 v4, s15, 0
	v_cmpx_eq_u32_e32 0, v4
	s_cbranch_execz .LBB10_96
; %bb.95:                               ;   in Loop: Header=BB10_33 Depth=2
	s_bcnt1_i32_b32 s15, s15
	v_mov_b32_e32 v48, s15
	s_waitcnt vmcnt(0)
	global_atomic_add_x2 v[2:3], v[48:49], off offset:8
.LBB10_96:                              ;   in Loop: Header=BB10_33 Depth=2
	s_or_b32 exec_lo, exec_lo, s14
	s_waitcnt vmcnt(0)
	global_load_dwordx2 v[4:5], v[2:3], off offset:16
	s_waitcnt vmcnt(0)
	v_cmp_eq_u64_e32 vcc_lo, 0, v[4:5]
	s_cbranch_vccnz .LBB10_98
; %bb.97:                               ;   in Loop: Header=BB10_33 Depth=2
	global_load_dword v48, v[2:3], off offset:24
	s_waitcnt vmcnt(0)
	v_and_b32_e32 v2, 0x7fffff, v48
	s_waitcnt_vscnt null, 0x0
	global_store_dwordx2 v[4:5], v[48:49], off
	v_readfirstlane_b32 m0, v2
	s_sendmsg sendmsg(MSG_INTERRUPT)
.LBB10_98:                              ;   in Loop: Header=BB10_33 Depth=2
	s_or_b32 exec_lo, exec_lo, s5
	v_add_co_u32 v2, vcc_lo, v20, v26
	v_add_co_ci_u32_e32 v3, vcc_lo, 0, v21, vcc_lo
	s_branch .LBB10_102
	.p2align	6
.LBB10_99:                              ;   in Loop: Header=BB10_102 Depth=3
	s_or_b32 exec_lo, exec_lo, s5
	v_readfirstlane_b32 s5, v4
	s_cmp_eq_u32 s5, 0
	s_cbranch_scc1 .LBB10_101
; %bb.100:                              ;   in Loop: Header=BB10_102 Depth=3
	s_sleep 1
	s_cbranch_execnz .LBB10_102
	s_branch .LBB10_104
	.p2align	6
.LBB10_101:                             ;   in Loop: Header=BB10_33 Depth=2
	s_branch .LBB10_104
.LBB10_102:                             ;   Parent Loop BB10_2 Depth=1
                                        ;     Parent Loop BB10_33 Depth=2
                                        ; =>    This Inner Loop Header: Depth=3
	v_mov_b32_e32 v4, 1
	s_and_saveexec_b32 s5, s4
	s_cbranch_execz .LBB10_99
; %bb.103:                              ;   in Loop: Header=BB10_102 Depth=3
	global_load_dword v4, v[22:23], off offset:20 glc dlc
	s_waitcnt vmcnt(0)
	buffer_gl1_inv
	buffer_gl0_inv
	v_and_b32_e32 v4, 1, v4
	s_branch .LBB10_99
.LBB10_104:                             ;   in Loop: Header=BB10_33 Depth=2
	global_load_dwordx4 v[2:5], v[2:3], off
	s_and_saveexec_b32 s5, s4
	s_cbranch_execz .LBB10_32
; %bb.105:                              ;   in Loop: Header=BB10_33 Depth=2
	s_clause 0x2
	global_load_dwordx2 v[6:7], v49, s[28:29] offset:40
	global_load_dwordx2 v[10:11], v49, s[28:29] offset:24 glc dlc
	global_load_dwordx2 v[8:9], v49, s[28:29]
	s_waitcnt vmcnt(2)
	v_add_co_u32 v12, vcc_lo, v6, 1
	v_add_co_ci_u32_e32 v13, vcc_lo, 0, v7, vcc_lo
	v_add_co_u32 v4, vcc_lo, v12, s12
	v_add_co_ci_u32_e32 v5, vcc_lo, s13, v13, vcc_lo
	v_cmp_eq_u64_e32 vcc_lo, 0, v[4:5]
	v_cndmask_b32_e32 v5, v5, v13, vcc_lo
	v_cndmask_b32_e32 v4, v4, v12, vcc_lo
	v_and_b32_e32 v7, v5, v7
	v_and_b32_e32 v6, v4, v6
	v_mul_lo_u32 v7, v7, 24
	v_mul_hi_u32 v12, v6, 24
	v_mul_lo_u32 v6, v6, 24
	v_add_nc_u32_e32 v7, v12, v7
	s_waitcnt vmcnt(0)
	v_add_co_u32 v8, vcc_lo, v8, v6
	v_mov_b32_e32 v6, v10
	v_add_co_ci_u32_e32 v9, vcc_lo, v9, v7, vcc_lo
	v_mov_b32_e32 v7, v11
	global_store_dwordx2 v[8:9], v[10:11], off
	s_waitcnt_vscnt null, 0x0
	global_atomic_cmpswap_x2 v[6:7], v49, v[4:7], s[28:29] offset:24 glc
	s_waitcnt vmcnt(0)
	v_cmp_ne_u64_e32 vcc_lo, v[6:7], v[10:11]
	s_and_b32 exec_lo, exec_lo, vcc_lo
	s_cbranch_execz .LBB10_32
; %bb.106:                              ;   in Loop: Header=BB10_33 Depth=2
	s_mov_b32 s4, 0
.LBB10_107:                             ;   Parent Loop BB10_2 Depth=1
                                        ;     Parent Loop BB10_33 Depth=2
                                        ; =>    This Inner Loop Header: Depth=3
	s_sleep 1
	global_store_dwordx2 v[8:9], v[6:7], off
	s_waitcnt_vscnt null, 0x0
	global_atomic_cmpswap_x2 v[10:11], v49, v[4:7], s[28:29] offset:24 glc
	s_waitcnt vmcnt(0)
	v_cmp_eq_u64_e32 vcc_lo, v[10:11], v[6:7]
	v_mov_b32_e32 v6, v10
	v_mov_b32_e32 v7, v11
	s_or_b32 s4, vcc_lo, s4
	s_andn2_b32 exec_lo, exec_lo, s4
	s_cbranch_execnz .LBB10_107
	s_branch .LBB10_32
.LBB10_108:                             ;   in Loop: Header=BB10_2 Depth=1
	s_branch .LBB10_137
.LBB10_109:                             ;   in Loop: Header=BB10_2 Depth=1
                                        ; implicit-def: $vgpr2_vgpr3
	s_cbranch_execz .LBB10_137
; %bb.110:                              ;   in Loop: Header=BB10_2 Depth=1
	v_readfirstlane_b32 s4, v65
	s_waitcnt vmcnt(0)
	v_mov_b32_e32 v2, 0
	v_mov_b32_e32 v3, 0
	v_cmp_eq_u32_e64 s4, s4, v65
	s_and_saveexec_b32 s5, s4
	s_cbranch_execz .LBB10_116
; %bb.111:                              ;   in Loop: Header=BB10_2 Depth=1
	global_load_dwordx2 v[4:5], v49, s[28:29] offset:24 glc dlc
	s_waitcnt vmcnt(0)
	buffer_gl1_inv
	buffer_gl0_inv
	s_clause 0x1
	global_load_dwordx2 v[2:3], v49, s[28:29] offset:40
	global_load_dwordx2 v[6:7], v49, s[28:29]
	s_mov_b32 s6, exec_lo
	s_waitcnt vmcnt(1)
	v_and_b32_e32 v3, v3, v5
	v_and_b32_e32 v2, v2, v4
	v_mul_lo_u32 v3, v3, 24
	v_mul_hi_u32 v8, v2, 24
	v_mul_lo_u32 v2, v2, 24
	v_add_nc_u32_e32 v3, v8, v3
	s_waitcnt vmcnt(0)
	v_add_co_u32 v2, vcc_lo, v6, v2
	v_add_co_ci_u32_e32 v3, vcc_lo, v7, v3, vcc_lo
	global_load_dwordx2 v[2:3], v[2:3], off glc dlc
	s_waitcnt vmcnt(0)
	global_atomic_cmpswap_x2 v[2:3], v49, v[2:5], s[28:29] offset:24 glc
	s_waitcnt vmcnt(0)
	buffer_gl1_inv
	buffer_gl0_inv
	v_cmpx_ne_u64_e64 v[2:3], v[4:5]
	s_cbranch_execz .LBB10_115
; %bb.112:                              ;   in Loop: Header=BB10_2 Depth=1
	s_mov_b32 s7, 0
	.p2align	6
.LBB10_113:                             ;   Parent Loop BB10_2 Depth=1
                                        ; =>  This Inner Loop Header: Depth=2
	s_sleep 1
	s_clause 0x1
	global_load_dwordx2 v[6:7], v49, s[28:29] offset:40
	global_load_dwordx2 v[8:9], v49, s[28:29]
	v_mov_b32_e32 v5, v3
	v_mov_b32_e32 v4, v2
	s_waitcnt vmcnt(1)
	v_and_b32_e32 v2, v6, v4
	v_and_b32_e32 v6, v7, v5
	s_waitcnt vmcnt(0)
	v_mad_u64_u32 v[2:3], null, v2, 24, v[8:9]
	v_mad_u64_u32 v[6:7], null, v6, 24, v[3:4]
	v_mov_b32_e32 v3, v6
	global_load_dwordx2 v[2:3], v[2:3], off glc dlc
	s_waitcnt vmcnt(0)
	global_atomic_cmpswap_x2 v[2:3], v49, v[2:5], s[28:29] offset:24 glc
	s_waitcnt vmcnt(0)
	buffer_gl1_inv
	buffer_gl0_inv
	v_cmp_eq_u64_e32 vcc_lo, v[2:3], v[4:5]
	s_or_b32 s7, vcc_lo, s7
	s_andn2_b32 exec_lo, exec_lo, s7
	s_cbranch_execnz .LBB10_113
; %bb.114:                              ;   in Loop: Header=BB10_2 Depth=1
	s_or_b32 exec_lo, exec_lo, s7
.LBB10_115:                             ;   in Loop: Header=BB10_2 Depth=1
	s_or_b32 exec_lo, exec_lo, s6
.LBB10_116:                             ;   in Loop: Header=BB10_2 Depth=1
	s_or_b32 exec_lo, exec_lo, s5
	s_clause 0x1
	global_load_dwordx2 v[8:9], v49, s[28:29] offset:40
	global_load_dwordx4 v[4:7], v49, s[28:29]
	v_readfirstlane_b32 s6, v2
	v_readfirstlane_b32 s7, v3
	s_mov_b32 s5, exec_lo
	s_waitcnt vmcnt(1)
	v_readfirstlane_b32 s8, v8
	v_readfirstlane_b32 s9, v9
	s_and_b64 s[8:9], s[6:7], s[8:9]
	s_mul_i32 s10, s9, 24
	s_mul_hi_u32 s11, s8, 24
	s_mul_i32 s12, s8, 24
	s_add_i32 s11, s11, s10
	s_waitcnt vmcnt(0)
	v_add_co_u32 v8, vcc_lo, v4, s12
	v_add_co_ci_u32_e32 v9, vcc_lo, s11, v5, vcc_lo
	s_and_saveexec_b32 s10, s4
	s_cbranch_execz .LBB10_118
; %bb.117:                              ;   in Loop: Header=BB10_2 Depth=1
	v_mov_b32_e32 v48, s5
	global_store_dwordx4 v[8:9], v[48:51], off offset:8
.LBB10_118:                             ;   in Loop: Header=BB10_2 Depth=1
	s_or_b32 exec_lo, exec_lo, s10
	s_lshl_b64 s[8:9], s[8:9], 12
	v_and_or_b32 v0, 0xffffff1f, v0, 32
	v_add_co_u32 v6, vcc_lo, v6, s8
	v_add_co_ci_u32_e32 v7, vcc_lo, s9, v7, vcc_lo
	v_lshlrev_b32_e32 v10, 6, v65
	v_mov_b32_e32 v2, v49
	v_mov_b32_e32 v3, v49
	v_readfirstlane_b32 s8, v6
	v_readfirstlane_b32 s9, v7
	v_mov_b32_e32 v11, s24
	v_mov_b32_e32 v12, s25
	;; [unrolled: 1-line block ×4, first 2 shown]
	global_store_dwordx4 v10, v[0:3], s[8:9]
	global_store_dwordx4 v10, v[11:14], s[8:9] offset:16
	global_store_dwordx4 v10, v[11:14], s[8:9] offset:32
	;; [unrolled: 1-line block ×3, first 2 shown]
	s_and_saveexec_b32 s5, s4
	s_cbranch_execz .LBB10_126
; %bb.119:                              ;   in Loop: Header=BB10_2 Depth=1
	s_clause 0x1
	global_load_dwordx2 v[13:14], v49, s[28:29] offset:32 glc dlc
	global_load_dwordx2 v[0:1], v49, s[28:29] offset:40
	v_mov_b32_e32 v11, s6
	v_mov_b32_e32 v12, s7
	s_waitcnt vmcnt(0)
	v_readfirstlane_b32 s8, v0
	v_readfirstlane_b32 s9, v1
	s_and_b64 s[8:9], s[8:9], s[6:7]
	s_mul_i32 s9, s9, 24
	s_mul_hi_u32 s10, s8, 24
	s_mul_i32 s8, s8, 24
	s_add_i32 s10, s10, s9
	v_add_co_u32 v4, vcc_lo, v4, s8
	v_add_co_ci_u32_e32 v5, vcc_lo, s10, v5, vcc_lo
	s_mov_b32 s8, exec_lo
	global_store_dwordx2 v[4:5], v[13:14], off
	s_waitcnt_vscnt null, 0x0
	global_atomic_cmpswap_x2 v[2:3], v49, v[11:14], s[28:29] offset:32 glc
	s_waitcnt vmcnt(0)
	v_cmpx_ne_u64_e64 v[2:3], v[13:14]
	s_cbranch_execz .LBB10_122
; %bb.120:                              ;   in Loop: Header=BB10_2 Depth=1
	s_mov_b32 s9, 0
.LBB10_121:                             ;   Parent Loop BB10_2 Depth=1
                                        ; =>  This Inner Loop Header: Depth=2
	v_mov_b32_e32 v0, s6
	v_mov_b32_e32 v1, s7
	s_sleep 1
	global_store_dwordx2 v[4:5], v[2:3], off
	s_waitcnt_vscnt null, 0x0
	global_atomic_cmpswap_x2 v[0:1], v49, v[0:3], s[28:29] offset:32 glc
	s_waitcnt vmcnt(0)
	v_cmp_eq_u64_e32 vcc_lo, v[0:1], v[2:3]
	v_mov_b32_e32 v3, v1
	v_mov_b32_e32 v2, v0
	s_or_b32 s9, vcc_lo, s9
	s_andn2_b32 exec_lo, exec_lo, s9
	s_cbranch_execnz .LBB10_121
.LBB10_122:                             ;   in Loop: Header=BB10_2 Depth=1
	s_or_b32 exec_lo, exec_lo, s8
	global_load_dwordx2 v[0:1], v49, s[28:29] offset:16
	s_mov_b32 s9, exec_lo
	s_mov_b32 s8, exec_lo
	v_mbcnt_lo_u32_b32 v2, s9, 0
	v_cmpx_eq_u32_e32 0, v2
	s_cbranch_execz .LBB10_124
; %bb.123:                              ;   in Loop: Header=BB10_2 Depth=1
	s_bcnt1_i32_b32 s9, s9
	v_mov_b32_e32 v48, s9
	s_waitcnt vmcnt(0)
	global_atomic_add_x2 v[0:1], v[48:49], off offset:8
.LBB10_124:                             ;   in Loop: Header=BB10_2 Depth=1
	s_or_b32 exec_lo, exec_lo, s8
	s_waitcnt vmcnt(0)
	global_load_dwordx2 v[2:3], v[0:1], off offset:16
	s_waitcnt vmcnt(0)
	v_cmp_eq_u64_e32 vcc_lo, 0, v[2:3]
	s_cbranch_vccnz .LBB10_126
; %bb.125:                              ;   in Loop: Header=BB10_2 Depth=1
	global_load_dword v48, v[0:1], off offset:24
	s_waitcnt vmcnt(0)
	v_and_b32_e32 v0, 0x7fffff, v48
	s_waitcnt_vscnt null, 0x0
	global_store_dwordx2 v[2:3], v[48:49], off
	v_readfirstlane_b32 m0, v0
	s_sendmsg sendmsg(MSG_INTERRUPT)
.LBB10_126:                             ;   in Loop: Header=BB10_2 Depth=1
	s_or_b32 exec_lo, exec_lo, s5
	v_add_co_u32 v0, vcc_lo, v6, v10
	v_add_co_ci_u32_e32 v1, vcc_lo, 0, v7, vcc_lo
	s_branch .LBB10_130
	.p2align	6
.LBB10_127:                             ;   in Loop: Header=BB10_130 Depth=2
	s_or_b32 exec_lo, exec_lo, s5
	v_readfirstlane_b32 s5, v2
	s_cmp_eq_u32 s5, 0
	s_cbranch_scc1 .LBB10_129
; %bb.128:                              ;   in Loop: Header=BB10_130 Depth=2
	s_sleep 1
	s_cbranch_execnz .LBB10_130
	s_branch .LBB10_132
	.p2align	6
.LBB10_129:                             ;   in Loop: Header=BB10_2 Depth=1
	s_branch .LBB10_132
.LBB10_130:                             ;   Parent Loop BB10_2 Depth=1
                                        ; =>  This Inner Loop Header: Depth=2
	v_mov_b32_e32 v2, 1
	s_and_saveexec_b32 s5, s4
	s_cbranch_execz .LBB10_127
; %bb.131:                              ;   in Loop: Header=BB10_130 Depth=2
	global_load_dword v2, v[8:9], off offset:20 glc dlc
	s_waitcnt vmcnt(0)
	buffer_gl1_inv
	buffer_gl0_inv
	v_and_b32_e32 v2, 1, v2
	s_branch .LBB10_127
.LBB10_132:                             ;   in Loop: Header=BB10_2 Depth=1
	global_load_dwordx2 v[2:3], v[0:1], off
	s_and_saveexec_b32 s5, s4
	s_cbranch_execz .LBB10_136
; %bb.133:                              ;   in Loop: Header=BB10_2 Depth=1
	s_clause 0x2
	global_load_dwordx2 v[0:1], v49, s[28:29] offset:40
	global_load_dwordx2 v[8:9], v49, s[28:29] offset:24 glc dlc
	global_load_dwordx2 v[6:7], v49, s[28:29]
	s_waitcnt vmcnt(2)
	v_add_co_u32 v10, vcc_lo, v0, 1
	v_add_co_ci_u32_e32 v11, vcc_lo, 0, v1, vcc_lo
	v_add_co_u32 v4, vcc_lo, v10, s6
	v_add_co_ci_u32_e32 v5, vcc_lo, s7, v11, vcc_lo
	v_cmp_eq_u64_e32 vcc_lo, 0, v[4:5]
	v_cndmask_b32_e32 v5, v5, v11, vcc_lo
	v_cndmask_b32_e32 v4, v4, v10, vcc_lo
	v_and_b32_e32 v1, v5, v1
	v_and_b32_e32 v0, v4, v0
	v_mul_lo_u32 v1, v1, 24
	v_mul_hi_u32 v10, v0, 24
	v_mul_lo_u32 v0, v0, 24
	v_add_nc_u32_e32 v1, v10, v1
	s_waitcnt vmcnt(0)
	v_add_co_u32 v0, vcc_lo, v6, v0
	v_mov_b32_e32 v6, v8
	v_add_co_ci_u32_e32 v1, vcc_lo, v7, v1, vcc_lo
	v_mov_b32_e32 v7, v9
	global_store_dwordx2 v[0:1], v[8:9], off
	s_waitcnt_vscnt null, 0x0
	global_atomic_cmpswap_x2 v[6:7], v49, v[4:7], s[28:29] offset:24 glc
	s_waitcnt vmcnt(0)
	v_cmp_ne_u64_e32 vcc_lo, v[6:7], v[8:9]
	s_and_b32 exec_lo, exec_lo, vcc_lo
	s_cbranch_execz .LBB10_136
; %bb.134:                              ;   in Loop: Header=BB10_2 Depth=1
	s_mov_b32 s4, 0
.LBB10_135:                             ;   Parent Loop BB10_2 Depth=1
                                        ; =>  This Inner Loop Header: Depth=2
	s_sleep 1
	global_store_dwordx2 v[0:1], v[6:7], off
	s_waitcnt_vscnt null, 0x0
	global_atomic_cmpswap_x2 v[8:9], v49, v[4:7], s[28:29] offset:24 glc
	s_waitcnt vmcnt(0)
	v_cmp_eq_u64_e32 vcc_lo, v[8:9], v[6:7]
	v_mov_b32_e32 v6, v8
	v_mov_b32_e32 v7, v9
	s_or_b32 s4, vcc_lo, s4
	s_andn2_b32 exec_lo, exec_lo, s4
	s_cbranch_execnz .LBB10_135
.LBB10_136:                             ;   in Loop: Header=BB10_2 Depth=1
	s_or_b32 exec_lo, exec_lo, s5
.LBB10_137:                             ;   in Loop: Header=BB10_2 Depth=1
	v_readfirstlane_b32 s4, v65
	s_waitcnt vmcnt(0)
	v_mov_b32_e32 v0, 0
	v_mov_b32_e32 v1, 0
	v_cmp_eq_u32_e64 s4, s4, v65
	s_and_saveexec_b32 s5, s4
	s_cbranch_execz .LBB10_143
; %bb.138:                              ;   in Loop: Header=BB10_2 Depth=1
	global_load_dwordx2 v[6:7], v49, s[28:29] offset:24 glc dlc
	s_waitcnt vmcnt(0)
	buffer_gl1_inv
	buffer_gl0_inv
	s_clause 0x1
	global_load_dwordx2 v[0:1], v49, s[28:29] offset:40
	global_load_dwordx2 v[4:5], v49, s[28:29]
	s_mov_b32 s6, exec_lo
	s_waitcnt vmcnt(1)
	v_and_b32_e32 v1, v1, v7
	v_and_b32_e32 v0, v0, v6
	v_mul_lo_u32 v1, v1, 24
	v_mul_hi_u32 v8, v0, 24
	v_mul_lo_u32 v0, v0, 24
	v_add_nc_u32_e32 v1, v8, v1
	s_waitcnt vmcnt(0)
	v_add_co_u32 v0, vcc_lo, v4, v0
	v_add_co_ci_u32_e32 v1, vcc_lo, v5, v1, vcc_lo
	global_load_dwordx2 v[4:5], v[0:1], off glc dlc
	s_waitcnt vmcnt(0)
	global_atomic_cmpswap_x2 v[0:1], v49, v[4:7], s[28:29] offset:24 glc
	s_waitcnt vmcnt(0)
	buffer_gl1_inv
	buffer_gl0_inv
	v_cmpx_ne_u64_e64 v[0:1], v[6:7]
	s_cbranch_execz .LBB10_142
; %bb.139:                              ;   in Loop: Header=BB10_2 Depth=1
	s_mov_b32 s7, 0
	.p2align	6
.LBB10_140:                             ;   Parent Loop BB10_2 Depth=1
                                        ; =>  This Inner Loop Header: Depth=2
	s_sleep 1
	s_clause 0x1
	global_load_dwordx2 v[4:5], v49, s[28:29] offset:40
	global_load_dwordx2 v[8:9], v49, s[28:29]
	v_mov_b32_e32 v7, v1
	v_mov_b32_e32 v6, v0
	s_waitcnt vmcnt(1)
	v_and_b32_e32 v0, v4, v6
	v_and_b32_e32 v4, v5, v7
	s_waitcnt vmcnt(0)
	v_mad_u64_u32 v[0:1], null, v0, 24, v[8:9]
	v_mad_u64_u32 v[4:5], null, v4, 24, v[1:2]
	v_mov_b32_e32 v1, v4
	global_load_dwordx2 v[4:5], v[0:1], off glc dlc
	s_waitcnt vmcnt(0)
	global_atomic_cmpswap_x2 v[0:1], v49, v[4:7], s[28:29] offset:24 glc
	s_waitcnt vmcnt(0)
	buffer_gl1_inv
	buffer_gl0_inv
	v_cmp_eq_u64_e32 vcc_lo, v[0:1], v[6:7]
	s_or_b32 s7, vcc_lo, s7
	s_andn2_b32 exec_lo, exec_lo, s7
	s_cbranch_execnz .LBB10_140
; %bb.141:                              ;   in Loop: Header=BB10_2 Depth=1
	s_or_b32 exec_lo, exec_lo, s7
.LBB10_142:                             ;   in Loop: Header=BB10_2 Depth=1
	s_or_b32 exec_lo, exec_lo, s6
.LBB10_143:                             ;   in Loop: Header=BB10_2 Depth=1
	s_or_b32 exec_lo, exec_lo, s5
	s_clause 0x1
	global_load_dwordx2 v[4:5], v49, s[28:29] offset:40
	global_load_dwordx4 v[6:9], v49, s[28:29]
	v_readfirstlane_b32 s6, v0
	v_readfirstlane_b32 s7, v1
	s_mov_b32 s5, exec_lo
	s_waitcnt vmcnt(1)
	v_readfirstlane_b32 s8, v4
	v_readfirstlane_b32 s9, v5
	s_and_b64 s[8:9], s[6:7], s[8:9]
	s_mul_i32 s10, s9, 24
	s_mul_hi_u32 s11, s8, 24
	s_mul_i32 s12, s8, 24
	s_add_i32 s11, s11, s10
	s_waitcnt vmcnt(0)
	v_add_co_u32 v10, vcc_lo, v6, s12
	v_add_co_ci_u32_e32 v11, vcc_lo, s11, v7, vcc_lo
	s_and_saveexec_b32 s10, s4
	s_cbranch_execz .LBB10_145
; %bb.144:                              ;   in Loop: Header=BB10_2 Depth=1
	v_mov_b32_e32 v48, s5
	global_store_dwordx4 v[10:11], v[48:51], off offset:8
.LBB10_145:                             ;   in Loop: Header=BB10_2 Depth=1
	s_or_b32 exec_lo, exec_lo, s10
	s_lshl_b64 s[8:9], s[8:9], 12
	v_and_or_b32 v2, 0xffffff1d, v2, 34
	v_add_co_u32 v0, vcc_lo, v8, s8
	v_add_co_ci_u32_e32 v1, vcc_lo, s9, v9, vcc_lo
	s_waitcnt lgkmcnt(0)
	v_ashrrev_i32_e32 v5, 31, v24
	v_lshlrev_b32_e32 v8, 6, v65
	v_mov_b32_e32 v4, v24
	v_readfirstlane_b32 s8, v0
	v_readfirstlane_b32 s9, v1
	v_mov_b32_e32 v12, s24
	v_mov_b32_e32 v13, s25
	;; [unrolled: 1-line block ×4, first 2 shown]
	global_store_dwordx4 v8, v[2:5], s[8:9]
	global_store_dwordx4 v8, v[12:15], s[8:9] offset:16
	global_store_dwordx4 v8, v[12:15], s[8:9] offset:32
	;; [unrolled: 1-line block ×3, first 2 shown]
	s_and_saveexec_b32 s5, s4
	s_cbranch_execz .LBB10_153
; %bb.146:                              ;   in Loop: Header=BB10_2 Depth=1
	s_clause 0x1
	global_load_dwordx2 v[8:9], v49, s[28:29] offset:32 glc dlc
	global_load_dwordx2 v[0:1], v49, s[28:29] offset:40
	s_waitcnt vmcnt(0)
	v_readfirstlane_b32 s8, v0
	v_readfirstlane_b32 s9, v1
	s_and_b64 s[8:9], s[8:9], s[6:7]
	s_mul_i32 s9, s9, 24
	s_mul_hi_u32 s10, s8, 24
	s_mul_i32 s8, s8, 24
	s_add_i32 s10, s10, s9
	v_add_co_u32 v4, vcc_lo, v6, s8
	v_add_co_ci_u32_e32 v5, vcc_lo, s10, v7, vcc_lo
	v_mov_b32_e32 v6, s6
	v_mov_b32_e32 v7, s7
	s_mov_b32 s8, exec_lo
	global_store_dwordx2 v[4:5], v[8:9], off
	s_waitcnt_vscnt null, 0x0
	global_atomic_cmpswap_x2 v[2:3], v49, v[6:9], s[28:29] offset:32 glc
	s_waitcnt vmcnt(0)
	v_cmpx_ne_u64_e64 v[2:3], v[8:9]
	s_cbranch_execz .LBB10_149
; %bb.147:                              ;   in Loop: Header=BB10_2 Depth=1
	s_mov_b32 s9, 0
.LBB10_148:                             ;   Parent Loop BB10_2 Depth=1
                                        ; =>  This Inner Loop Header: Depth=2
	v_mov_b32_e32 v0, s6
	v_mov_b32_e32 v1, s7
	s_sleep 1
	global_store_dwordx2 v[4:5], v[2:3], off
	s_waitcnt_vscnt null, 0x0
	global_atomic_cmpswap_x2 v[0:1], v49, v[0:3], s[28:29] offset:32 glc
	s_waitcnt vmcnt(0)
	v_cmp_eq_u64_e32 vcc_lo, v[0:1], v[2:3]
	v_mov_b32_e32 v3, v1
	v_mov_b32_e32 v2, v0
	s_or_b32 s9, vcc_lo, s9
	s_andn2_b32 exec_lo, exec_lo, s9
	s_cbranch_execnz .LBB10_148
.LBB10_149:                             ;   in Loop: Header=BB10_2 Depth=1
	s_or_b32 exec_lo, exec_lo, s8
	global_load_dwordx2 v[0:1], v49, s[28:29] offset:16
	s_mov_b32 s9, exec_lo
	s_mov_b32 s8, exec_lo
	v_mbcnt_lo_u32_b32 v2, s9, 0
	v_cmpx_eq_u32_e32 0, v2
	s_cbranch_execz .LBB10_151
; %bb.150:                              ;   in Loop: Header=BB10_2 Depth=1
	s_bcnt1_i32_b32 s9, s9
	v_mov_b32_e32 v48, s9
	s_waitcnt vmcnt(0)
	global_atomic_add_x2 v[0:1], v[48:49], off offset:8
.LBB10_151:                             ;   in Loop: Header=BB10_2 Depth=1
	s_or_b32 exec_lo, exec_lo, s8
	s_waitcnt vmcnt(0)
	global_load_dwordx2 v[2:3], v[0:1], off offset:16
	s_waitcnt vmcnt(0)
	v_cmp_eq_u64_e32 vcc_lo, 0, v[2:3]
	s_cbranch_vccnz .LBB10_153
; %bb.152:                              ;   in Loop: Header=BB10_2 Depth=1
	global_load_dword v48, v[0:1], off offset:24
	s_waitcnt vmcnt(0)
	v_and_b32_e32 v0, 0x7fffff, v48
	s_waitcnt_vscnt null, 0x0
	global_store_dwordx2 v[2:3], v[48:49], off
	v_readfirstlane_b32 m0, v0
	s_sendmsg sendmsg(MSG_INTERRUPT)
.LBB10_153:                             ;   in Loop: Header=BB10_2 Depth=1
	s_or_b32 exec_lo, exec_lo, s5
	s_branch .LBB10_157
	.p2align	6
.LBB10_154:                             ;   in Loop: Header=BB10_157 Depth=2
	s_or_b32 exec_lo, exec_lo, s5
	v_readfirstlane_b32 s5, v0
	s_cmp_eq_u32 s5, 0
	s_cbranch_scc1 .LBB10_156
; %bb.155:                              ;   in Loop: Header=BB10_157 Depth=2
	s_sleep 1
	s_cbranch_execnz .LBB10_157
	s_branch .LBB10_159
	.p2align	6
.LBB10_156:                             ;   in Loop: Header=BB10_2 Depth=1
	s_branch .LBB10_159
.LBB10_157:                             ;   Parent Loop BB10_2 Depth=1
                                        ; =>  This Inner Loop Header: Depth=2
	v_mov_b32_e32 v0, 1
	s_and_saveexec_b32 s5, s4
	s_cbranch_execz .LBB10_154
; %bb.158:                              ;   in Loop: Header=BB10_157 Depth=2
	global_load_dword v0, v[10:11], off offset:20 glc dlc
	s_waitcnt vmcnt(0)
	buffer_gl1_inv
	buffer_gl0_inv
	v_and_b32_e32 v0, 1, v0
	s_branch .LBB10_154
.LBB10_159:                             ;   in Loop: Header=BB10_2 Depth=1
	s_and_saveexec_b32 s5, s4
	s_cbranch_execz .LBB10_1
; %bb.160:                              ;   in Loop: Header=BB10_2 Depth=1
	s_clause 0x2
	global_load_dwordx2 v[2:3], v49, s[28:29] offset:40
	global_load_dwordx2 v[6:7], v49, s[28:29] offset:24 glc dlc
	global_load_dwordx2 v[4:5], v49, s[28:29]
	s_waitcnt vmcnt(2)
	v_add_co_u32 v8, vcc_lo, v2, 1
	v_add_co_ci_u32_e32 v9, vcc_lo, 0, v3, vcc_lo
	v_add_co_u32 v0, vcc_lo, v8, s6
	v_add_co_ci_u32_e32 v1, vcc_lo, s7, v9, vcc_lo
	v_cmp_eq_u64_e32 vcc_lo, 0, v[0:1]
	v_cndmask_b32_e32 v1, v1, v9, vcc_lo
	v_cndmask_b32_e32 v0, v0, v8, vcc_lo
	v_and_b32_e32 v3, v1, v3
	v_and_b32_e32 v2, v0, v2
	v_mul_lo_u32 v3, v3, 24
	v_mul_hi_u32 v8, v2, 24
	v_mul_lo_u32 v2, v2, 24
	v_add_nc_u32_e32 v3, v8, v3
	s_waitcnt vmcnt(0)
	v_add_co_u32 v4, vcc_lo, v4, v2
	v_mov_b32_e32 v2, v6
	v_add_co_ci_u32_e32 v5, vcc_lo, v5, v3, vcc_lo
	v_mov_b32_e32 v3, v7
	global_store_dwordx2 v[4:5], v[6:7], off
	s_waitcnt_vscnt null, 0x0
	global_atomic_cmpswap_x2 v[2:3], v49, v[0:3], s[28:29] offset:24 glc
	s_waitcnt vmcnt(0)
	v_cmp_ne_u64_e32 vcc_lo, v[2:3], v[6:7]
	s_and_b32 exec_lo, exec_lo, vcc_lo
	s_cbranch_execz .LBB10_1
; %bb.161:                              ;   in Loop: Header=BB10_2 Depth=1
	s_mov_b32 s4, 0
.LBB10_162:                             ;   Parent Loop BB10_2 Depth=1
                                        ; =>  This Inner Loop Header: Depth=2
	s_sleep 1
	global_store_dwordx2 v[4:5], v[2:3], off
	s_waitcnt_vscnt null, 0x0
	global_atomic_cmpswap_x2 v[6:7], v49, v[0:3], s[28:29] offset:24 glc
	s_waitcnt vmcnt(0)
	v_cmp_eq_u64_e32 vcc_lo, v[6:7], v[2:3]
	v_mov_b32_e32 v2, v6
	v_mov_b32_e32 v3, v7
	s_or_b32 s4, vcc_lo, s4
	s_andn2_b32 exec_lo, exec_lo, s4
	s_cbranch_execnz .LBB10_162
	s_branch .LBB10_1
.LBB10_163:
	s_getpc_b64 s[24:25]
	s_add_u32 s24, s24, .str.8@rel32@lo+4
	s_addc_u32 s25, s25, .str.8@rel32@hi+12
	v_mov_b32_e32 v0, s24
	v_mov_b32_e32 v1, s25
	s_mov_b64 s[8:9], s[22:23]
	s_getpc_b64 s[26:27]
	s_add_u32 s26, s26, _ZNK8migraphx13basic_printerIZNS_4coutEvEUlT_E_ElsEPKc@rel32@lo+4
	s_addc_u32 s27, s27, _ZNK8migraphx13basic_printerIZNS_4coutEvEUlT_E_ElsEPKc@rel32@hi+12
	s_swappc_b64 s[30:31], s[26:27]
	s_getpc_b64 s[4:5]
	s_add_u32 s4, s4, .str.10@rel32@lo+4
	s_addc_u32 s5, s5, .str.10@rel32@hi+12
	v_mov_b32_e32 v0, s4
	v_mov_b32_e32 v1, s5
	s_mov_b64 s[8:9], s[22:23]
	s_swappc_b64 s[30:31], s[26:27]
	v_mov_b32_e32 v0, s24
	v_mov_b32_e32 v1, s25
	s_mov_b64 s[8:9], s[22:23]
	s_swappc_b64 s[30:31], s[26:27]
	flat_load_dwordx2 v[36:37], v[36:37] offset:8
	v_readfirstlane_b32 s4, v65
	v_mov_b32_e32 v6, 0
	v_mov_b32_e32 v7, 0
	v_cmp_eq_u32_e64 s4, s4, v65
	s_waitcnt vmcnt(0) lgkmcnt(0)
	flat_load_dword v31, v[36:37]
	s_and_saveexec_b32 s5, s4
	s_cbranch_execz .LBB10_169
; %bb.164:
	v_mov_b32_e32 v0, 0
	s_mov_b32 s6, exec_lo
	global_load_dwordx2 v[3:4], v0, s[28:29] offset:24 glc dlc
	s_waitcnt vmcnt(0)
	buffer_gl1_inv
	buffer_gl0_inv
	s_clause 0x1
	global_load_dwordx2 v[1:2], v0, s[28:29] offset:40
	global_load_dwordx2 v[5:6], v0, s[28:29]
	s_waitcnt vmcnt(1)
	v_and_b32_e32 v2, v2, v4
	v_and_b32_e32 v1, v1, v3
	v_mul_lo_u32 v2, v2, 24
	v_mul_hi_u32 v7, v1, 24
	v_mul_lo_u32 v1, v1, 24
	v_add_nc_u32_e32 v2, v7, v2
	s_waitcnt vmcnt(0)
	v_add_co_u32 v1, vcc_lo, v5, v1
	v_add_co_ci_u32_e32 v2, vcc_lo, v6, v2, vcc_lo
	global_load_dwordx2 v[1:2], v[1:2], off glc dlc
	s_waitcnt vmcnt(0)
	global_atomic_cmpswap_x2 v[6:7], v0, v[1:4], s[28:29] offset:24 glc
	s_waitcnt vmcnt(0)
	buffer_gl1_inv
	buffer_gl0_inv
	v_cmpx_ne_u64_e64 v[6:7], v[3:4]
	s_cbranch_execz .LBB10_168
; %bb.165:
	s_mov_b32 s7, 0
	.p2align	6
.LBB10_166:                             ; =>This Inner Loop Header: Depth=1
	s_sleep 1
	s_clause 0x1
	global_load_dwordx2 v[1:2], v0, s[28:29] offset:40
	global_load_dwordx2 v[8:9], v0, s[28:29]
	v_mov_b32_e32 v3, v6
	v_mov_b32_e32 v4, v7
	s_waitcnt vmcnt(1)
	v_and_b32_e32 v1, v1, v3
	v_and_b32_e32 v2, v2, v4
	s_waitcnt vmcnt(0)
	v_mad_u64_u32 v[5:6], null, v1, 24, v[8:9]
	v_mov_b32_e32 v1, v6
	v_mad_u64_u32 v[1:2], null, v2, 24, v[1:2]
	v_mov_b32_e32 v6, v1
	global_load_dwordx2 v[1:2], v[5:6], off glc dlc
	s_waitcnt vmcnt(0)
	global_atomic_cmpswap_x2 v[6:7], v0, v[1:4], s[28:29] offset:24 glc
	s_waitcnt vmcnt(0)
	buffer_gl1_inv
	buffer_gl0_inv
	v_cmp_eq_u64_e32 vcc_lo, v[6:7], v[3:4]
	s_or_b32 s7, vcc_lo, s7
	s_andn2_b32 exec_lo, exec_lo, s7
	s_cbranch_execnz .LBB10_166
; %bb.167:
	s_or_b32 exec_lo, exec_lo, s7
.LBB10_168:
	s_or_b32 exec_lo, exec_lo, s6
.LBB10_169:
	s_or_b32 exec_lo, exec_lo, s5
	v_mov_b32_e32 v5, 0
	v_readfirstlane_b32 s6, v6
	v_readfirstlane_b32 s7, v7
	s_mov_b32 s5, exec_lo
	s_clause 0x1
	global_load_dwordx2 v[8:9], v5, s[28:29] offset:40
	global_load_dwordx4 v[0:3], v5, s[28:29]
	s_waitcnt vmcnt(1)
	v_readfirstlane_b32 s8, v8
	v_readfirstlane_b32 s9, v9
	s_and_b64 s[8:9], s[6:7], s[8:9]
	s_mul_i32 s10, s9, 24
	s_mul_hi_u32 s11, s8, 24
	s_mul_i32 s12, s8, 24
	s_add_i32 s11, s11, s10
	s_waitcnt vmcnt(0)
	v_add_co_u32 v8, vcc_lo, v0, s12
	v_add_co_ci_u32_e32 v9, vcc_lo, s11, v1, vcc_lo
	s_and_saveexec_b32 s10, s4
	s_cbranch_execz .LBB10_171
; %bb.170:
	v_mov_b32_e32 v4, s5
	v_mov_b32_e32 v6, 2
	;; [unrolled: 1-line block ×3, first 2 shown]
	global_store_dwordx4 v[8:9], v[4:7], off offset:8
.LBB10_171:
	s_or_b32 exec_lo, exec_lo, s10
	s_lshl_b64 s[8:9], s[8:9], 12
	v_mov_b32_e32 v4, 33
	v_add_co_u32 v2, vcc_lo, v2, s8
	v_add_co_ci_u32_e32 v3, vcc_lo, s9, v3, vcc_lo
	s_mov_b32 s8, 0
	v_add_co_u32 v10, vcc_lo, v2, v64
	s_mov_b32 s11, s8
	s_mov_b32 s9, s8
	;; [unrolled: 1-line block ×3, first 2 shown]
	v_mov_b32_e32 v6, v5
	v_mov_b32_e32 v7, v5
	v_readfirstlane_b32 s12, v2
	v_readfirstlane_b32 s13, v3
	v_mov_b32_e32 v15, s11
	v_add_co_ci_u32_e32 v11, vcc_lo, 0, v3, vcc_lo
	v_mov_b32_e32 v14, s10
	v_mov_b32_e32 v13, s9
	;; [unrolled: 1-line block ×3, first 2 shown]
	global_store_dwordx4 v64, v[4:7], s[12:13]
	global_store_dwordx4 v64, v[12:15], s[12:13] offset:16
	global_store_dwordx4 v64, v[12:15], s[12:13] offset:32
	;; [unrolled: 1-line block ×3, first 2 shown]
	s_and_saveexec_b32 s5, s4
	s_cbranch_execz .LBB10_179
; %bb.172:
	v_mov_b32_e32 v6, 0
	v_mov_b32_e32 v12, s6
	;; [unrolled: 1-line block ×3, first 2 shown]
	s_clause 0x1
	global_load_dwordx2 v[14:15], v6, s[28:29] offset:32 glc dlc
	global_load_dwordx2 v[2:3], v6, s[28:29] offset:40
	s_waitcnt vmcnt(0)
	v_readfirstlane_b32 s8, v2
	v_readfirstlane_b32 s9, v3
	s_and_b64 s[8:9], s[8:9], s[6:7]
	s_mul_i32 s9, s9, 24
	s_mul_hi_u32 s10, s8, 24
	s_mul_i32 s8, s8, 24
	s_add_i32 s10, s10, s9
	v_add_co_u32 v4, vcc_lo, v0, s8
	v_add_co_ci_u32_e32 v5, vcc_lo, s10, v1, vcc_lo
	s_mov_b32 s8, exec_lo
	global_store_dwordx2 v[4:5], v[14:15], off
	s_waitcnt_vscnt null, 0x0
	global_atomic_cmpswap_x2 v[2:3], v6, v[12:15], s[28:29] offset:32 glc
	s_waitcnt vmcnt(0)
	v_cmpx_ne_u64_e64 v[2:3], v[14:15]
	s_cbranch_execz .LBB10_175
; %bb.173:
	s_mov_b32 s9, 0
.LBB10_174:                             ; =>This Inner Loop Header: Depth=1
	v_mov_b32_e32 v0, s6
	v_mov_b32_e32 v1, s7
	s_sleep 1
	global_store_dwordx2 v[4:5], v[2:3], off
	s_waitcnt_vscnt null, 0x0
	global_atomic_cmpswap_x2 v[0:1], v6, v[0:3], s[28:29] offset:32 glc
	s_waitcnt vmcnt(0)
	v_cmp_eq_u64_e32 vcc_lo, v[0:1], v[2:3]
	v_mov_b32_e32 v3, v1
	v_mov_b32_e32 v2, v0
	s_or_b32 s9, vcc_lo, s9
	s_andn2_b32 exec_lo, exec_lo, s9
	s_cbranch_execnz .LBB10_174
.LBB10_175:
	s_or_b32 exec_lo, exec_lo, s8
	v_mov_b32_e32 v3, 0
	s_mov_b32 s9, exec_lo
	s_mov_b32 s8, exec_lo
	v_mbcnt_lo_u32_b32 v2, s9, 0
	global_load_dwordx2 v[0:1], v3, s[28:29] offset:16
	v_cmpx_eq_u32_e32 0, v2
	s_cbranch_execz .LBB10_177
; %bb.176:
	s_bcnt1_i32_b32 s9, s9
	v_mov_b32_e32 v2, s9
	s_waitcnt vmcnt(0)
	global_atomic_add_x2 v[0:1], v[2:3], off offset:8
.LBB10_177:
	s_or_b32 exec_lo, exec_lo, s8
	s_waitcnt vmcnt(0)
	global_load_dwordx2 v[2:3], v[0:1], off offset:16
	s_waitcnt vmcnt(0)
	v_cmp_eq_u64_e32 vcc_lo, 0, v[2:3]
	s_cbranch_vccnz .LBB10_179
; %bb.178:
	global_load_dword v0, v[0:1], off offset:24
	v_mov_b32_e32 v1, 0
	s_waitcnt vmcnt(0)
	v_and_b32_e32 v4, 0x7fffff, v0
	s_waitcnt_vscnt null, 0x0
	global_store_dwordx2 v[2:3], v[0:1], off
	v_readfirstlane_b32 m0, v4
	s_sendmsg sendmsg(MSG_INTERRUPT)
.LBB10_179:
	s_or_b32 exec_lo, exec_lo, s5
	s_branch .LBB10_183
	.p2align	6
.LBB10_180:                             ;   in Loop: Header=BB10_183 Depth=1
	s_or_b32 exec_lo, exec_lo, s5
	v_readfirstlane_b32 s5, v0
	s_cmp_eq_u32 s5, 0
	s_cbranch_scc1 .LBB10_182
; %bb.181:                              ;   in Loop: Header=BB10_183 Depth=1
	s_sleep 1
	s_cbranch_execnz .LBB10_183
	s_branch .LBB10_185
	.p2align	6
.LBB10_182:
	s_branch .LBB10_185
.LBB10_183:                             ; =>This Inner Loop Header: Depth=1
	v_mov_b32_e32 v0, 1
	s_and_saveexec_b32 s5, s4
	s_cbranch_execz .LBB10_180
; %bb.184:                              ;   in Loop: Header=BB10_183 Depth=1
	global_load_dword v0, v[8:9], off offset:20 glc dlc
	s_waitcnt vmcnt(0)
	buffer_gl1_inv
	buffer_gl0_inv
	v_and_b32_e32 v0, 1, v0
	s_branch .LBB10_180
.LBB10_185:
	global_load_dwordx2 v[0:1], v[10:11], off
	s_and_saveexec_b32 s5, s4
	s_cbranch_execz .LBB10_189
; %bb.186:
	v_mov_b32_e32 v8, 0
	s_clause 0x2
	global_load_dwordx2 v[4:5], v8, s[28:29] offset:40
	global_load_dwordx2 v[9:10], v8, s[28:29] offset:24 glc dlc
	global_load_dwordx2 v[6:7], v8, s[28:29]
	s_waitcnt vmcnt(2)
	v_add_co_u32 v11, vcc_lo, v4, 1
	v_add_co_ci_u32_e32 v12, vcc_lo, 0, v5, vcc_lo
	v_add_co_u32 v2, vcc_lo, v11, s6
	v_add_co_ci_u32_e32 v3, vcc_lo, s7, v12, vcc_lo
	v_cmp_eq_u64_e32 vcc_lo, 0, v[2:3]
	v_cndmask_b32_e32 v3, v3, v12, vcc_lo
	v_cndmask_b32_e32 v2, v2, v11, vcc_lo
	v_and_b32_e32 v5, v3, v5
	v_and_b32_e32 v4, v2, v4
	v_mul_lo_u32 v5, v5, 24
	v_mul_hi_u32 v11, v4, 24
	v_mul_lo_u32 v4, v4, 24
	v_add_nc_u32_e32 v5, v11, v5
	s_waitcnt vmcnt(0)
	v_add_co_u32 v6, vcc_lo, v6, v4
	v_mov_b32_e32 v4, v9
	v_add_co_ci_u32_e32 v7, vcc_lo, v7, v5, vcc_lo
	v_mov_b32_e32 v5, v10
	global_store_dwordx2 v[6:7], v[9:10], off
	s_waitcnt_vscnt null, 0x0
	global_atomic_cmpswap_x2 v[4:5], v8, v[2:5], s[28:29] offset:24 glc
	s_waitcnt vmcnt(0)
	v_cmp_ne_u64_e32 vcc_lo, v[4:5], v[9:10]
	s_and_b32 exec_lo, exec_lo, vcc_lo
	s_cbranch_execz .LBB10_189
; %bb.187:
	s_mov_b32 s4, 0
.LBB10_188:                             ; =>This Inner Loop Header: Depth=1
	s_sleep 1
	global_store_dwordx2 v[6:7], v[4:5], off
	s_waitcnt_vscnt null, 0x0
	global_atomic_cmpswap_x2 v[9:10], v8, v[2:5], s[28:29] offset:24 glc
	s_waitcnt vmcnt(0)
	v_cmp_eq_u64_e32 vcc_lo, v[9:10], v[4:5]
	v_mov_b32_e32 v4, v9
	v_mov_b32_e32 v5, v10
	s_or_b32 s4, vcc_lo, s4
	s_andn2_b32 exec_lo, exec_lo, s4
	s_cbranch_execnz .LBB10_188
.LBB10_189:
	s_or_b32 exec_lo, exec_lo, s5
	s_and_b32 vcc_lo, exec_lo, s36
	s_cbranch_vccz .LBB10_268
; %bb.190:
	s_waitcnt vmcnt(0)
	v_and_b32_e32 v32, 2, v0
	v_mov_b32_e32 v6, 0
	v_and_b32_e32 v2, -3, v0
	v_mov_b32_e32 v3, v1
	v_mov_b32_e32 v7, 2
	;; [unrolled: 1-line block ×3, first 2 shown]
	s_mov_b64 s[8:9], 4
	s_getpc_b64 s[6:7]
	s_add_u32 s6, s6, .str.7@rel32@lo+4
	s_addc_u32 s7, s7, .str.7@rel32@hi+12
	s_branch .LBB10_192
.LBB10_191:                             ;   in Loop: Header=BB10_192 Depth=1
	s_or_b32 exec_lo, exec_lo, s5
	s_sub_u32 s8, s8, s10
	s_subb_u32 s9, s9, s11
	s_add_u32 s6, s6, s10
	s_addc_u32 s7, s7, s11
	s_cmp_lg_u64 s[8:9], 0
	s_cbranch_scc0 .LBB10_267
.LBB10_192:                             ; =>This Loop Header: Depth=1
                                        ;     Child Loop BB10_201 Depth 2
                                        ;     Child Loop BB10_197 Depth 2
                                        ;     Child Loop BB10_209 Depth 2
                                        ;     Child Loop BB10_216 Depth 2
                                        ;     Child Loop BB10_223 Depth 2
                                        ;     Child Loop BB10_230 Depth 2
                                        ;     Child Loop BB10_237 Depth 2
                                        ;     Child Loop BB10_244 Depth 2
                                        ;     Child Loop BB10_252 Depth 2
                                        ;     Child Loop BB10_261 Depth 2
                                        ;     Child Loop BB10_266 Depth 2
	v_cmp_lt_u64_e64 s4, s[8:9], 56
	v_cmp_gt_u64_e64 s5, s[8:9], 7
                                        ; implicit-def: $vgpr11_vgpr12
                                        ; implicit-def: $sgpr16
	s_and_b32 s4, s4, exec_lo
	s_cselect_b32 s11, s9, 0
	s_cselect_b32 s10, s8, 56
	s_and_b32 vcc_lo, exec_lo, s5
	s_mov_b32 s4, -1
	s_cbranch_vccz .LBB10_199
; %bb.193:                              ;   in Loop: Header=BB10_192 Depth=1
	s_andn2_b32 vcc_lo, exec_lo, s4
	s_mov_b64 s[4:5], s[6:7]
	s_cbranch_vccz .LBB10_203
.LBB10_194:                             ;   in Loop: Header=BB10_192 Depth=1
	s_cmp_gt_u32 s16, 7
	s_cbranch_scc1 .LBB10_204
.LBB10_195:                             ;   in Loop: Header=BB10_192 Depth=1
	v_mov_b32_e32 v13, 0
	v_mov_b32_e32 v14, 0
	s_cmp_eq_u32 s16, 0
	s_cbranch_scc1 .LBB10_198
; %bb.196:                              ;   in Loop: Header=BB10_192 Depth=1
	s_mov_b64 s[12:13], 0
	s_mov_b64 s[14:15], 0
.LBB10_197:                             ;   Parent Loop BB10_192 Depth=1
                                        ; =>  This Inner Loop Header: Depth=2
	s_add_u32 s18, s4, s14
	s_addc_u32 s19, s5, s15
	s_add_u32 s14, s14, 1
	global_load_ubyte v4, v6, s[18:19]
	s_addc_u32 s15, s15, 0
	s_waitcnt vmcnt(0)
	v_and_b32_e32 v5, 0xffff, v4
	v_lshlrev_b64 v[4:5], s12, v[5:6]
	s_add_u32 s12, s12, 8
	s_addc_u32 s13, s13, 0
	s_cmp_lg_u32 s16, s14
	v_or_b32_e32 v13, v4, v13
	v_or_b32_e32 v14, v5, v14
	s_cbranch_scc1 .LBB10_197
.LBB10_198:                             ;   in Loop: Header=BB10_192 Depth=1
	s_mov_b32 s17, 0
	s_cbranch_execz .LBB10_205
	s_branch .LBB10_206
.LBB10_199:                             ;   in Loop: Header=BB10_192 Depth=1
	v_mov_b32_e32 v11, 0
	v_mov_b32_e32 v12, 0
	s_cmp_eq_u64 s[8:9], 0
	s_mov_b64 s[4:5], 0
	s_cbranch_scc1 .LBB10_202
; %bb.200:                              ;   in Loop: Header=BB10_192 Depth=1
	v_mov_b32_e32 v11, 0
	v_mov_b32_e32 v12, 0
	s_lshl_b64 s[12:13], s[10:11], 3
	s_mov_b64 s[14:15], s[6:7]
.LBB10_201:                             ;   Parent Loop BB10_192 Depth=1
                                        ; =>  This Inner Loop Header: Depth=2
	global_load_ubyte v4, v6, s[14:15]
	s_waitcnt vmcnt(0)
	v_and_b32_e32 v5, 0xffff, v4
	v_lshlrev_b64 v[4:5], s4, v[5:6]
	s_add_u32 s4, s4, 8
	s_addc_u32 s5, s5, 0
	s_add_u32 s14, s14, 1
	s_addc_u32 s15, s15, 0
	s_cmp_lg_u32 s12, s4
	v_or_b32_e32 v11, v4, v11
	v_or_b32_e32 v12, v5, v12
	s_cbranch_scc1 .LBB10_201
.LBB10_202:                             ;   in Loop: Header=BB10_192 Depth=1
	s_mov_b32 s16, 0
	s_mov_b64 s[4:5], s[6:7]
	s_cbranch_execnz .LBB10_194
.LBB10_203:                             ;   in Loop: Header=BB10_192 Depth=1
	global_load_dwordx2 v[11:12], v6, s[6:7]
	s_add_i32 s16, s10, -8
	s_add_u32 s4, s6, 8
	s_addc_u32 s5, s7, 0
	s_cmp_gt_u32 s16, 7
	s_cbranch_scc0 .LBB10_195
.LBB10_204:                             ;   in Loop: Header=BB10_192 Depth=1
                                        ; implicit-def: $vgpr13_vgpr14
                                        ; implicit-def: $sgpr17
.LBB10_205:                             ;   in Loop: Header=BB10_192 Depth=1
	global_load_dwordx2 v[13:14], v6, s[4:5]
	s_add_i32 s17, s16, -8
	s_add_u32 s4, s4, 8
	s_addc_u32 s5, s5, 0
.LBB10_206:                             ;   in Loop: Header=BB10_192 Depth=1
	s_cmp_gt_u32 s17, 7
	s_cbranch_scc1 .LBB10_211
; %bb.207:                              ;   in Loop: Header=BB10_192 Depth=1
	v_mov_b32_e32 v15, 0
	v_mov_b32_e32 v16, 0
	s_cmp_eq_u32 s17, 0
	s_cbranch_scc1 .LBB10_210
; %bb.208:                              ;   in Loop: Header=BB10_192 Depth=1
	s_mov_b64 s[12:13], 0
	s_mov_b64 s[14:15], 0
.LBB10_209:                             ;   Parent Loop BB10_192 Depth=1
                                        ; =>  This Inner Loop Header: Depth=2
	s_add_u32 s18, s4, s14
	s_addc_u32 s19, s5, s15
	s_add_u32 s14, s14, 1
	global_load_ubyte v4, v6, s[18:19]
	s_addc_u32 s15, s15, 0
	s_waitcnt vmcnt(0)
	v_and_b32_e32 v5, 0xffff, v4
	v_lshlrev_b64 v[4:5], s12, v[5:6]
	s_add_u32 s12, s12, 8
	s_addc_u32 s13, s13, 0
	s_cmp_lg_u32 s17, s14
	v_or_b32_e32 v15, v4, v15
	v_or_b32_e32 v16, v5, v16
	s_cbranch_scc1 .LBB10_209
.LBB10_210:                             ;   in Loop: Header=BB10_192 Depth=1
	s_mov_b32 s16, 0
	s_cbranch_execz .LBB10_212
	s_branch .LBB10_213
.LBB10_211:                             ;   in Loop: Header=BB10_192 Depth=1
                                        ; implicit-def: $sgpr16
.LBB10_212:                             ;   in Loop: Header=BB10_192 Depth=1
	global_load_dwordx2 v[15:16], v6, s[4:5]
	s_add_i32 s16, s17, -8
	s_add_u32 s4, s4, 8
	s_addc_u32 s5, s5, 0
.LBB10_213:                             ;   in Loop: Header=BB10_192 Depth=1
	s_cmp_gt_u32 s16, 7
	s_cbranch_scc1 .LBB10_218
; %bb.214:                              ;   in Loop: Header=BB10_192 Depth=1
	v_mov_b32_e32 v17, 0
	v_mov_b32_e32 v18, 0
	s_cmp_eq_u32 s16, 0
	s_cbranch_scc1 .LBB10_217
; %bb.215:                              ;   in Loop: Header=BB10_192 Depth=1
	s_mov_b64 s[12:13], 0
	s_mov_b64 s[14:15], 0
.LBB10_216:                             ;   Parent Loop BB10_192 Depth=1
                                        ; =>  This Inner Loop Header: Depth=2
	s_add_u32 s18, s4, s14
	s_addc_u32 s19, s5, s15
	s_add_u32 s14, s14, 1
	global_load_ubyte v4, v6, s[18:19]
	s_addc_u32 s15, s15, 0
	s_waitcnt vmcnt(0)
	v_and_b32_e32 v5, 0xffff, v4
	v_lshlrev_b64 v[4:5], s12, v[5:6]
	s_add_u32 s12, s12, 8
	s_addc_u32 s13, s13, 0
	s_cmp_lg_u32 s16, s14
	v_or_b32_e32 v17, v4, v17
	v_or_b32_e32 v18, v5, v18
	s_cbranch_scc1 .LBB10_216
.LBB10_217:                             ;   in Loop: Header=BB10_192 Depth=1
	s_mov_b32 s17, 0
	s_cbranch_execz .LBB10_219
	s_branch .LBB10_220
.LBB10_218:                             ;   in Loop: Header=BB10_192 Depth=1
                                        ; implicit-def: $vgpr17_vgpr18
                                        ; implicit-def: $sgpr17
.LBB10_219:                             ;   in Loop: Header=BB10_192 Depth=1
	global_load_dwordx2 v[17:18], v6, s[4:5]
	s_add_i32 s17, s16, -8
	s_add_u32 s4, s4, 8
	s_addc_u32 s5, s5, 0
.LBB10_220:                             ;   in Loop: Header=BB10_192 Depth=1
	s_cmp_gt_u32 s17, 7
	s_cbranch_scc1 .LBB10_225
; %bb.221:                              ;   in Loop: Header=BB10_192 Depth=1
	v_mov_b32_e32 v19, 0
	v_mov_b32_e32 v20, 0
	s_cmp_eq_u32 s17, 0
	s_cbranch_scc1 .LBB10_224
; %bb.222:                              ;   in Loop: Header=BB10_192 Depth=1
	s_mov_b64 s[12:13], 0
	s_mov_b64 s[14:15], 0
.LBB10_223:                             ;   Parent Loop BB10_192 Depth=1
                                        ; =>  This Inner Loop Header: Depth=2
	s_add_u32 s18, s4, s14
	s_addc_u32 s19, s5, s15
	s_add_u32 s14, s14, 1
	global_load_ubyte v4, v6, s[18:19]
	s_addc_u32 s15, s15, 0
	s_waitcnt vmcnt(0)
	v_and_b32_e32 v5, 0xffff, v4
	v_lshlrev_b64 v[4:5], s12, v[5:6]
	s_add_u32 s12, s12, 8
	s_addc_u32 s13, s13, 0
	s_cmp_lg_u32 s17, s14
	v_or_b32_e32 v19, v4, v19
	v_or_b32_e32 v20, v5, v20
	s_cbranch_scc1 .LBB10_223
.LBB10_224:                             ;   in Loop: Header=BB10_192 Depth=1
	s_mov_b32 s16, 0
	s_cbranch_execz .LBB10_226
	s_branch .LBB10_227
.LBB10_225:                             ;   in Loop: Header=BB10_192 Depth=1
                                        ; implicit-def: $sgpr16
.LBB10_226:                             ;   in Loop: Header=BB10_192 Depth=1
	global_load_dwordx2 v[19:20], v6, s[4:5]
	s_add_i32 s16, s17, -8
	s_add_u32 s4, s4, 8
	s_addc_u32 s5, s5, 0
.LBB10_227:                             ;   in Loop: Header=BB10_192 Depth=1
	s_cmp_gt_u32 s16, 7
	s_cbranch_scc1 .LBB10_232
; %bb.228:                              ;   in Loop: Header=BB10_192 Depth=1
	v_mov_b32_e32 v21, 0
	v_mov_b32_e32 v22, 0
	s_cmp_eq_u32 s16, 0
	s_cbranch_scc1 .LBB10_231
; %bb.229:                              ;   in Loop: Header=BB10_192 Depth=1
	s_mov_b64 s[12:13], 0
	s_mov_b64 s[14:15], 0
.LBB10_230:                             ;   Parent Loop BB10_192 Depth=1
                                        ; =>  This Inner Loop Header: Depth=2
	s_add_u32 s18, s4, s14
	s_addc_u32 s19, s5, s15
	s_add_u32 s14, s14, 1
	global_load_ubyte v4, v6, s[18:19]
	s_addc_u32 s15, s15, 0
	s_waitcnt vmcnt(0)
	v_and_b32_e32 v5, 0xffff, v4
	v_lshlrev_b64 v[4:5], s12, v[5:6]
	s_add_u32 s12, s12, 8
	s_addc_u32 s13, s13, 0
	s_cmp_lg_u32 s16, s14
	v_or_b32_e32 v21, v4, v21
	v_or_b32_e32 v22, v5, v22
	s_cbranch_scc1 .LBB10_230
.LBB10_231:                             ;   in Loop: Header=BB10_192 Depth=1
	s_mov_b32 s17, 0
	s_cbranch_execz .LBB10_233
	s_branch .LBB10_234
.LBB10_232:                             ;   in Loop: Header=BB10_192 Depth=1
                                        ; implicit-def: $vgpr21_vgpr22
                                        ; implicit-def: $sgpr17
.LBB10_233:                             ;   in Loop: Header=BB10_192 Depth=1
	global_load_dwordx2 v[21:22], v6, s[4:5]
	s_add_i32 s17, s16, -8
	s_add_u32 s4, s4, 8
	s_addc_u32 s5, s5, 0
.LBB10_234:                             ;   in Loop: Header=BB10_192 Depth=1
	s_cmp_gt_u32 s17, 7
	s_cbranch_scc1 .LBB10_239
; %bb.235:                              ;   in Loop: Header=BB10_192 Depth=1
	v_mov_b32_e32 v23, 0
	v_mov_b32_e32 v24, 0
	s_cmp_eq_u32 s17, 0
	s_cbranch_scc1 .LBB10_238
; %bb.236:                              ;   in Loop: Header=BB10_192 Depth=1
	s_mov_b64 s[12:13], 0
	s_mov_b64 s[14:15], s[4:5]
.LBB10_237:                             ;   Parent Loop BB10_192 Depth=1
                                        ; =>  This Inner Loop Header: Depth=2
	global_load_ubyte v4, v6, s[14:15]
	s_add_i32 s17, s17, -1
	s_waitcnt vmcnt(0)
	v_and_b32_e32 v5, 0xffff, v4
	v_lshlrev_b64 v[4:5], s12, v[5:6]
	s_add_u32 s12, s12, 8
	s_addc_u32 s13, s13, 0
	s_add_u32 s14, s14, 1
	s_addc_u32 s15, s15, 0
	s_cmp_lg_u32 s17, 0
	v_or_b32_e32 v23, v4, v23
	v_or_b32_e32 v24, v5, v24
	s_cbranch_scc1 .LBB10_237
.LBB10_238:                             ;   in Loop: Header=BB10_192 Depth=1
	s_cbranch_execz .LBB10_240
	s_branch .LBB10_241
.LBB10_239:                             ;   in Loop: Header=BB10_192 Depth=1
.LBB10_240:                             ;   in Loop: Header=BB10_192 Depth=1
	global_load_dwordx2 v[23:24], v6, s[4:5]
.LBB10_241:                             ;   in Loop: Header=BB10_192 Depth=1
	v_readfirstlane_b32 s4, v65
	s_waitcnt vmcnt(0)
	v_mov_b32_e32 v4, 0
	v_mov_b32_e32 v5, 0
	v_cmp_eq_u32_e64 s4, s4, v65
	s_and_saveexec_b32 s5, s4
	s_cbranch_execz .LBB10_247
; %bb.242:                              ;   in Loop: Header=BB10_192 Depth=1
	global_load_dwordx2 v[27:28], v6, s[28:29] offset:24 glc dlc
	s_waitcnt vmcnt(0)
	buffer_gl1_inv
	buffer_gl0_inv
	s_clause 0x1
	global_load_dwordx2 v[4:5], v6, s[28:29] offset:40
	global_load_dwordx2 v[9:10], v6, s[28:29]
	s_mov_b32 s12, exec_lo
	s_waitcnt vmcnt(1)
	v_and_b32_e32 v5, v5, v28
	v_and_b32_e32 v4, v4, v27
	v_mul_lo_u32 v5, v5, 24
	v_mul_hi_u32 v25, v4, 24
	v_mul_lo_u32 v4, v4, 24
	v_add_nc_u32_e32 v5, v25, v5
	s_waitcnt vmcnt(0)
	v_add_co_u32 v4, vcc_lo, v9, v4
	v_add_co_ci_u32_e32 v5, vcc_lo, v10, v5, vcc_lo
	global_load_dwordx2 v[25:26], v[4:5], off glc dlc
	s_waitcnt vmcnt(0)
	global_atomic_cmpswap_x2 v[4:5], v6, v[25:28], s[28:29] offset:24 glc
	s_waitcnt vmcnt(0)
	buffer_gl1_inv
	buffer_gl0_inv
	v_cmpx_ne_u64_e64 v[4:5], v[27:28]
	s_cbranch_execz .LBB10_246
; %bb.243:                              ;   in Loop: Header=BB10_192 Depth=1
	s_mov_b32 s13, 0
	.p2align	6
.LBB10_244:                             ;   Parent Loop BB10_192 Depth=1
                                        ; =>  This Inner Loop Header: Depth=2
	s_sleep 1
	s_clause 0x1
	global_load_dwordx2 v[9:10], v6, s[28:29] offset:40
	global_load_dwordx2 v[25:26], v6, s[28:29]
	v_mov_b32_e32 v28, v5
	v_mov_b32_e32 v27, v4
	s_waitcnt vmcnt(1)
	v_and_b32_e32 v4, v9, v27
	v_and_b32_e32 v9, v10, v28
	s_waitcnt vmcnt(0)
	v_mad_u64_u32 v[4:5], null, v4, 24, v[25:26]
	v_mad_u64_u32 v[9:10], null, v9, 24, v[5:6]
	v_mov_b32_e32 v5, v9
	global_load_dwordx2 v[25:26], v[4:5], off glc dlc
	s_waitcnt vmcnt(0)
	global_atomic_cmpswap_x2 v[4:5], v6, v[25:28], s[28:29] offset:24 glc
	s_waitcnt vmcnt(0)
	buffer_gl1_inv
	buffer_gl0_inv
	v_cmp_eq_u64_e32 vcc_lo, v[4:5], v[27:28]
	s_or_b32 s13, vcc_lo, s13
	s_andn2_b32 exec_lo, exec_lo, s13
	s_cbranch_execnz .LBB10_244
; %bb.245:                              ;   in Loop: Header=BB10_192 Depth=1
	s_or_b32 exec_lo, exec_lo, s13
.LBB10_246:                             ;   in Loop: Header=BB10_192 Depth=1
	s_or_b32 exec_lo, exec_lo, s12
.LBB10_247:                             ;   in Loop: Header=BB10_192 Depth=1
	s_or_b32 exec_lo, exec_lo, s5
	s_clause 0x1
	global_load_dwordx2 v[9:10], v6, s[28:29] offset:40
	global_load_dwordx4 v[25:28], v6, s[28:29]
	v_readfirstlane_b32 s12, v4
	v_readfirstlane_b32 s13, v5
	s_mov_b32 s5, exec_lo
	s_waitcnt vmcnt(1)
	v_readfirstlane_b32 s14, v9
	v_readfirstlane_b32 s15, v10
	s_and_b64 s[14:15], s[12:13], s[14:15]
	s_mul_i32 s16, s15, 24
	s_mul_hi_u32 s17, s14, 24
	s_mul_i32 s18, s14, 24
	s_add_i32 s17, s17, s16
	s_waitcnt vmcnt(0)
	v_add_co_u32 v29, vcc_lo, v25, s18
	v_add_co_ci_u32_e32 v30, vcc_lo, s17, v26, vcc_lo
	s_and_saveexec_b32 s16, s4
	s_cbranch_execz .LBB10_249
; %bb.248:                              ;   in Loop: Header=BB10_192 Depth=1
	v_mov_b32_e32 v5, s5
	global_store_dwordx4 v[29:30], v[5:8], off offset:8
.LBB10_249:                             ;   in Loop: Header=BB10_192 Depth=1
	s_or_b32 exec_lo, exec_lo, s16
	s_lshl_b64 s[14:15], s[14:15], 12
	v_cmp_gt_u64_e64 vcc_lo, s[8:9], 56
	v_or_b32_e32 v5, v2, v32
	v_add_co_u32 v27, s5, v27, s14
	v_add_co_ci_u32_e64 v28, s5, s15, v28, s5
	s_lshl_b32 s5, s10, 2
	v_or_b32_e32 v4, 0, v3
	v_cndmask_b32_e32 v2, v5, v2, vcc_lo
	s_add_i32 s5, s5, 28
	v_readfirstlane_b32 s14, v27
	s_and_b32 s5, s5, 0x1e0
	v_cndmask_b32_e32 v10, v4, v3, vcc_lo
	v_readfirstlane_b32 s15, v28
	v_and_or_b32 v9, 0xffffff1f, v2, s5
	global_store_dwordx4 v64, v[9:12], s[14:15]
	global_store_dwordx4 v64, v[13:16], s[14:15] offset:16
	global_store_dwordx4 v64, v[17:20], s[14:15] offset:32
	global_store_dwordx4 v64, v[21:24], s[14:15] offset:48
	s_and_saveexec_b32 s5, s4
	s_cbranch_execz .LBB10_257
; %bb.250:                              ;   in Loop: Header=BB10_192 Depth=1
	s_clause 0x1
	global_load_dwordx2 v[13:14], v6, s[28:29] offset:32 glc dlc
	global_load_dwordx2 v[2:3], v6, s[28:29] offset:40
	v_mov_b32_e32 v11, s12
	v_mov_b32_e32 v12, s13
	s_waitcnt vmcnt(0)
	v_readfirstlane_b32 s14, v2
	v_readfirstlane_b32 s15, v3
	s_and_b64 s[14:15], s[14:15], s[12:13]
	s_mul_i32 s15, s15, 24
	s_mul_hi_u32 s16, s14, 24
	s_mul_i32 s14, s14, 24
	s_add_i32 s16, s16, s15
	v_add_co_u32 v9, vcc_lo, v25, s14
	v_add_co_ci_u32_e32 v10, vcc_lo, s16, v26, vcc_lo
	s_mov_b32 s14, exec_lo
	global_store_dwordx2 v[9:10], v[13:14], off
	s_waitcnt_vscnt null, 0x0
	global_atomic_cmpswap_x2 v[4:5], v6, v[11:14], s[28:29] offset:32 glc
	s_waitcnt vmcnt(0)
	v_cmpx_ne_u64_e64 v[4:5], v[13:14]
	s_cbranch_execz .LBB10_253
; %bb.251:                              ;   in Loop: Header=BB10_192 Depth=1
	s_mov_b32 s15, 0
.LBB10_252:                             ;   Parent Loop BB10_192 Depth=1
                                        ; =>  This Inner Loop Header: Depth=2
	v_mov_b32_e32 v2, s12
	v_mov_b32_e32 v3, s13
	s_sleep 1
	global_store_dwordx2 v[9:10], v[4:5], off
	s_waitcnt_vscnt null, 0x0
	global_atomic_cmpswap_x2 v[2:3], v6, v[2:5], s[28:29] offset:32 glc
	s_waitcnt vmcnt(0)
	v_cmp_eq_u64_e32 vcc_lo, v[2:3], v[4:5]
	v_mov_b32_e32 v5, v3
	v_mov_b32_e32 v4, v2
	s_or_b32 s15, vcc_lo, s15
	s_andn2_b32 exec_lo, exec_lo, s15
	s_cbranch_execnz .LBB10_252
.LBB10_253:                             ;   in Loop: Header=BB10_192 Depth=1
	s_or_b32 exec_lo, exec_lo, s14
	global_load_dwordx2 v[2:3], v6, s[28:29] offset:16
	s_mov_b32 s15, exec_lo
	s_mov_b32 s14, exec_lo
	v_mbcnt_lo_u32_b32 v4, s15, 0
	v_cmpx_eq_u32_e32 0, v4
	s_cbranch_execz .LBB10_255
; %bb.254:                              ;   in Loop: Header=BB10_192 Depth=1
	s_bcnt1_i32_b32 s15, s15
	v_mov_b32_e32 v5, s15
	s_waitcnt vmcnt(0)
	global_atomic_add_x2 v[2:3], v[5:6], off offset:8
.LBB10_255:                             ;   in Loop: Header=BB10_192 Depth=1
	s_or_b32 exec_lo, exec_lo, s14
	s_waitcnt vmcnt(0)
	global_load_dwordx2 v[9:10], v[2:3], off offset:16
	s_waitcnt vmcnt(0)
	v_cmp_eq_u64_e32 vcc_lo, 0, v[9:10]
	s_cbranch_vccnz .LBB10_257
; %bb.256:                              ;   in Loop: Header=BB10_192 Depth=1
	global_load_dword v5, v[2:3], off offset:24
	s_waitcnt vmcnt(0)
	v_and_b32_e32 v2, 0x7fffff, v5
	s_waitcnt_vscnt null, 0x0
	global_store_dwordx2 v[9:10], v[5:6], off
	v_readfirstlane_b32 m0, v2
	s_sendmsg sendmsg(MSG_INTERRUPT)
.LBB10_257:                             ;   in Loop: Header=BB10_192 Depth=1
	s_or_b32 exec_lo, exec_lo, s5
	v_add_co_u32 v2, vcc_lo, v27, v64
	v_add_co_ci_u32_e32 v3, vcc_lo, 0, v28, vcc_lo
	s_branch .LBB10_261
	.p2align	6
.LBB10_258:                             ;   in Loop: Header=BB10_261 Depth=2
	s_or_b32 exec_lo, exec_lo, s5
	v_readfirstlane_b32 s5, v4
	s_cmp_eq_u32 s5, 0
	s_cbranch_scc1 .LBB10_260
; %bb.259:                              ;   in Loop: Header=BB10_261 Depth=2
	s_sleep 1
	s_cbranch_execnz .LBB10_261
	s_branch .LBB10_263
	.p2align	6
.LBB10_260:                             ;   in Loop: Header=BB10_192 Depth=1
	s_branch .LBB10_263
.LBB10_261:                             ;   Parent Loop BB10_192 Depth=1
                                        ; =>  This Inner Loop Header: Depth=2
	v_mov_b32_e32 v4, 1
	s_and_saveexec_b32 s5, s4
	s_cbranch_execz .LBB10_258
; %bb.262:                              ;   in Loop: Header=BB10_261 Depth=2
	global_load_dword v4, v[29:30], off offset:20 glc dlc
	s_waitcnt vmcnt(0)
	buffer_gl1_inv
	buffer_gl0_inv
	v_and_b32_e32 v4, 1, v4
	s_branch .LBB10_258
.LBB10_263:                             ;   in Loop: Header=BB10_192 Depth=1
	global_load_dwordx4 v[2:5], v[2:3], off
	s_and_saveexec_b32 s5, s4
	s_cbranch_execz .LBB10_191
; %bb.264:                              ;   in Loop: Header=BB10_192 Depth=1
	s_clause 0x2
	global_load_dwordx2 v[4:5], v6, s[28:29] offset:40
	global_load_dwordx2 v[13:14], v6, s[28:29] offset:24 glc dlc
	global_load_dwordx2 v[11:12], v6, s[28:29]
	s_waitcnt vmcnt(2)
	v_add_co_u32 v15, vcc_lo, v4, 1
	v_add_co_ci_u32_e32 v16, vcc_lo, 0, v5, vcc_lo
	v_add_co_u32 v9, vcc_lo, v15, s12
	v_add_co_ci_u32_e32 v10, vcc_lo, s13, v16, vcc_lo
	v_cmp_eq_u64_e32 vcc_lo, 0, v[9:10]
	v_cndmask_b32_e32 v10, v10, v16, vcc_lo
	v_cndmask_b32_e32 v9, v9, v15, vcc_lo
	v_and_b32_e32 v5, v10, v5
	v_and_b32_e32 v4, v9, v4
	v_mul_lo_u32 v5, v5, 24
	v_mul_hi_u32 v15, v4, 24
	v_mul_lo_u32 v4, v4, 24
	v_add_nc_u32_e32 v5, v15, v5
	s_waitcnt vmcnt(0)
	v_add_co_u32 v4, vcc_lo, v11, v4
	v_mov_b32_e32 v11, v13
	v_add_co_ci_u32_e32 v5, vcc_lo, v12, v5, vcc_lo
	v_mov_b32_e32 v12, v14
	global_store_dwordx2 v[4:5], v[13:14], off
	s_waitcnt_vscnt null, 0x0
	global_atomic_cmpswap_x2 v[11:12], v6, v[9:12], s[28:29] offset:24 glc
	s_waitcnt vmcnt(0)
	v_cmp_ne_u64_e32 vcc_lo, v[11:12], v[13:14]
	s_and_b32 exec_lo, exec_lo, vcc_lo
	s_cbranch_execz .LBB10_191
; %bb.265:                              ;   in Loop: Header=BB10_192 Depth=1
	s_mov_b32 s4, 0
.LBB10_266:                             ;   Parent Loop BB10_192 Depth=1
                                        ; =>  This Inner Loop Header: Depth=2
	s_sleep 1
	global_store_dwordx2 v[4:5], v[11:12], off
	s_waitcnt_vscnt null, 0x0
	global_atomic_cmpswap_x2 v[13:14], v6, v[9:12], s[28:29] offset:24 glc
	s_waitcnt vmcnt(0)
	v_cmp_eq_u64_e32 vcc_lo, v[13:14], v[11:12]
	v_mov_b32_e32 v11, v13
	v_mov_b32_e32 v12, v14
	s_or_b32 s4, vcc_lo, s4
	s_andn2_b32 exec_lo, exec_lo, s4
	s_cbranch_execnz .LBB10_266
	s_branch .LBB10_191
.LBB10_267:
	s_branch .LBB10_296
.LBB10_268:
                                        ; implicit-def: $vgpr2_vgpr3
	s_cbranch_execz .LBB10_296
; %bb.269:
	v_readfirstlane_b32 s4, v65
	v_mov_b32_e32 v8, 0
	v_mov_b32_e32 v9, 0
	v_cmp_eq_u32_e64 s4, s4, v65
	s_and_saveexec_b32 s5, s4
	s_cbranch_execz .LBB10_275
; %bb.270:
	s_waitcnt vmcnt(0)
	v_mov_b32_e32 v2, 0
	s_mov_b32 s6, exec_lo
	global_load_dwordx2 v[5:6], v2, s[28:29] offset:24 glc dlc
	s_waitcnt vmcnt(0)
	buffer_gl1_inv
	buffer_gl0_inv
	s_clause 0x1
	global_load_dwordx2 v[3:4], v2, s[28:29] offset:40
	global_load_dwordx2 v[7:8], v2, s[28:29]
	s_waitcnt vmcnt(1)
	v_and_b32_e32 v4, v4, v6
	v_and_b32_e32 v3, v3, v5
	v_mul_lo_u32 v4, v4, 24
	v_mul_hi_u32 v9, v3, 24
	v_mul_lo_u32 v3, v3, 24
	v_add_nc_u32_e32 v4, v9, v4
	s_waitcnt vmcnt(0)
	v_add_co_u32 v3, vcc_lo, v7, v3
	v_add_co_ci_u32_e32 v4, vcc_lo, v8, v4, vcc_lo
	global_load_dwordx2 v[3:4], v[3:4], off glc dlc
	s_waitcnt vmcnt(0)
	global_atomic_cmpswap_x2 v[8:9], v2, v[3:6], s[28:29] offset:24 glc
	s_waitcnt vmcnt(0)
	buffer_gl1_inv
	buffer_gl0_inv
	v_cmpx_ne_u64_e64 v[8:9], v[5:6]
	s_cbranch_execz .LBB10_274
; %bb.271:
	s_mov_b32 s7, 0
	.p2align	6
.LBB10_272:                             ; =>This Inner Loop Header: Depth=1
	s_sleep 1
	s_clause 0x1
	global_load_dwordx2 v[3:4], v2, s[28:29] offset:40
	global_load_dwordx2 v[10:11], v2, s[28:29]
	v_mov_b32_e32 v5, v8
	v_mov_b32_e32 v6, v9
	s_waitcnt vmcnt(1)
	v_and_b32_e32 v3, v3, v5
	v_and_b32_e32 v4, v4, v6
	s_waitcnt vmcnt(0)
	v_mad_u64_u32 v[7:8], null, v3, 24, v[10:11]
	v_mov_b32_e32 v3, v8
	v_mad_u64_u32 v[3:4], null, v4, 24, v[3:4]
	v_mov_b32_e32 v8, v3
	global_load_dwordx2 v[3:4], v[7:8], off glc dlc
	s_waitcnt vmcnt(0)
	global_atomic_cmpswap_x2 v[8:9], v2, v[3:6], s[28:29] offset:24 glc
	s_waitcnt vmcnt(0)
	buffer_gl1_inv
	buffer_gl0_inv
	v_cmp_eq_u64_e32 vcc_lo, v[8:9], v[5:6]
	s_or_b32 s7, vcc_lo, s7
	s_andn2_b32 exec_lo, exec_lo, s7
	s_cbranch_execnz .LBB10_272
; %bb.273:
	s_or_b32 exec_lo, exec_lo, s7
.LBB10_274:
	s_or_b32 exec_lo, exec_lo, s6
.LBB10_275:
	s_or_b32 exec_lo, exec_lo, s5
	s_waitcnt vmcnt(0)
	v_mov_b32_e32 v2, 0
	v_readfirstlane_b32 s6, v8
	v_readfirstlane_b32 s7, v9
	s_mov_b32 s5, exec_lo
	s_clause 0x1
	global_load_dwordx2 v[10:11], v2, s[28:29] offset:40
	global_load_dwordx4 v[4:7], v2, s[28:29]
	s_waitcnt vmcnt(1)
	v_readfirstlane_b32 s8, v10
	v_readfirstlane_b32 s9, v11
	s_and_b64 s[8:9], s[6:7], s[8:9]
	s_mul_i32 s10, s9, 24
	s_mul_hi_u32 s11, s8, 24
	s_mul_i32 s12, s8, 24
	s_add_i32 s11, s11, s10
	s_waitcnt vmcnt(0)
	v_add_co_u32 v8, vcc_lo, v4, s12
	v_add_co_ci_u32_e32 v9, vcc_lo, s11, v5, vcc_lo
	s_and_saveexec_b32 s10, s4
	s_cbranch_execz .LBB10_277
; %bb.276:
	v_mov_b32_e32 v10, s5
	v_mov_b32_e32 v11, v2
	;; [unrolled: 1-line block ×4, first 2 shown]
	global_store_dwordx4 v[8:9], v[10:13], off offset:8
.LBB10_277:
	s_or_b32 exec_lo, exec_lo, s10
	s_lshl_b64 s[8:9], s[8:9], 12
	v_and_or_b32 v0, 0xffffff1f, v0, 32
	v_add_co_u32 v6, vcc_lo, v6, s8
	v_add_co_ci_u32_e32 v7, vcc_lo, s9, v7, vcc_lo
	s_mov_b32 s8, 0
	v_readfirstlane_b32 s12, v6
	s_mov_b32 s11, s8
	v_add_co_u32 v6, vcc_lo, v6, v64
	s_mov_b32 s9, s8
	s_mov_b32 s10, s8
	v_mov_b32_e32 v3, v2
	v_readfirstlane_b32 s13, v7
	v_mov_b32_e32 v13, s11
	v_add_co_ci_u32_e32 v7, vcc_lo, 0, v7, vcc_lo
	v_mov_b32_e32 v12, s10
	v_mov_b32_e32 v11, s9
	;; [unrolled: 1-line block ×3, first 2 shown]
	global_store_dwordx4 v64, v[0:3], s[12:13]
	global_store_dwordx4 v64, v[10:13], s[12:13] offset:16
	global_store_dwordx4 v64, v[10:13], s[12:13] offset:32
	;; [unrolled: 1-line block ×3, first 2 shown]
	s_and_saveexec_b32 s5, s4
	s_cbranch_execz .LBB10_285
; %bb.278:
	v_mov_b32_e32 v10, 0
	v_mov_b32_e32 v11, s6
	;; [unrolled: 1-line block ×3, first 2 shown]
	s_clause 0x1
	global_load_dwordx2 v[13:14], v10, s[28:29] offset:32 glc dlc
	global_load_dwordx2 v[0:1], v10, s[28:29] offset:40
	s_waitcnt vmcnt(0)
	v_readfirstlane_b32 s8, v0
	v_readfirstlane_b32 s9, v1
	s_and_b64 s[8:9], s[8:9], s[6:7]
	s_mul_i32 s9, s9, 24
	s_mul_hi_u32 s10, s8, 24
	s_mul_i32 s8, s8, 24
	s_add_i32 s10, s10, s9
	v_add_co_u32 v4, vcc_lo, v4, s8
	v_add_co_ci_u32_e32 v5, vcc_lo, s10, v5, vcc_lo
	s_mov_b32 s8, exec_lo
	global_store_dwordx2 v[4:5], v[13:14], off
	s_waitcnt_vscnt null, 0x0
	global_atomic_cmpswap_x2 v[2:3], v10, v[11:14], s[28:29] offset:32 glc
	s_waitcnt vmcnt(0)
	v_cmpx_ne_u64_e64 v[2:3], v[13:14]
	s_cbranch_execz .LBB10_281
; %bb.279:
	s_mov_b32 s9, 0
.LBB10_280:                             ; =>This Inner Loop Header: Depth=1
	v_mov_b32_e32 v0, s6
	v_mov_b32_e32 v1, s7
	s_sleep 1
	global_store_dwordx2 v[4:5], v[2:3], off
	s_waitcnt_vscnt null, 0x0
	global_atomic_cmpswap_x2 v[0:1], v10, v[0:3], s[28:29] offset:32 glc
	s_waitcnt vmcnt(0)
	v_cmp_eq_u64_e32 vcc_lo, v[0:1], v[2:3]
	v_mov_b32_e32 v3, v1
	v_mov_b32_e32 v2, v0
	s_or_b32 s9, vcc_lo, s9
	s_andn2_b32 exec_lo, exec_lo, s9
	s_cbranch_execnz .LBB10_280
.LBB10_281:
	s_or_b32 exec_lo, exec_lo, s8
	v_mov_b32_e32 v3, 0
	s_mov_b32 s9, exec_lo
	s_mov_b32 s8, exec_lo
	v_mbcnt_lo_u32_b32 v2, s9, 0
	global_load_dwordx2 v[0:1], v3, s[28:29] offset:16
	v_cmpx_eq_u32_e32 0, v2
	s_cbranch_execz .LBB10_283
; %bb.282:
	s_bcnt1_i32_b32 s9, s9
	v_mov_b32_e32 v2, s9
	s_waitcnt vmcnt(0)
	global_atomic_add_x2 v[0:1], v[2:3], off offset:8
.LBB10_283:
	s_or_b32 exec_lo, exec_lo, s8
	s_waitcnt vmcnt(0)
	global_load_dwordx2 v[2:3], v[0:1], off offset:16
	s_waitcnt vmcnt(0)
	v_cmp_eq_u64_e32 vcc_lo, 0, v[2:3]
	s_cbranch_vccnz .LBB10_285
; %bb.284:
	global_load_dword v0, v[0:1], off offset:24
	v_mov_b32_e32 v1, 0
	s_waitcnt vmcnt(0)
	v_and_b32_e32 v4, 0x7fffff, v0
	s_waitcnt_vscnt null, 0x0
	global_store_dwordx2 v[2:3], v[0:1], off
	v_readfirstlane_b32 m0, v4
	s_sendmsg sendmsg(MSG_INTERRUPT)
.LBB10_285:
	s_or_b32 exec_lo, exec_lo, s5
	s_branch .LBB10_289
	.p2align	6
.LBB10_286:                             ;   in Loop: Header=BB10_289 Depth=1
	s_or_b32 exec_lo, exec_lo, s5
	v_readfirstlane_b32 s5, v0
	s_cmp_eq_u32 s5, 0
	s_cbranch_scc1 .LBB10_288
; %bb.287:                              ;   in Loop: Header=BB10_289 Depth=1
	s_sleep 1
	s_cbranch_execnz .LBB10_289
	s_branch .LBB10_291
	.p2align	6
.LBB10_288:
	s_branch .LBB10_291
.LBB10_289:                             ; =>This Inner Loop Header: Depth=1
	v_mov_b32_e32 v0, 1
	s_and_saveexec_b32 s5, s4
	s_cbranch_execz .LBB10_286
; %bb.290:                              ;   in Loop: Header=BB10_289 Depth=1
	global_load_dword v0, v[8:9], off offset:20 glc dlc
	s_waitcnt vmcnt(0)
	buffer_gl1_inv
	buffer_gl0_inv
	v_and_b32_e32 v0, 1, v0
	s_branch .LBB10_286
.LBB10_291:
	global_load_dwordx2 v[2:3], v[6:7], off
	s_and_saveexec_b32 s5, s4
	s_cbranch_execz .LBB10_295
; %bb.292:
	v_mov_b32_e32 v8, 0
	s_clause 0x2
	global_load_dwordx2 v[0:1], v8, s[28:29] offset:40
	global_load_dwordx2 v[9:10], v8, s[28:29] offset:24 glc dlc
	global_load_dwordx2 v[6:7], v8, s[28:29]
	s_waitcnt vmcnt(2)
	v_add_co_u32 v11, vcc_lo, v0, 1
	v_add_co_ci_u32_e32 v12, vcc_lo, 0, v1, vcc_lo
	v_add_co_u32 v4, vcc_lo, v11, s6
	v_add_co_ci_u32_e32 v5, vcc_lo, s7, v12, vcc_lo
	v_cmp_eq_u64_e32 vcc_lo, 0, v[4:5]
	v_cndmask_b32_e32 v5, v5, v12, vcc_lo
	v_cndmask_b32_e32 v4, v4, v11, vcc_lo
	v_and_b32_e32 v1, v5, v1
	v_and_b32_e32 v0, v4, v0
	v_mul_lo_u32 v1, v1, 24
	v_mul_hi_u32 v11, v0, 24
	v_mul_lo_u32 v0, v0, 24
	v_add_nc_u32_e32 v1, v11, v1
	s_waitcnt vmcnt(0)
	v_add_co_u32 v0, vcc_lo, v6, v0
	v_mov_b32_e32 v6, v9
	v_add_co_ci_u32_e32 v1, vcc_lo, v7, v1, vcc_lo
	v_mov_b32_e32 v7, v10
	global_store_dwordx2 v[0:1], v[9:10], off
	s_waitcnt_vscnt null, 0x0
	global_atomic_cmpswap_x2 v[6:7], v8, v[4:7], s[28:29] offset:24 glc
	s_waitcnt vmcnt(0)
	v_cmp_ne_u64_e32 vcc_lo, v[6:7], v[9:10]
	s_and_b32 exec_lo, exec_lo, vcc_lo
	s_cbranch_execz .LBB10_295
; %bb.293:
	s_mov_b32 s4, 0
.LBB10_294:                             ; =>This Inner Loop Header: Depth=1
	s_sleep 1
	global_store_dwordx2 v[0:1], v[6:7], off
	s_waitcnt_vscnt null, 0x0
	global_atomic_cmpswap_x2 v[9:10], v8, v[4:7], s[28:29] offset:24 glc
	s_waitcnt vmcnt(0)
	v_cmp_eq_u64_e32 vcc_lo, v[9:10], v[6:7]
	v_mov_b32_e32 v6, v9
	v_mov_b32_e32 v7, v10
	s_or_b32 s4, vcc_lo, s4
	s_andn2_b32 exec_lo, exec_lo, s4
	s_cbranch_execnz .LBB10_294
.LBB10_295:
	s_or_b32 exec_lo, exec_lo, s5
.LBB10_296:
	v_readfirstlane_b32 s4, v65
	s_waitcnt vmcnt(0)
	v_mov_b32_e32 v0, 0
	v_mov_b32_e32 v1, 0
	v_cmp_eq_u32_e64 s4, s4, v65
	s_and_saveexec_b32 s5, s4
	s_cbranch_execz .LBB10_302
; %bb.297:
	v_mov_b32_e32 v4, 0
	s_mov_b32 s6, exec_lo
	global_load_dwordx2 v[7:8], v4, s[28:29] offset:24 glc dlc
	s_waitcnt vmcnt(0)
	buffer_gl1_inv
	buffer_gl0_inv
	s_clause 0x1
	global_load_dwordx2 v[0:1], v4, s[28:29] offset:40
	global_load_dwordx2 v[5:6], v4, s[28:29]
	s_waitcnt vmcnt(1)
	v_and_b32_e32 v1, v1, v8
	v_and_b32_e32 v0, v0, v7
	v_mul_lo_u32 v1, v1, 24
	v_mul_hi_u32 v9, v0, 24
	v_mul_lo_u32 v0, v0, 24
	v_add_nc_u32_e32 v1, v9, v1
	s_waitcnt vmcnt(0)
	v_add_co_u32 v0, vcc_lo, v5, v0
	v_add_co_ci_u32_e32 v1, vcc_lo, v6, v1, vcc_lo
	global_load_dwordx2 v[5:6], v[0:1], off glc dlc
	s_waitcnt vmcnt(0)
	global_atomic_cmpswap_x2 v[0:1], v4, v[5:8], s[28:29] offset:24 glc
	s_waitcnt vmcnt(0)
	buffer_gl1_inv
	buffer_gl0_inv
	v_cmpx_ne_u64_e64 v[0:1], v[7:8]
	s_cbranch_execz .LBB10_301
; %bb.298:
	s_mov_b32 s7, 0
	.p2align	6
.LBB10_299:                             ; =>This Inner Loop Header: Depth=1
	s_sleep 1
	s_clause 0x1
	global_load_dwordx2 v[5:6], v4, s[28:29] offset:40
	global_load_dwordx2 v[9:10], v4, s[28:29]
	v_mov_b32_e32 v8, v1
	v_mov_b32_e32 v7, v0
	s_waitcnt vmcnt(1)
	v_and_b32_e32 v0, v5, v7
	v_and_b32_e32 v5, v6, v8
	s_waitcnt vmcnt(0)
	v_mad_u64_u32 v[0:1], null, v0, 24, v[9:10]
	v_mad_u64_u32 v[5:6], null, v5, 24, v[1:2]
	v_mov_b32_e32 v1, v5
	global_load_dwordx2 v[5:6], v[0:1], off glc dlc
	s_waitcnt vmcnt(0)
	global_atomic_cmpswap_x2 v[0:1], v4, v[5:8], s[28:29] offset:24 glc
	s_waitcnt vmcnt(0)
	buffer_gl1_inv
	buffer_gl0_inv
	v_cmp_eq_u64_e32 vcc_lo, v[0:1], v[7:8]
	s_or_b32 s7, vcc_lo, s7
	s_andn2_b32 exec_lo, exec_lo, s7
	s_cbranch_execnz .LBB10_299
; %bb.300:
	s_or_b32 exec_lo, exec_lo, s7
.LBB10_301:
	s_or_b32 exec_lo, exec_lo, s6
.LBB10_302:
	s_or_b32 exec_lo, exec_lo, s5
	v_mov_b32_e32 v11, 0
	v_readfirstlane_b32 s6, v0
	v_readfirstlane_b32 s7, v1
	s_mov_b32 s5, exec_lo
	s_clause 0x1
	global_load_dwordx2 v[4:5], v11, s[28:29] offset:40
	global_load_dwordx4 v[6:9], v11, s[28:29]
	s_waitcnt vmcnt(1)
	v_readfirstlane_b32 s8, v4
	v_readfirstlane_b32 s9, v5
	s_and_b64 s[8:9], s[6:7], s[8:9]
	s_mul_i32 s10, s9, 24
	s_mul_hi_u32 s11, s8, 24
	s_mul_i32 s12, s8, 24
	s_add_i32 s11, s11, s10
	s_waitcnt vmcnt(0)
	v_add_co_u32 v14, vcc_lo, v6, s12
	v_add_co_ci_u32_e32 v15, vcc_lo, s11, v7, vcc_lo
	s_and_saveexec_b32 s10, s4
	s_cbranch_execz .LBB10_304
; %bb.303:
	v_mov_b32_e32 v10, s5
	v_mov_b32_e32 v12, 2
	;; [unrolled: 1-line block ×3, first 2 shown]
	global_store_dwordx4 v[14:15], v[10:13], off offset:8
.LBB10_304:
	s_or_b32 exec_lo, exec_lo, s10
	s_lshl_b64 s[8:9], s[8:9], 12
	v_and_or_b32 v2, 0xffffff1d, v2, 34
	v_add_co_u32 v0, vcc_lo, v8, s8
	v_add_co_ci_u32_e32 v1, vcc_lo, s9, v9, vcc_lo
	s_mov_b32 s8, 0
	s_waitcnt lgkmcnt(0)
	v_ashrrev_i32_e32 v5, 31, v31
	s_mov_b32 s9, s8
	s_mov_b32 s10, s8
	;; [unrolled: 1-line block ×3, first 2 shown]
	v_mov_b32_e32 v4, v31
	v_readfirstlane_b32 s12, v0
	v_readfirstlane_b32 s13, v1
	v_mov_b32_e32 v8, s8
	v_mov_b32_e32 v9, s9
	;; [unrolled: 1-line block ×4, first 2 shown]
	global_store_dwordx4 v64, v[2:5], s[12:13]
	global_store_dwordx4 v64, v[8:11], s[12:13] offset:16
	global_store_dwordx4 v64, v[8:11], s[12:13] offset:32
	;; [unrolled: 1-line block ×3, first 2 shown]
	s_and_saveexec_b32 s5, s4
	s_cbranch_execz .LBB10_312
; %bb.305:
	v_mov_b32_e32 v8, 0
	v_mov_b32_e32 v9, s6
	;; [unrolled: 1-line block ×3, first 2 shown]
	s_clause 0x1
	global_load_dwordx2 v[11:12], v8, s[28:29] offset:32 glc dlc
	global_load_dwordx2 v[0:1], v8, s[28:29] offset:40
	s_waitcnt vmcnt(0)
	v_readfirstlane_b32 s8, v0
	v_readfirstlane_b32 s9, v1
	s_and_b64 s[8:9], s[8:9], s[6:7]
	s_mul_i32 s9, s9, 24
	s_mul_hi_u32 s10, s8, 24
	s_mul_i32 s8, s8, 24
	s_add_i32 s10, s10, s9
	v_add_co_u32 v4, vcc_lo, v6, s8
	v_add_co_ci_u32_e32 v5, vcc_lo, s10, v7, vcc_lo
	s_mov_b32 s8, exec_lo
	global_store_dwordx2 v[4:5], v[11:12], off
	s_waitcnt_vscnt null, 0x0
	global_atomic_cmpswap_x2 v[2:3], v8, v[9:12], s[28:29] offset:32 glc
	s_waitcnt vmcnt(0)
	v_cmpx_ne_u64_e64 v[2:3], v[11:12]
	s_cbranch_execz .LBB10_308
; %bb.306:
	s_mov_b32 s9, 0
.LBB10_307:                             ; =>This Inner Loop Header: Depth=1
	v_mov_b32_e32 v0, s6
	v_mov_b32_e32 v1, s7
	s_sleep 1
	global_store_dwordx2 v[4:5], v[2:3], off
	s_waitcnt_vscnt null, 0x0
	global_atomic_cmpswap_x2 v[0:1], v8, v[0:3], s[28:29] offset:32 glc
	s_waitcnt vmcnt(0)
	v_cmp_eq_u64_e32 vcc_lo, v[0:1], v[2:3]
	v_mov_b32_e32 v3, v1
	v_mov_b32_e32 v2, v0
	s_or_b32 s9, vcc_lo, s9
	s_andn2_b32 exec_lo, exec_lo, s9
	s_cbranch_execnz .LBB10_307
.LBB10_308:
	s_or_b32 exec_lo, exec_lo, s8
	v_mov_b32_e32 v3, 0
	s_mov_b32 s9, exec_lo
	s_mov_b32 s8, exec_lo
	v_mbcnt_lo_u32_b32 v2, s9, 0
	global_load_dwordx2 v[0:1], v3, s[28:29] offset:16
	v_cmpx_eq_u32_e32 0, v2
	s_cbranch_execz .LBB10_310
; %bb.309:
	s_bcnt1_i32_b32 s9, s9
	v_mov_b32_e32 v2, s9
	s_waitcnt vmcnt(0)
	global_atomic_add_x2 v[0:1], v[2:3], off offset:8
.LBB10_310:
	s_or_b32 exec_lo, exec_lo, s8
	s_waitcnt vmcnt(0)
	global_load_dwordx2 v[2:3], v[0:1], off offset:16
	s_waitcnt vmcnt(0)
	v_cmp_eq_u64_e32 vcc_lo, 0, v[2:3]
	s_cbranch_vccnz .LBB10_312
; %bb.311:
	global_load_dword v0, v[0:1], off offset:24
	v_mov_b32_e32 v1, 0
	s_waitcnt vmcnt(0)
	v_and_b32_e32 v4, 0x7fffff, v0
	s_waitcnt_vscnt null, 0x0
	global_store_dwordx2 v[2:3], v[0:1], off
	v_readfirstlane_b32 m0, v4
	s_sendmsg sendmsg(MSG_INTERRUPT)
.LBB10_312:
	s_or_b32 exec_lo, exec_lo, s5
	s_branch .LBB10_316
	.p2align	6
.LBB10_313:                             ;   in Loop: Header=BB10_316 Depth=1
	s_or_b32 exec_lo, exec_lo, s5
	v_readfirstlane_b32 s5, v0
	s_cmp_eq_u32 s5, 0
	s_cbranch_scc1 .LBB10_315
; %bb.314:                              ;   in Loop: Header=BB10_316 Depth=1
	s_sleep 1
	s_cbranch_execnz .LBB10_316
	s_branch .LBB10_318
	.p2align	6
.LBB10_315:
	s_branch .LBB10_318
.LBB10_316:                             ; =>This Inner Loop Header: Depth=1
	v_mov_b32_e32 v0, 1
	s_and_saveexec_b32 s5, s4
	s_cbranch_execz .LBB10_313
; %bb.317:                              ;   in Loop: Header=BB10_316 Depth=1
	global_load_dword v0, v[14:15], off offset:20 glc dlc
	s_waitcnt vmcnt(0)
	buffer_gl1_inv
	buffer_gl0_inv
	v_and_b32_e32 v0, 1, v0
	s_branch .LBB10_313
.LBB10_318:
	s_and_saveexec_b32 s5, s4
	s_cbranch_execz .LBB10_322
; %bb.319:
	v_mov_b32_e32 v6, 0
	s_clause 0x2
	global_load_dwordx2 v[2:3], v6, s[28:29] offset:40
	global_load_dwordx2 v[7:8], v6, s[28:29] offset:24 glc dlc
	global_load_dwordx2 v[4:5], v6, s[28:29]
	s_waitcnt vmcnt(2)
	v_add_co_u32 v9, vcc_lo, v2, 1
	v_add_co_ci_u32_e32 v10, vcc_lo, 0, v3, vcc_lo
	v_add_co_u32 v0, vcc_lo, v9, s6
	v_add_co_ci_u32_e32 v1, vcc_lo, s7, v10, vcc_lo
	v_cmp_eq_u64_e32 vcc_lo, 0, v[0:1]
	v_cndmask_b32_e32 v1, v1, v10, vcc_lo
	v_cndmask_b32_e32 v0, v0, v9, vcc_lo
	v_and_b32_e32 v3, v1, v3
	v_and_b32_e32 v2, v0, v2
	v_mul_lo_u32 v3, v3, 24
	v_mul_hi_u32 v9, v2, 24
	v_mul_lo_u32 v2, v2, 24
	v_add_nc_u32_e32 v3, v9, v3
	s_waitcnt vmcnt(0)
	v_add_co_u32 v4, vcc_lo, v4, v2
	v_mov_b32_e32 v2, v7
	v_add_co_ci_u32_e32 v5, vcc_lo, v5, v3, vcc_lo
	v_mov_b32_e32 v3, v8
	global_store_dwordx2 v[4:5], v[7:8], off
	s_waitcnt_vscnt null, 0x0
	global_atomic_cmpswap_x2 v[2:3], v6, v[0:3], s[28:29] offset:24 glc
	s_waitcnt vmcnt(0)
	v_cmp_ne_u64_e32 vcc_lo, v[2:3], v[7:8]
	s_and_b32 exec_lo, exec_lo, vcc_lo
	s_cbranch_execz .LBB10_322
; %bb.320:
	s_mov_b32 s4, 0
.LBB10_321:                             ; =>This Inner Loop Header: Depth=1
	s_sleep 1
	global_store_dwordx2 v[4:5], v[2:3], off
	s_waitcnt_vscnt null, 0x0
	global_atomic_cmpswap_x2 v[7:8], v6, v[0:3], s[28:29] offset:24 glc
	s_waitcnt vmcnt(0)
	v_cmp_eq_u64_e32 vcc_lo, v[7:8], v[2:3]
	v_mov_b32_e32 v2, v7
	v_mov_b32_e32 v3, v8
	s_or_b32 s4, vcc_lo, s4
	s_andn2_b32 exec_lo, exec_lo, s4
	s_cbranch_execnz .LBB10_321
.LBB10_322:
	s_or_b32 exec_lo, exec_lo, s5
	s_getpc_b64 s[4:5]
	s_add_u32 s4, s4, .str.11@rel32@lo+4
	s_addc_u32 s5, s5, .str.11@rel32@hi+12
	v_mov_b32_e32 v0, s4
	v_mov_b32_e32 v1, s5
	s_mov_b64 s[8:9], s[22:23]
	s_getpc_b64 s[6:7]
	s_add_u32 s6, s6, _ZNK8migraphx13basic_printerIZNS_4coutEvEUlT_E_ElsEPKc@rel32@lo+4
	s_addc_u32 s7, s7, _ZNK8migraphx13basic_printerIZNS_4coutEvEUlT_E_ElsEPKc@rel32@hi+12
	s_swappc_b64 s[30:31], s[6:7]
	flat_load_dword v31, v[36:37] offset:4
	v_readfirstlane_b32 s4, v65
	v_mov_b32_e32 v6, 0
	v_mov_b32_e32 v7, 0
	v_cmp_eq_u32_e64 s4, s4, v65
	s_and_saveexec_b32 s5, s4
	s_cbranch_execz .LBB10_328
; %bb.323:
	v_mov_b32_e32 v0, 0
	s_mov_b32 s6, exec_lo
	global_load_dwordx2 v[3:4], v0, s[28:29] offset:24 glc dlc
	s_waitcnt vmcnt(0)
	buffer_gl1_inv
	buffer_gl0_inv
	s_clause 0x1
	global_load_dwordx2 v[1:2], v0, s[28:29] offset:40
	global_load_dwordx2 v[5:6], v0, s[28:29]
	s_waitcnt vmcnt(1)
	v_and_b32_e32 v2, v2, v4
	v_and_b32_e32 v1, v1, v3
	v_mul_lo_u32 v2, v2, 24
	v_mul_hi_u32 v7, v1, 24
	v_mul_lo_u32 v1, v1, 24
	v_add_nc_u32_e32 v2, v7, v2
	s_waitcnt vmcnt(0)
	v_add_co_u32 v1, vcc_lo, v5, v1
	v_add_co_ci_u32_e32 v2, vcc_lo, v6, v2, vcc_lo
	global_load_dwordx2 v[1:2], v[1:2], off glc dlc
	s_waitcnt vmcnt(0)
	global_atomic_cmpswap_x2 v[6:7], v0, v[1:4], s[28:29] offset:24 glc
	s_waitcnt vmcnt(0)
	buffer_gl1_inv
	buffer_gl0_inv
	v_cmpx_ne_u64_e64 v[6:7], v[3:4]
	s_cbranch_execz .LBB10_327
; %bb.324:
	s_mov_b32 s7, 0
	.p2align	6
.LBB10_325:                             ; =>This Inner Loop Header: Depth=1
	s_sleep 1
	s_clause 0x1
	global_load_dwordx2 v[1:2], v0, s[28:29] offset:40
	global_load_dwordx2 v[8:9], v0, s[28:29]
	v_mov_b32_e32 v3, v6
	v_mov_b32_e32 v4, v7
	s_waitcnt vmcnt(1)
	v_and_b32_e32 v1, v1, v3
	v_and_b32_e32 v2, v2, v4
	s_waitcnt vmcnt(0)
	v_mad_u64_u32 v[5:6], null, v1, 24, v[8:9]
	v_mov_b32_e32 v1, v6
	v_mad_u64_u32 v[1:2], null, v2, 24, v[1:2]
	v_mov_b32_e32 v6, v1
	global_load_dwordx2 v[1:2], v[5:6], off glc dlc
	s_waitcnt vmcnt(0)
	global_atomic_cmpswap_x2 v[6:7], v0, v[1:4], s[28:29] offset:24 glc
	s_waitcnt vmcnt(0)
	buffer_gl1_inv
	buffer_gl0_inv
	v_cmp_eq_u64_e32 vcc_lo, v[6:7], v[3:4]
	s_or_b32 s7, vcc_lo, s7
	s_andn2_b32 exec_lo, exec_lo, s7
	s_cbranch_execnz .LBB10_325
; %bb.326:
	s_or_b32 exec_lo, exec_lo, s7
.LBB10_327:
	s_or_b32 exec_lo, exec_lo, s6
.LBB10_328:
	s_or_b32 exec_lo, exec_lo, s5
	v_mov_b32_e32 v5, 0
	v_readfirstlane_b32 s6, v6
	v_readfirstlane_b32 s7, v7
	s_mov_b32 s5, exec_lo
	s_clause 0x1
	global_load_dwordx2 v[8:9], v5, s[28:29] offset:40
	global_load_dwordx4 v[0:3], v5, s[28:29]
	s_waitcnt vmcnt(1)
	v_readfirstlane_b32 s8, v8
	v_readfirstlane_b32 s9, v9
	s_and_b64 s[8:9], s[6:7], s[8:9]
	s_mul_i32 s10, s9, 24
	s_mul_hi_u32 s11, s8, 24
	s_mul_i32 s12, s8, 24
	s_add_i32 s11, s11, s10
	s_waitcnt vmcnt(0)
	v_add_co_u32 v8, vcc_lo, v0, s12
	v_add_co_ci_u32_e32 v9, vcc_lo, s11, v1, vcc_lo
	s_and_saveexec_b32 s10, s4
	s_cbranch_execz .LBB10_330
; %bb.329:
	v_mov_b32_e32 v4, s5
	v_mov_b32_e32 v6, 2
	;; [unrolled: 1-line block ×3, first 2 shown]
	global_store_dwordx4 v[8:9], v[4:7], off offset:8
.LBB10_330:
	s_or_b32 exec_lo, exec_lo, s10
	s_lshl_b64 s[8:9], s[8:9], 12
	v_mov_b32_e32 v4, 33
	v_add_co_u32 v2, vcc_lo, v2, s8
	v_add_co_ci_u32_e32 v3, vcc_lo, s9, v3, vcc_lo
	s_mov_b32 s8, 0
	v_add_co_u32 v10, vcc_lo, v2, v64
	s_mov_b32 s11, s8
	s_mov_b32 s9, s8
	;; [unrolled: 1-line block ×3, first 2 shown]
	v_mov_b32_e32 v6, v5
	v_mov_b32_e32 v7, v5
	v_readfirstlane_b32 s12, v2
	v_readfirstlane_b32 s13, v3
	v_mov_b32_e32 v15, s11
	v_add_co_ci_u32_e32 v11, vcc_lo, 0, v3, vcc_lo
	v_mov_b32_e32 v14, s10
	v_mov_b32_e32 v13, s9
	;; [unrolled: 1-line block ×3, first 2 shown]
	global_store_dwordx4 v64, v[4:7], s[12:13]
	global_store_dwordx4 v64, v[12:15], s[12:13] offset:16
	global_store_dwordx4 v64, v[12:15], s[12:13] offset:32
	global_store_dwordx4 v64, v[12:15], s[12:13] offset:48
	s_and_saveexec_b32 s5, s4
	s_cbranch_execz .LBB10_338
; %bb.331:
	v_mov_b32_e32 v6, 0
	v_mov_b32_e32 v12, s6
	;; [unrolled: 1-line block ×3, first 2 shown]
	s_clause 0x1
	global_load_dwordx2 v[14:15], v6, s[28:29] offset:32 glc dlc
	global_load_dwordx2 v[2:3], v6, s[28:29] offset:40
	s_waitcnt vmcnt(0)
	v_readfirstlane_b32 s8, v2
	v_readfirstlane_b32 s9, v3
	s_and_b64 s[8:9], s[8:9], s[6:7]
	s_mul_i32 s9, s9, 24
	s_mul_hi_u32 s10, s8, 24
	s_mul_i32 s8, s8, 24
	s_add_i32 s10, s10, s9
	v_add_co_u32 v4, vcc_lo, v0, s8
	v_add_co_ci_u32_e32 v5, vcc_lo, s10, v1, vcc_lo
	s_mov_b32 s8, exec_lo
	global_store_dwordx2 v[4:5], v[14:15], off
	s_waitcnt_vscnt null, 0x0
	global_atomic_cmpswap_x2 v[2:3], v6, v[12:15], s[28:29] offset:32 glc
	s_waitcnt vmcnt(0)
	v_cmpx_ne_u64_e64 v[2:3], v[14:15]
	s_cbranch_execz .LBB10_334
; %bb.332:
	s_mov_b32 s9, 0
.LBB10_333:                             ; =>This Inner Loop Header: Depth=1
	v_mov_b32_e32 v0, s6
	v_mov_b32_e32 v1, s7
	s_sleep 1
	global_store_dwordx2 v[4:5], v[2:3], off
	s_waitcnt_vscnt null, 0x0
	global_atomic_cmpswap_x2 v[0:1], v6, v[0:3], s[28:29] offset:32 glc
	s_waitcnt vmcnt(0)
	v_cmp_eq_u64_e32 vcc_lo, v[0:1], v[2:3]
	v_mov_b32_e32 v3, v1
	v_mov_b32_e32 v2, v0
	s_or_b32 s9, vcc_lo, s9
	s_andn2_b32 exec_lo, exec_lo, s9
	s_cbranch_execnz .LBB10_333
.LBB10_334:
	s_or_b32 exec_lo, exec_lo, s8
	v_mov_b32_e32 v3, 0
	s_mov_b32 s9, exec_lo
	s_mov_b32 s8, exec_lo
	v_mbcnt_lo_u32_b32 v2, s9, 0
	global_load_dwordx2 v[0:1], v3, s[28:29] offset:16
	v_cmpx_eq_u32_e32 0, v2
	s_cbranch_execz .LBB10_336
; %bb.335:
	s_bcnt1_i32_b32 s9, s9
	v_mov_b32_e32 v2, s9
	s_waitcnt vmcnt(0)
	global_atomic_add_x2 v[0:1], v[2:3], off offset:8
.LBB10_336:
	s_or_b32 exec_lo, exec_lo, s8
	s_waitcnt vmcnt(0)
	global_load_dwordx2 v[2:3], v[0:1], off offset:16
	s_waitcnt vmcnt(0)
	v_cmp_eq_u64_e32 vcc_lo, 0, v[2:3]
	s_cbranch_vccnz .LBB10_338
; %bb.337:
	global_load_dword v0, v[0:1], off offset:24
	v_mov_b32_e32 v1, 0
	s_waitcnt vmcnt(0)
	v_and_b32_e32 v4, 0x7fffff, v0
	s_waitcnt_vscnt null, 0x0
	global_store_dwordx2 v[2:3], v[0:1], off
	v_readfirstlane_b32 m0, v4
	s_sendmsg sendmsg(MSG_INTERRUPT)
.LBB10_338:
	s_or_b32 exec_lo, exec_lo, s5
	s_branch .LBB10_342
	.p2align	6
.LBB10_339:                             ;   in Loop: Header=BB10_342 Depth=1
	s_or_b32 exec_lo, exec_lo, s5
	v_readfirstlane_b32 s5, v0
	s_cmp_eq_u32 s5, 0
	s_cbranch_scc1 .LBB10_341
; %bb.340:                              ;   in Loop: Header=BB10_342 Depth=1
	s_sleep 1
	s_cbranch_execnz .LBB10_342
	s_branch .LBB10_344
	.p2align	6
.LBB10_341:
	s_branch .LBB10_344
.LBB10_342:                             ; =>This Inner Loop Header: Depth=1
	v_mov_b32_e32 v0, 1
	s_and_saveexec_b32 s5, s4
	s_cbranch_execz .LBB10_339
; %bb.343:                              ;   in Loop: Header=BB10_342 Depth=1
	global_load_dword v0, v[8:9], off offset:20 glc dlc
	s_waitcnt vmcnt(0)
	buffer_gl1_inv
	buffer_gl0_inv
	v_and_b32_e32 v0, 1, v0
	s_branch .LBB10_339
.LBB10_344:
	global_load_dwordx2 v[0:1], v[10:11], off
	s_and_saveexec_b32 s5, s4
	s_cbranch_execz .LBB10_348
; %bb.345:
	v_mov_b32_e32 v8, 0
	s_clause 0x2
	global_load_dwordx2 v[4:5], v8, s[28:29] offset:40
	global_load_dwordx2 v[9:10], v8, s[28:29] offset:24 glc dlc
	global_load_dwordx2 v[6:7], v8, s[28:29]
	s_waitcnt vmcnt(2)
	v_add_co_u32 v11, vcc_lo, v4, 1
	v_add_co_ci_u32_e32 v12, vcc_lo, 0, v5, vcc_lo
	v_add_co_u32 v2, vcc_lo, v11, s6
	v_add_co_ci_u32_e32 v3, vcc_lo, s7, v12, vcc_lo
	v_cmp_eq_u64_e32 vcc_lo, 0, v[2:3]
	v_cndmask_b32_e32 v3, v3, v12, vcc_lo
	v_cndmask_b32_e32 v2, v2, v11, vcc_lo
	v_and_b32_e32 v5, v3, v5
	v_and_b32_e32 v4, v2, v4
	v_mul_lo_u32 v5, v5, 24
	v_mul_hi_u32 v11, v4, 24
	v_mul_lo_u32 v4, v4, 24
	v_add_nc_u32_e32 v5, v11, v5
	s_waitcnt vmcnt(0)
	v_add_co_u32 v6, vcc_lo, v6, v4
	v_mov_b32_e32 v4, v9
	v_add_co_ci_u32_e32 v7, vcc_lo, v7, v5, vcc_lo
	v_mov_b32_e32 v5, v10
	global_store_dwordx2 v[6:7], v[9:10], off
	s_waitcnt_vscnt null, 0x0
	global_atomic_cmpswap_x2 v[4:5], v8, v[2:5], s[28:29] offset:24 glc
	s_waitcnt vmcnt(0)
	v_cmp_ne_u64_e32 vcc_lo, v[4:5], v[9:10]
	s_and_b32 exec_lo, exec_lo, vcc_lo
	s_cbranch_execz .LBB10_348
; %bb.346:
	s_mov_b32 s4, 0
.LBB10_347:                             ; =>This Inner Loop Header: Depth=1
	s_sleep 1
	global_store_dwordx2 v[6:7], v[4:5], off
	s_waitcnt_vscnt null, 0x0
	global_atomic_cmpswap_x2 v[9:10], v8, v[2:5], s[28:29] offset:24 glc
	s_waitcnt vmcnt(0)
	v_cmp_eq_u64_e32 vcc_lo, v[9:10], v[4:5]
	v_mov_b32_e32 v4, v9
	v_mov_b32_e32 v5, v10
	s_or_b32 s4, vcc_lo, s4
	s_andn2_b32 exec_lo, exec_lo, s4
	s_cbranch_execnz .LBB10_347
.LBB10_348:
	s_or_b32 exec_lo, exec_lo, s5
	s_andn2_b32 vcc_lo, exec_lo, s36
	s_cbranch_vccnz .LBB10_427
; %bb.349:
	s_waitcnt vmcnt(0)
	v_and_b32_e32 v32, 2, v0
	v_mov_b32_e32 v6, 0
	v_and_b32_e32 v2, -3, v0
	v_mov_b32_e32 v3, v1
	v_mov_b32_e32 v7, 2
	;; [unrolled: 1-line block ×3, first 2 shown]
	s_mov_b64 s[8:9], 4
	s_getpc_b64 s[6:7]
	s_add_u32 s6, s6, .str.7@rel32@lo+4
	s_addc_u32 s7, s7, .str.7@rel32@hi+12
	s_branch .LBB10_351
.LBB10_350:                             ;   in Loop: Header=BB10_351 Depth=1
	s_or_b32 exec_lo, exec_lo, s5
	s_sub_u32 s8, s8, s10
	s_subb_u32 s9, s9, s11
	s_add_u32 s6, s6, s10
	s_addc_u32 s7, s7, s11
	s_cmp_eq_u64 s[8:9], 0
	s_cbranch_scc1 .LBB10_426
.LBB10_351:                             ; =>This Loop Header: Depth=1
                                        ;     Child Loop BB10_360 Depth 2
                                        ;     Child Loop BB10_356 Depth 2
	;; [unrolled: 1-line block ×11, first 2 shown]
	v_cmp_lt_u64_e64 s4, s[8:9], 56
	v_cmp_gt_u64_e64 s5, s[8:9], 7
                                        ; implicit-def: $vgpr11_vgpr12
                                        ; implicit-def: $sgpr16
	s_and_b32 s4, s4, exec_lo
	s_cselect_b32 s11, s9, 0
	s_cselect_b32 s10, s8, 56
	s_and_b32 vcc_lo, exec_lo, s5
	s_mov_b32 s4, -1
	s_cbranch_vccz .LBB10_358
; %bb.352:                              ;   in Loop: Header=BB10_351 Depth=1
	s_andn2_b32 vcc_lo, exec_lo, s4
	s_mov_b64 s[4:5], s[6:7]
	s_cbranch_vccz .LBB10_362
.LBB10_353:                             ;   in Loop: Header=BB10_351 Depth=1
	s_cmp_gt_u32 s16, 7
	s_cbranch_scc1 .LBB10_363
.LBB10_354:                             ;   in Loop: Header=BB10_351 Depth=1
	v_mov_b32_e32 v13, 0
	v_mov_b32_e32 v14, 0
	s_cmp_eq_u32 s16, 0
	s_cbranch_scc1 .LBB10_357
; %bb.355:                              ;   in Loop: Header=BB10_351 Depth=1
	s_mov_b64 s[12:13], 0
	s_mov_b64 s[14:15], 0
.LBB10_356:                             ;   Parent Loop BB10_351 Depth=1
                                        ; =>  This Inner Loop Header: Depth=2
	s_add_u32 s18, s4, s14
	s_addc_u32 s19, s5, s15
	s_add_u32 s14, s14, 1
	global_load_ubyte v4, v6, s[18:19]
	s_addc_u32 s15, s15, 0
	s_waitcnt vmcnt(0)
	v_and_b32_e32 v5, 0xffff, v4
	v_lshlrev_b64 v[4:5], s12, v[5:6]
	s_add_u32 s12, s12, 8
	s_addc_u32 s13, s13, 0
	s_cmp_eq_u32 s16, s14
	v_or_b32_e32 v13, v4, v13
	v_or_b32_e32 v14, v5, v14
	s_cbranch_scc0 .LBB10_356
.LBB10_357:                             ;   in Loop: Header=BB10_351 Depth=1
	s_mov_b32 s17, 0
	s_cbranch_execz .LBB10_364
	s_branch .LBB10_365
.LBB10_358:                             ;   in Loop: Header=BB10_351 Depth=1
	v_mov_b32_e32 v11, 0
	v_mov_b32_e32 v12, 0
	s_cmp_eq_u64 s[8:9], 0
	s_mov_b64 s[4:5], 0
	s_cbranch_scc1 .LBB10_361
; %bb.359:                              ;   in Loop: Header=BB10_351 Depth=1
	v_mov_b32_e32 v11, 0
	v_mov_b32_e32 v12, 0
	s_lshl_b64 s[12:13], s[10:11], 3
	s_mov_b64 s[14:15], s[6:7]
.LBB10_360:                             ;   Parent Loop BB10_351 Depth=1
                                        ; =>  This Inner Loop Header: Depth=2
	global_load_ubyte v4, v6, s[14:15]
	s_waitcnt vmcnt(0)
	v_and_b32_e32 v5, 0xffff, v4
	v_lshlrev_b64 v[4:5], s4, v[5:6]
	s_add_u32 s4, s4, 8
	s_addc_u32 s5, s5, 0
	s_add_u32 s14, s14, 1
	s_addc_u32 s15, s15, 0
	s_cmp_eq_u32 s12, s4
	v_or_b32_e32 v11, v4, v11
	v_or_b32_e32 v12, v5, v12
	s_cbranch_scc0 .LBB10_360
.LBB10_361:                             ;   in Loop: Header=BB10_351 Depth=1
	s_mov_b32 s16, 0
	s_mov_b64 s[4:5], s[6:7]
	s_cbranch_execnz .LBB10_353
.LBB10_362:                             ;   in Loop: Header=BB10_351 Depth=1
	global_load_dwordx2 v[11:12], v6, s[6:7]
	s_add_i32 s16, s10, -8
	s_add_u32 s4, s6, 8
	s_addc_u32 s5, s7, 0
	s_cmp_gt_u32 s16, 7
	s_cbranch_scc0 .LBB10_354
.LBB10_363:                             ;   in Loop: Header=BB10_351 Depth=1
                                        ; implicit-def: $vgpr13_vgpr14
                                        ; implicit-def: $sgpr17
.LBB10_364:                             ;   in Loop: Header=BB10_351 Depth=1
	global_load_dwordx2 v[13:14], v6, s[4:5]
	s_add_i32 s17, s16, -8
	s_add_u32 s4, s4, 8
	s_addc_u32 s5, s5, 0
.LBB10_365:                             ;   in Loop: Header=BB10_351 Depth=1
	s_cmp_gt_u32 s17, 7
	s_cbranch_scc1 .LBB10_370
; %bb.366:                              ;   in Loop: Header=BB10_351 Depth=1
	v_mov_b32_e32 v15, 0
	v_mov_b32_e32 v16, 0
	s_cmp_eq_u32 s17, 0
	s_cbranch_scc1 .LBB10_369
; %bb.367:                              ;   in Loop: Header=BB10_351 Depth=1
	s_mov_b64 s[12:13], 0
	s_mov_b64 s[14:15], 0
.LBB10_368:                             ;   Parent Loop BB10_351 Depth=1
                                        ; =>  This Inner Loop Header: Depth=2
	s_add_u32 s18, s4, s14
	s_addc_u32 s19, s5, s15
	s_add_u32 s14, s14, 1
	global_load_ubyte v4, v6, s[18:19]
	s_addc_u32 s15, s15, 0
	s_waitcnt vmcnt(0)
	v_and_b32_e32 v5, 0xffff, v4
	v_lshlrev_b64 v[4:5], s12, v[5:6]
	s_add_u32 s12, s12, 8
	s_addc_u32 s13, s13, 0
	s_cmp_eq_u32 s17, s14
	v_or_b32_e32 v15, v4, v15
	v_or_b32_e32 v16, v5, v16
	s_cbranch_scc0 .LBB10_368
.LBB10_369:                             ;   in Loop: Header=BB10_351 Depth=1
	s_mov_b32 s16, 0
	s_cbranch_execz .LBB10_371
	s_branch .LBB10_372
.LBB10_370:                             ;   in Loop: Header=BB10_351 Depth=1
                                        ; implicit-def: $sgpr16
.LBB10_371:                             ;   in Loop: Header=BB10_351 Depth=1
	global_load_dwordx2 v[15:16], v6, s[4:5]
	s_add_i32 s16, s17, -8
	s_add_u32 s4, s4, 8
	s_addc_u32 s5, s5, 0
.LBB10_372:                             ;   in Loop: Header=BB10_351 Depth=1
	s_cmp_gt_u32 s16, 7
	s_cbranch_scc1 .LBB10_377
; %bb.373:                              ;   in Loop: Header=BB10_351 Depth=1
	v_mov_b32_e32 v17, 0
	v_mov_b32_e32 v18, 0
	s_cmp_eq_u32 s16, 0
	s_cbranch_scc1 .LBB10_376
; %bb.374:                              ;   in Loop: Header=BB10_351 Depth=1
	s_mov_b64 s[12:13], 0
	s_mov_b64 s[14:15], 0
.LBB10_375:                             ;   Parent Loop BB10_351 Depth=1
                                        ; =>  This Inner Loop Header: Depth=2
	s_add_u32 s18, s4, s14
	s_addc_u32 s19, s5, s15
	s_add_u32 s14, s14, 1
	global_load_ubyte v4, v6, s[18:19]
	s_addc_u32 s15, s15, 0
	s_waitcnt vmcnt(0)
	v_and_b32_e32 v5, 0xffff, v4
	v_lshlrev_b64 v[4:5], s12, v[5:6]
	s_add_u32 s12, s12, 8
	s_addc_u32 s13, s13, 0
	s_cmp_eq_u32 s16, s14
	v_or_b32_e32 v17, v4, v17
	v_or_b32_e32 v18, v5, v18
	s_cbranch_scc0 .LBB10_375
.LBB10_376:                             ;   in Loop: Header=BB10_351 Depth=1
	s_mov_b32 s17, 0
	s_cbranch_execz .LBB10_378
	s_branch .LBB10_379
.LBB10_377:                             ;   in Loop: Header=BB10_351 Depth=1
                                        ; implicit-def: $vgpr17_vgpr18
                                        ; implicit-def: $sgpr17
.LBB10_378:                             ;   in Loop: Header=BB10_351 Depth=1
	global_load_dwordx2 v[17:18], v6, s[4:5]
	s_add_i32 s17, s16, -8
	s_add_u32 s4, s4, 8
	s_addc_u32 s5, s5, 0
.LBB10_379:                             ;   in Loop: Header=BB10_351 Depth=1
	s_cmp_gt_u32 s17, 7
	s_cbranch_scc1 .LBB10_384
; %bb.380:                              ;   in Loop: Header=BB10_351 Depth=1
	v_mov_b32_e32 v19, 0
	v_mov_b32_e32 v20, 0
	s_cmp_eq_u32 s17, 0
	s_cbranch_scc1 .LBB10_383
; %bb.381:                              ;   in Loop: Header=BB10_351 Depth=1
	s_mov_b64 s[12:13], 0
	s_mov_b64 s[14:15], 0
.LBB10_382:                             ;   Parent Loop BB10_351 Depth=1
                                        ; =>  This Inner Loop Header: Depth=2
	s_add_u32 s18, s4, s14
	s_addc_u32 s19, s5, s15
	s_add_u32 s14, s14, 1
	global_load_ubyte v4, v6, s[18:19]
	s_addc_u32 s15, s15, 0
	s_waitcnt vmcnt(0)
	v_and_b32_e32 v5, 0xffff, v4
	v_lshlrev_b64 v[4:5], s12, v[5:6]
	s_add_u32 s12, s12, 8
	s_addc_u32 s13, s13, 0
	s_cmp_eq_u32 s17, s14
	v_or_b32_e32 v19, v4, v19
	v_or_b32_e32 v20, v5, v20
	s_cbranch_scc0 .LBB10_382
.LBB10_383:                             ;   in Loop: Header=BB10_351 Depth=1
	s_mov_b32 s16, 0
	s_cbranch_execz .LBB10_385
	s_branch .LBB10_386
.LBB10_384:                             ;   in Loop: Header=BB10_351 Depth=1
                                        ; implicit-def: $sgpr16
.LBB10_385:                             ;   in Loop: Header=BB10_351 Depth=1
	global_load_dwordx2 v[19:20], v6, s[4:5]
	s_add_i32 s16, s17, -8
	s_add_u32 s4, s4, 8
	s_addc_u32 s5, s5, 0
.LBB10_386:                             ;   in Loop: Header=BB10_351 Depth=1
	s_cmp_gt_u32 s16, 7
	s_cbranch_scc1 .LBB10_391
; %bb.387:                              ;   in Loop: Header=BB10_351 Depth=1
	v_mov_b32_e32 v21, 0
	v_mov_b32_e32 v22, 0
	s_cmp_eq_u32 s16, 0
	s_cbranch_scc1 .LBB10_390
; %bb.388:                              ;   in Loop: Header=BB10_351 Depth=1
	s_mov_b64 s[12:13], 0
	s_mov_b64 s[14:15], 0
.LBB10_389:                             ;   Parent Loop BB10_351 Depth=1
                                        ; =>  This Inner Loop Header: Depth=2
	s_add_u32 s18, s4, s14
	s_addc_u32 s19, s5, s15
	s_add_u32 s14, s14, 1
	global_load_ubyte v4, v6, s[18:19]
	s_addc_u32 s15, s15, 0
	s_waitcnt vmcnt(0)
	v_and_b32_e32 v5, 0xffff, v4
	v_lshlrev_b64 v[4:5], s12, v[5:6]
	s_add_u32 s12, s12, 8
	s_addc_u32 s13, s13, 0
	s_cmp_eq_u32 s16, s14
	v_or_b32_e32 v21, v4, v21
	v_or_b32_e32 v22, v5, v22
	s_cbranch_scc0 .LBB10_389
.LBB10_390:                             ;   in Loop: Header=BB10_351 Depth=1
	s_mov_b32 s17, 0
	s_cbranch_execz .LBB10_392
	s_branch .LBB10_393
.LBB10_391:                             ;   in Loop: Header=BB10_351 Depth=1
                                        ; implicit-def: $vgpr21_vgpr22
                                        ; implicit-def: $sgpr17
.LBB10_392:                             ;   in Loop: Header=BB10_351 Depth=1
	global_load_dwordx2 v[21:22], v6, s[4:5]
	s_add_i32 s17, s16, -8
	s_add_u32 s4, s4, 8
	s_addc_u32 s5, s5, 0
.LBB10_393:                             ;   in Loop: Header=BB10_351 Depth=1
	s_cmp_gt_u32 s17, 7
	s_cbranch_scc1 .LBB10_398
; %bb.394:                              ;   in Loop: Header=BB10_351 Depth=1
	v_mov_b32_e32 v23, 0
	v_mov_b32_e32 v24, 0
	s_cmp_eq_u32 s17, 0
	s_cbranch_scc1 .LBB10_397
; %bb.395:                              ;   in Loop: Header=BB10_351 Depth=1
	s_mov_b64 s[12:13], 0
	s_mov_b64 s[14:15], s[4:5]
.LBB10_396:                             ;   Parent Loop BB10_351 Depth=1
                                        ; =>  This Inner Loop Header: Depth=2
	global_load_ubyte v4, v6, s[14:15]
	s_add_i32 s17, s17, -1
	s_waitcnt vmcnt(0)
	v_and_b32_e32 v5, 0xffff, v4
	v_lshlrev_b64 v[4:5], s12, v[5:6]
	s_add_u32 s12, s12, 8
	s_addc_u32 s13, s13, 0
	s_add_u32 s14, s14, 1
	s_addc_u32 s15, s15, 0
	s_cmp_eq_u32 s17, 0
	v_or_b32_e32 v23, v4, v23
	v_or_b32_e32 v24, v5, v24
	s_cbranch_scc0 .LBB10_396
.LBB10_397:                             ;   in Loop: Header=BB10_351 Depth=1
	s_cbranch_execz .LBB10_399
	s_branch .LBB10_400
.LBB10_398:                             ;   in Loop: Header=BB10_351 Depth=1
.LBB10_399:                             ;   in Loop: Header=BB10_351 Depth=1
	global_load_dwordx2 v[23:24], v6, s[4:5]
.LBB10_400:                             ;   in Loop: Header=BB10_351 Depth=1
	v_readfirstlane_b32 s4, v65
	s_waitcnt vmcnt(0)
	v_mov_b32_e32 v4, 0
	v_mov_b32_e32 v5, 0
	v_cmp_eq_u32_e64 s4, s4, v65
	s_and_saveexec_b32 s5, s4
	s_cbranch_execz .LBB10_406
; %bb.401:                              ;   in Loop: Header=BB10_351 Depth=1
	global_load_dwordx2 v[27:28], v6, s[28:29] offset:24 glc dlc
	s_waitcnt vmcnt(0)
	buffer_gl1_inv
	buffer_gl0_inv
	s_clause 0x1
	global_load_dwordx2 v[4:5], v6, s[28:29] offset:40
	global_load_dwordx2 v[9:10], v6, s[28:29]
	s_mov_b32 s12, exec_lo
	s_waitcnt vmcnt(1)
	v_and_b32_e32 v5, v5, v28
	v_and_b32_e32 v4, v4, v27
	v_mul_lo_u32 v5, v5, 24
	v_mul_hi_u32 v25, v4, 24
	v_mul_lo_u32 v4, v4, 24
	v_add_nc_u32_e32 v5, v25, v5
	s_waitcnt vmcnt(0)
	v_add_co_u32 v4, vcc_lo, v9, v4
	v_add_co_ci_u32_e32 v5, vcc_lo, v10, v5, vcc_lo
	global_load_dwordx2 v[25:26], v[4:5], off glc dlc
	s_waitcnt vmcnt(0)
	global_atomic_cmpswap_x2 v[4:5], v6, v[25:28], s[28:29] offset:24 glc
	s_waitcnt vmcnt(0)
	buffer_gl1_inv
	buffer_gl0_inv
	v_cmpx_ne_u64_e64 v[4:5], v[27:28]
	s_cbranch_execz .LBB10_405
; %bb.402:                              ;   in Loop: Header=BB10_351 Depth=1
	s_mov_b32 s13, 0
	.p2align	6
.LBB10_403:                             ;   Parent Loop BB10_351 Depth=1
                                        ; =>  This Inner Loop Header: Depth=2
	s_sleep 1
	s_clause 0x1
	global_load_dwordx2 v[9:10], v6, s[28:29] offset:40
	global_load_dwordx2 v[25:26], v6, s[28:29]
	v_mov_b32_e32 v28, v5
	v_mov_b32_e32 v27, v4
	s_waitcnt vmcnt(1)
	v_and_b32_e32 v4, v9, v27
	v_and_b32_e32 v9, v10, v28
	s_waitcnt vmcnt(0)
	v_mad_u64_u32 v[4:5], null, v4, 24, v[25:26]
	v_mad_u64_u32 v[9:10], null, v9, 24, v[5:6]
	v_mov_b32_e32 v5, v9
	global_load_dwordx2 v[25:26], v[4:5], off glc dlc
	s_waitcnt vmcnt(0)
	global_atomic_cmpswap_x2 v[4:5], v6, v[25:28], s[28:29] offset:24 glc
	s_waitcnt vmcnt(0)
	buffer_gl1_inv
	buffer_gl0_inv
	v_cmp_eq_u64_e32 vcc_lo, v[4:5], v[27:28]
	s_or_b32 s13, vcc_lo, s13
	s_andn2_b32 exec_lo, exec_lo, s13
	s_cbranch_execnz .LBB10_403
; %bb.404:                              ;   in Loop: Header=BB10_351 Depth=1
	s_or_b32 exec_lo, exec_lo, s13
.LBB10_405:                             ;   in Loop: Header=BB10_351 Depth=1
	s_or_b32 exec_lo, exec_lo, s12
.LBB10_406:                             ;   in Loop: Header=BB10_351 Depth=1
	s_or_b32 exec_lo, exec_lo, s5
	s_clause 0x1
	global_load_dwordx2 v[9:10], v6, s[28:29] offset:40
	global_load_dwordx4 v[25:28], v6, s[28:29]
	v_readfirstlane_b32 s12, v4
	v_readfirstlane_b32 s13, v5
	s_mov_b32 s5, exec_lo
	s_waitcnt vmcnt(1)
	v_readfirstlane_b32 s14, v9
	v_readfirstlane_b32 s15, v10
	s_and_b64 s[14:15], s[12:13], s[14:15]
	s_mul_i32 s16, s15, 24
	s_mul_hi_u32 s17, s14, 24
	s_mul_i32 s18, s14, 24
	s_add_i32 s17, s17, s16
	s_waitcnt vmcnt(0)
	v_add_co_u32 v29, vcc_lo, v25, s18
	v_add_co_ci_u32_e32 v30, vcc_lo, s17, v26, vcc_lo
	s_and_saveexec_b32 s16, s4
	s_cbranch_execz .LBB10_408
; %bb.407:                              ;   in Loop: Header=BB10_351 Depth=1
	v_mov_b32_e32 v5, s5
	global_store_dwordx4 v[29:30], v[5:8], off offset:8
.LBB10_408:                             ;   in Loop: Header=BB10_351 Depth=1
	s_or_b32 exec_lo, exec_lo, s16
	s_lshl_b64 s[14:15], s[14:15], 12
	v_cmp_gt_u64_e64 vcc_lo, s[8:9], 56
	v_or_b32_e32 v5, v2, v32
	v_add_co_u32 v27, s5, v27, s14
	v_add_co_ci_u32_e64 v28, s5, s15, v28, s5
	s_lshl_b32 s5, s10, 2
	v_or_b32_e32 v4, 0, v3
	v_cndmask_b32_e32 v2, v5, v2, vcc_lo
	s_add_i32 s5, s5, 28
	v_readfirstlane_b32 s14, v27
	s_and_b32 s5, s5, 0x1e0
	v_cndmask_b32_e32 v10, v4, v3, vcc_lo
	v_readfirstlane_b32 s15, v28
	v_and_or_b32 v9, 0xffffff1f, v2, s5
	global_store_dwordx4 v64, v[9:12], s[14:15]
	global_store_dwordx4 v64, v[13:16], s[14:15] offset:16
	global_store_dwordx4 v64, v[17:20], s[14:15] offset:32
	;; [unrolled: 1-line block ×3, first 2 shown]
	s_and_saveexec_b32 s5, s4
	s_cbranch_execz .LBB10_416
; %bb.409:                              ;   in Loop: Header=BB10_351 Depth=1
	s_clause 0x1
	global_load_dwordx2 v[13:14], v6, s[28:29] offset:32 glc dlc
	global_load_dwordx2 v[2:3], v6, s[28:29] offset:40
	v_mov_b32_e32 v11, s12
	v_mov_b32_e32 v12, s13
	s_waitcnt vmcnt(0)
	v_readfirstlane_b32 s14, v2
	v_readfirstlane_b32 s15, v3
	s_and_b64 s[14:15], s[14:15], s[12:13]
	s_mul_i32 s15, s15, 24
	s_mul_hi_u32 s16, s14, 24
	s_mul_i32 s14, s14, 24
	s_add_i32 s16, s16, s15
	v_add_co_u32 v9, vcc_lo, v25, s14
	v_add_co_ci_u32_e32 v10, vcc_lo, s16, v26, vcc_lo
	s_mov_b32 s14, exec_lo
	global_store_dwordx2 v[9:10], v[13:14], off
	s_waitcnt_vscnt null, 0x0
	global_atomic_cmpswap_x2 v[4:5], v6, v[11:14], s[28:29] offset:32 glc
	s_waitcnt vmcnt(0)
	v_cmpx_ne_u64_e64 v[4:5], v[13:14]
	s_cbranch_execz .LBB10_412
; %bb.410:                              ;   in Loop: Header=BB10_351 Depth=1
	s_mov_b32 s15, 0
.LBB10_411:                             ;   Parent Loop BB10_351 Depth=1
                                        ; =>  This Inner Loop Header: Depth=2
	v_mov_b32_e32 v2, s12
	v_mov_b32_e32 v3, s13
	s_sleep 1
	global_store_dwordx2 v[9:10], v[4:5], off
	s_waitcnt_vscnt null, 0x0
	global_atomic_cmpswap_x2 v[2:3], v6, v[2:5], s[28:29] offset:32 glc
	s_waitcnt vmcnt(0)
	v_cmp_eq_u64_e32 vcc_lo, v[2:3], v[4:5]
	v_mov_b32_e32 v5, v3
	v_mov_b32_e32 v4, v2
	s_or_b32 s15, vcc_lo, s15
	s_andn2_b32 exec_lo, exec_lo, s15
	s_cbranch_execnz .LBB10_411
.LBB10_412:                             ;   in Loop: Header=BB10_351 Depth=1
	s_or_b32 exec_lo, exec_lo, s14
	global_load_dwordx2 v[2:3], v6, s[28:29] offset:16
	s_mov_b32 s15, exec_lo
	s_mov_b32 s14, exec_lo
	v_mbcnt_lo_u32_b32 v4, s15, 0
	v_cmpx_eq_u32_e32 0, v4
	s_cbranch_execz .LBB10_414
; %bb.413:                              ;   in Loop: Header=BB10_351 Depth=1
	s_bcnt1_i32_b32 s15, s15
	v_mov_b32_e32 v5, s15
	s_waitcnt vmcnt(0)
	global_atomic_add_x2 v[2:3], v[5:6], off offset:8
.LBB10_414:                             ;   in Loop: Header=BB10_351 Depth=1
	s_or_b32 exec_lo, exec_lo, s14
	s_waitcnt vmcnt(0)
	global_load_dwordx2 v[9:10], v[2:3], off offset:16
	s_waitcnt vmcnt(0)
	v_cmp_eq_u64_e32 vcc_lo, 0, v[9:10]
	s_cbranch_vccnz .LBB10_416
; %bb.415:                              ;   in Loop: Header=BB10_351 Depth=1
	global_load_dword v5, v[2:3], off offset:24
	s_waitcnt vmcnt(0)
	v_and_b32_e32 v2, 0x7fffff, v5
	s_waitcnt_vscnt null, 0x0
	global_store_dwordx2 v[9:10], v[5:6], off
	v_readfirstlane_b32 m0, v2
	s_sendmsg sendmsg(MSG_INTERRUPT)
.LBB10_416:                             ;   in Loop: Header=BB10_351 Depth=1
	s_or_b32 exec_lo, exec_lo, s5
	v_add_co_u32 v2, vcc_lo, v27, v64
	v_add_co_ci_u32_e32 v3, vcc_lo, 0, v28, vcc_lo
	s_branch .LBB10_420
	.p2align	6
.LBB10_417:                             ;   in Loop: Header=BB10_420 Depth=2
	s_or_b32 exec_lo, exec_lo, s5
	v_readfirstlane_b32 s5, v4
	s_cmp_eq_u32 s5, 0
	s_cbranch_scc1 .LBB10_419
; %bb.418:                              ;   in Loop: Header=BB10_420 Depth=2
	s_sleep 1
	s_cbranch_execnz .LBB10_420
	s_branch .LBB10_422
	.p2align	6
.LBB10_419:                             ;   in Loop: Header=BB10_351 Depth=1
	s_branch .LBB10_422
.LBB10_420:                             ;   Parent Loop BB10_351 Depth=1
                                        ; =>  This Inner Loop Header: Depth=2
	v_mov_b32_e32 v4, 1
	s_and_saveexec_b32 s5, s4
	s_cbranch_execz .LBB10_417
; %bb.421:                              ;   in Loop: Header=BB10_420 Depth=2
	global_load_dword v4, v[29:30], off offset:20 glc dlc
	s_waitcnt vmcnt(0)
	buffer_gl1_inv
	buffer_gl0_inv
	v_and_b32_e32 v4, 1, v4
	s_branch .LBB10_417
.LBB10_422:                             ;   in Loop: Header=BB10_351 Depth=1
	global_load_dwordx4 v[2:5], v[2:3], off
	s_and_saveexec_b32 s5, s4
	s_cbranch_execz .LBB10_350
; %bb.423:                              ;   in Loop: Header=BB10_351 Depth=1
	s_clause 0x2
	global_load_dwordx2 v[4:5], v6, s[28:29] offset:40
	global_load_dwordx2 v[13:14], v6, s[28:29] offset:24 glc dlc
	global_load_dwordx2 v[11:12], v6, s[28:29]
	s_waitcnt vmcnt(2)
	v_add_co_u32 v15, vcc_lo, v4, 1
	v_add_co_ci_u32_e32 v16, vcc_lo, 0, v5, vcc_lo
	v_add_co_u32 v9, vcc_lo, v15, s12
	v_add_co_ci_u32_e32 v10, vcc_lo, s13, v16, vcc_lo
	v_cmp_eq_u64_e32 vcc_lo, 0, v[9:10]
	v_cndmask_b32_e32 v10, v10, v16, vcc_lo
	v_cndmask_b32_e32 v9, v9, v15, vcc_lo
	v_and_b32_e32 v5, v10, v5
	v_and_b32_e32 v4, v9, v4
	v_mul_lo_u32 v5, v5, 24
	v_mul_hi_u32 v15, v4, 24
	v_mul_lo_u32 v4, v4, 24
	v_add_nc_u32_e32 v5, v15, v5
	s_waitcnt vmcnt(0)
	v_add_co_u32 v4, vcc_lo, v11, v4
	v_mov_b32_e32 v11, v13
	v_add_co_ci_u32_e32 v5, vcc_lo, v12, v5, vcc_lo
	v_mov_b32_e32 v12, v14
	global_store_dwordx2 v[4:5], v[13:14], off
	s_waitcnt_vscnt null, 0x0
	global_atomic_cmpswap_x2 v[11:12], v6, v[9:12], s[28:29] offset:24 glc
	s_waitcnt vmcnt(0)
	v_cmp_ne_u64_e32 vcc_lo, v[11:12], v[13:14]
	s_and_b32 exec_lo, exec_lo, vcc_lo
	s_cbranch_execz .LBB10_350
; %bb.424:                              ;   in Loop: Header=BB10_351 Depth=1
	s_mov_b32 s4, 0
.LBB10_425:                             ;   Parent Loop BB10_351 Depth=1
                                        ; =>  This Inner Loop Header: Depth=2
	s_sleep 1
	global_store_dwordx2 v[4:5], v[11:12], off
	s_waitcnt_vscnt null, 0x0
	global_atomic_cmpswap_x2 v[13:14], v6, v[9:12], s[28:29] offset:24 glc
	s_waitcnt vmcnt(0)
	v_cmp_eq_u64_e32 vcc_lo, v[13:14], v[11:12]
	v_mov_b32_e32 v11, v13
	v_mov_b32_e32 v12, v14
	s_or_b32 s4, vcc_lo, s4
	s_andn2_b32 exec_lo, exec_lo, s4
	s_cbranch_execnz .LBB10_425
	s_branch .LBB10_350
.LBB10_426:
	s_branch .LBB10_455
.LBB10_427:
                                        ; implicit-def: $vgpr2_vgpr3
	s_cbranch_execz .LBB10_455
; %bb.428:
	v_readfirstlane_b32 s4, v65
	v_mov_b32_e32 v8, 0
	v_mov_b32_e32 v9, 0
	v_cmp_eq_u32_e64 s4, s4, v65
	s_and_saveexec_b32 s5, s4
	s_cbranch_execz .LBB10_434
; %bb.429:
	s_waitcnt vmcnt(0)
	v_mov_b32_e32 v2, 0
	s_mov_b32 s6, exec_lo
	global_load_dwordx2 v[5:6], v2, s[28:29] offset:24 glc dlc
	s_waitcnt vmcnt(0)
	buffer_gl1_inv
	buffer_gl0_inv
	s_clause 0x1
	global_load_dwordx2 v[3:4], v2, s[28:29] offset:40
	global_load_dwordx2 v[7:8], v2, s[28:29]
	s_waitcnt vmcnt(1)
	v_and_b32_e32 v4, v4, v6
	v_and_b32_e32 v3, v3, v5
	v_mul_lo_u32 v4, v4, 24
	v_mul_hi_u32 v9, v3, 24
	v_mul_lo_u32 v3, v3, 24
	v_add_nc_u32_e32 v4, v9, v4
	s_waitcnt vmcnt(0)
	v_add_co_u32 v3, vcc_lo, v7, v3
	v_add_co_ci_u32_e32 v4, vcc_lo, v8, v4, vcc_lo
	global_load_dwordx2 v[3:4], v[3:4], off glc dlc
	s_waitcnt vmcnt(0)
	global_atomic_cmpswap_x2 v[8:9], v2, v[3:6], s[28:29] offset:24 glc
	s_waitcnt vmcnt(0)
	buffer_gl1_inv
	buffer_gl0_inv
	v_cmpx_ne_u64_e64 v[8:9], v[5:6]
	s_cbranch_execz .LBB10_433
; %bb.430:
	s_mov_b32 s7, 0
	.p2align	6
.LBB10_431:                             ; =>This Inner Loop Header: Depth=1
	s_sleep 1
	s_clause 0x1
	global_load_dwordx2 v[3:4], v2, s[28:29] offset:40
	global_load_dwordx2 v[10:11], v2, s[28:29]
	v_mov_b32_e32 v5, v8
	v_mov_b32_e32 v6, v9
	s_waitcnt vmcnt(1)
	v_and_b32_e32 v3, v3, v5
	v_and_b32_e32 v4, v4, v6
	s_waitcnt vmcnt(0)
	v_mad_u64_u32 v[7:8], null, v3, 24, v[10:11]
	v_mov_b32_e32 v3, v8
	v_mad_u64_u32 v[3:4], null, v4, 24, v[3:4]
	v_mov_b32_e32 v8, v3
	global_load_dwordx2 v[3:4], v[7:8], off glc dlc
	s_waitcnt vmcnt(0)
	global_atomic_cmpswap_x2 v[8:9], v2, v[3:6], s[28:29] offset:24 glc
	s_waitcnt vmcnt(0)
	buffer_gl1_inv
	buffer_gl0_inv
	v_cmp_eq_u64_e32 vcc_lo, v[8:9], v[5:6]
	s_or_b32 s7, vcc_lo, s7
	s_andn2_b32 exec_lo, exec_lo, s7
	s_cbranch_execnz .LBB10_431
; %bb.432:
	s_or_b32 exec_lo, exec_lo, s7
.LBB10_433:
	s_or_b32 exec_lo, exec_lo, s6
.LBB10_434:
	s_or_b32 exec_lo, exec_lo, s5
	s_waitcnt vmcnt(0)
	v_mov_b32_e32 v2, 0
	v_readfirstlane_b32 s6, v8
	v_readfirstlane_b32 s7, v9
	s_mov_b32 s5, exec_lo
	s_clause 0x1
	global_load_dwordx2 v[10:11], v2, s[28:29] offset:40
	global_load_dwordx4 v[4:7], v2, s[28:29]
	s_waitcnt vmcnt(1)
	v_readfirstlane_b32 s8, v10
	v_readfirstlane_b32 s9, v11
	s_and_b64 s[8:9], s[6:7], s[8:9]
	s_mul_i32 s10, s9, 24
	s_mul_hi_u32 s11, s8, 24
	s_mul_i32 s12, s8, 24
	s_add_i32 s11, s11, s10
	s_waitcnt vmcnt(0)
	v_add_co_u32 v8, vcc_lo, v4, s12
	v_add_co_ci_u32_e32 v9, vcc_lo, s11, v5, vcc_lo
	s_and_saveexec_b32 s10, s4
	s_cbranch_execz .LBB10_436
; %bb.435:
	v_mov_b32_e32 v10, s5
	v_mov_b32_e32 v11, v2
	;; [unrolled: 1-line block ×4, first 2 shown]
	global_store_dwordx4 v[8:9], v[10:13], off offset:8
.LBB10_436:
	s_or_b32 exec_lo, exec_lo, s10
	s_lshl_b64 s[8:9], s[8:9], 12
	v_and_or_b32 v0, 0xffffff1f, v0, 32
	v_add_co_u32 v6, vcc_lo, v6, s8
	v_add_co_ci_u32_e32 v7, vcc_lo, s9, v7, vcc_lo
	s_mov_b32 s8, 0
	v_readfirstlane_b32 s12, v6
	s_mov_b32 s11, s8
	v_add_co_u32 v6, vcc_lo, v6, v64
	s_mov_b32 s9, s8
	s_mov_b32 s10, s8
	v_mov_b32_e32 v3, v2
	v_readfirstlane_b32 s13, v7
	v_mov_b32_e32 v13, s11
	v_add_co_ci_u32_e32 v7, vcc_lo, 0, v7, vcc_lo
	v_mov_b32_e32 v12, s10
	v_mov_b32_e32 v11, s9
	;; [unrolled: 1-line block ×3, first 2 shown]
	global_store_dwordx4 v64, v[0:3], s[12:13]
	global_store_dwordx4 v64, v[10:13], s[12:13] offset:16
	global_store_dwordx4 v64, v[10:13], s[12:13] offset:32
	;; [unrolled: 1-line block ×3, first 2 shown]
	s_and_saveexec_b32 s5, s4
	s_cbranch_execz .LBB10_444
; %bb.437:
	v_mov_b32_e32 v10, 0
	v_mov_b32_e32 v11, s6
	;; [unrolled: 1-line block ×3, first 2 shown]
	s_clause 0x1
	global_load_dwordx2 v[13:14], v10, s[28:29] offset:32 glc dlc
	global_load_dwordx2 v[0:1], v10, s[28:29] offset:40
	s_waitcnt vmcnt(0)
	v_readfirstlane_b32 s8, v0
	v_readfirstlane_b32 s9, v1
	s_and_b64 s[8:9], s[8:9], s[6:7]
	s_mul_i32 s9, s9, 24
	s_mul_hi_u32 s10, s8, 24
	s_mul_i32 s8, s8, 24
	s_add_i32 s10, s10, s9
	v_add_co_u32 v4, vcc_lo, v4, s8
	v_add_co_ci_u32_e32 v5, vcc_lo, s10, v5, vcc_lo
	s_mov_b32 s8, exec_lo
	global_store_dwordx2 v[4:5], v[13:14], off
	s_waitcnt_vscnt null, 0x0
	global_atomic_cmpswap_x2 v[2:3], v10, v[11:14], s[28:29] offset:32 glc
	s_waitcnt vmcnt(0)
	v_cmpx_ne_u64_e64 v[2:3], v[13:14]
	s_cbranch_execz .LBB10_440
; %bb.438:
	s_mov_b32 s9, 0
.LBB10_439:                             ; =>This Inner Loop Header: Depth=1
	v_mov_b32_e32 v0, s6
	v_mov_b32_e32 v1, s7
	s_sleep 1
	global_store_dwordx2 v[4:5], v[2:3], off
	s_waitcnt_vscnt null, 0x0
	global_atomic_cmpswap_x2 v[0:1], v10, v[0:3], s[28:29] offset:32 glc
	s_waitcnt vmcnt(0)
	v_cmp_eq_u64_e32 vcc_lo, v[0:1], v[2:3]
	v_mov_b32_e32 v3, v1
	v_mov_b32_e32 v2, v0
	s_or_b32 s9, vcc_lo, s9
	s_andn2_b32 exec_lo, exec_lo, s9
	s_cbranch_execnz .LBB10_439
.LBB10_440:
	s_or_b32 exec_lo, exec_lo, s8
	v_mov_b32_e32 v3, 0
	s_mov_b32 s9, exec_lo
	s_mov_b32 s8, exec_lo
	v_mbcnt_lo_u32_b32 v2, s9, 0
	global_load_dwordx2 v[0:1], v3, s[28:29] offset:16
	v_cmpx_eq_u32_e32 0, v2
	s_cbranch_execz .LBB10_442
; %bb.441:
	s_bcnt1_i32_b32 s9, s9
	v_mov_b32_e32 v2, s9
	s_waitcnt vmcnt(0)
	global_atomic_add_x2 v[0:1], v[2:3], off offset:8
.LBB10_442:
	s_or_b32 exec_lo, exec_lo, s8
	s_waitcnt vmcnt(0)
	global_load_dwordx2 v[2:3], v[0:1], off offset:16
	s_waitcnt vmcnt(0)
	v_cmp_eq_u64_e32 vcc_lo, 0, v[2:3]
	s_cbranch_vccnz .LBB10_444
; %bb.443:
	global_load_dword v0, v[0:1], off offset:24
	v_mov_b32_e32 v1, 0
	s_waitcnt vmcnt(0)
	v_and_b32_e32 v4, 0x7fffff, v0
	s_waitcnt_vscnt null, 0x0
	global_store_dwordx2 v[2:3], v[0:1], off
	v_readfirstlane_b32 m0, v4
	s_sendmsg sendmsg(MSG_INTERRUPT)
.LBB10_444:
	s_or_b32 exec_lo, exec_lo, s5
	s_branch .LBB10_448
	.p2align	6
.LBB10_445:                             ;   in Loop: Header=BB10_448 Depth=1
	s_or_b32 exec_lo, exec_lo, s5
	v_readfirstlane_b32 s5, v0
	s_cmp_eq_u32 s5, 0
	s_cbranch_scc1 .LBB10_447
; %bb.446:                              ;   in Loop: Header=BB10_448 Depth=1
	s_sleep 1
	s_cbranch_execnz .LBB10_448
	s_branch .LBB10_450
	.p2align	6
.LBB10_447:
	s_branch .LBB10_450
.LBB10_448:                             ; =>This Inner Loop Header: Depth=1
	v_mov_b32_e32 v0, 1
	s_and_saveexec_b32 s5, s4
	s_cbranch_execz .LBB10_445
; %bb.449:                              ;   in Loop: Header=BB10_448 Depth=1
	global_load_dword v0, v[8:9], off offset:20 glc dlc
	s_waitcnt vmcnt(0)
	buffer_gl1_inv
	buffer_gl0_inv
	v_and_b32_e32 v0, 1, v0
	s_branch .LBB10_445
.LBB10_450:
	global_load_dwordx2 v[2:3], v[6:7], off
	s_and_saveexec_b32 s5, s4
	s_cbranch_execz .LBB10_454
; %bb.451:
	v_mov_b32_e32 v8, 0
	s_clause 0x2
	global_load_dwordx2 v[0:1], v8, s[28:29] offset:40
	global_load_dwordx2 v[9:10], v8, s[28:29] offset:24 glc dlc
	global_load_dwordx2 v[6:7], v8, s[28:29]
	s_waitcnt vmcnt(2)
	v_add_co_u32 v11, vcc_lo, v0, 1
	v_add_co_ci_u32_e32 v12, vcc_lo, 0, v1, vcc_lo
	v_add_co_u32 v4, vcc_lo, v11, s6
	v_add_co_ci_u32_e32 v5, vcc_lo, s7, v12, vcc_lo
	v_cmp_eq_u64_e32 vcc_lo, 0, v[4:5]
	v_cndmask_b32_e32 v5, v5, v12, vcc_lo
	v_cndmask_b32_e32 v4, v4, v11, vcc_lo
	v_and_b32_e32 v1, v5, v1
	v_and_b32_e32 v0, v4, v0
	v_mul_lo_u32 v1, v1, 24
	v_mul_hi_u32 v11, v0, 24
	v_mul_lo_u32 v0, v0, 24
	v_add_nc_u32_e32 v1, v11, v1
	s_waitcnt vmcnt(0)
	v_add_co_u32 v0, vcc_lo, v6, v0
	v_mov_b32_e32 v6, v9
	v_add_co_ci_u32_e32 v1, vcc_lo, v7, v1, vcc_lo
	v_mov_b32_e32 v7, v10
	global_store_dwordx2 v[0:1], v[9:10], off
	s_waitcnt_vscnt null, 0x0
	global_atomic_cmpswap_x2 v[6:7], v8, v[4:7], s[28:29] offset:24 glc
	s_waitcnt vmcnt(0)
	v_cmp_ne_u64_e32 vcc_lo, v[6:7], v[9:10]
	s_and_b32 exec_lo, exec_lo, vcc_lo
	s_cbranch_execz .LBB10_454
; %bb.452:
	s_mov_b32 s4, 0
.LBB10_453:                             ; =>This Inner Loop Header: Depth=1
	s_sleep 1
	global_store_dwordx2 v[0:1], v[6:7], off
	s_waitcnt_vscnt null, 0x0
	global_atomic_cmpswap_x2 v[9:10], v8, v[4:7], s[28:29] offset:24 glc
	s_waitcnt vmcnt(0)
	v_cmp_eq_u64_e32 vcc_lo, v[9:10], v[6:7]
	v_mov_b32_e32 v6, v9
	v_mov_b32_e32 v7, v10
	s_or_b32 s4, vcc_lo, s4
	s_andn2_b32 exec_lo, exec_lo, s4
	s_cbranch_execnz .LBB10_453
.LBB10_454:
	s_or_b32 exec_lo, exec_lo, s5
.LBB10_455:
	v_readfirstlane_b32 s4, v65
	s_waitcnt vmcnt(0)
	v_mov_b32_e32 v0, 0
	v_mov_b32_e32 v1, 0
	v_cmp_eq_u32_e64 s4, s4, v65
	s_and_saveexec_b32 s5, s4
	s_cbranch_execz .LBB10_461
; %bb.456:
	v_mov_b32_e32 v4, 0
	s_mov_b32 s6, exec_lo
	global_load_dwordx2 v[7:8], v4, s[28:29] offset:24 glc dlc
	s_waitcnt vmcnt(0)
	buffer_gl1_inv
	buffer_gl0_inv
	s_clause 0x1
	global_load_dwordx2 v[0:1], v4, s[28:29] offset:40
	global_load_dwordx2 v[5:6], v4, s[28:29]
	s_waitcnt vmcnt(1)
	v_and_b32_e32 v1, v1, v8
	v_and_b32_e32 v0, v0, v7
	v_mul_lo_u32 v1, v1, 24
	v_mul_hi_u32 v9, v0, 24
	v_mul_lo_u32 v0, v0, 24
	v_add_nc_u32_e32 v1, v9, v1
	s_waitcnt vmcnt(0)
	v_add_co_u32 v0, vcc_lo, v5, v0
	v_add_co_ci_u32_e32 v1, vcc_lo, v6, v1, vcc_lo
	global_load_dwordx2 v[5:6], v[0:1], off glc dlc
	s_waitcnt vmcnt(0)
	global_atomic_cmpswap_x2 v[0:1], v4, v[5:8], s[28:29] offset:24 glc
	s_waitcnt vmcnt(0)
	buffer_gl1_inv
	buffer_gl0_inv
	v_cmpx_ne_u64_e64 v[0:1], v[7:8]
	s_cbranch_execz .LBB10_460
; %bb.457:
	s_mov_b32 s7, 0
	.p2align	6
.LBB10_458:                             ; =>This Inner Loop Header: Depth=1
	s_sleep 1
	s_clause 0x1
	global_load_dwordx2 v[5:6], v4, s[28:29] offset:40
	global_load_dwordx2 v[9:10], v4, s[28:29]
	v_mov_b32_e32 v8, v1
	v_mov_b32_e32 v7, v0
	s_waitcnt vmcnt(1)
	v_and_b32_e32 v0, v5, v7
	v_and_b32_e32 v5, v6, v8
	s_waitcnt vmcnt(0)
	v_mad_u64_u32 v[0:1], null, v0, 24, v[9:10]
	v_mad_u64_u32 v[5:6], null, v5, 24, v[1:2]
	v_mov_b32_e32 v1, v5
	global_load_dwordx2 v[5:6], v[0:1], off glc dlc
	s_waitcnt vmcnt(0)
	global_atomic_cmpswap_x2 v[0:1], v4, v[5:8], s[28:29] offset:24 glc
	s_waitcnt vmcnt(0)
	buffer_gl1_inv
	buffer_gl0_inv
	v_cmp_eq_u64_e32 vcc_lo, v[0:1], v[7:8]
	s_or_b32 s7, vcc_lo, s7
	s_andn2_b32 exec_lo, exec_lo, s7
	s_cbranch_execnz .LBB10_458
; %bb.459:
	s_or_b32 exec_lo, exec_lo, s7
.LBB10_460:
	s_or_b32 exec_lo, exec_lo, s6
.LBB10_461:
	s_or_b32 exec_lo, exec_lo, s5
	v_mov_b32_e32 v11, 0
	v_readfirstlane_b32 s6, v0
	v_readfirstlane_b32 s7, v1
	s_mov_b32 s5, exec_lo
	s_clause 0x1
	global_load_dwordx2 v[4:5], v11, s[28:29] offset:40
	global_load_dwordx4 v[6:9], v11, s[28:29]
	s_waitcnt vmcnt(1)
	v_readfirstlane_b32 s8, v4
	v_readfirstlane_b32 s9, v5
	s_and_b64 s[8:9], s[6:7], s[8:9]
	s_mul_i32 s10, s9, 24
	s_mul_hi_u32 s11, s8, 24
	s_mul_i32 s12, s8, 24
	s_add_i32 s11, s11, s10
	s_waitcnt vmcnt(0)
	v_add_co_u32 v14, vcc_lo, v6, s12
	v_add_co_ci_u32_e32 v15, vcc_lo, s11, v7, vcc_lo
	s_and_saveexec_b32 s10, s4
	s_cbranch_execz .LBB10_463
; %bb.462:
	v_mov_b32_e32 v10, s5
	v_mov_b32_e32 v12, 2
	;; [unrolled: 1-line block ×3, first 2 shown]
	global_store_dwordx4 v[14:15], v[10:13], off offset:8
.LBB10_463:
	s_or_b32 exec_lo, exec_lo, s10
	s_lshl_b64 s[8:9], s[8:9], 12
	v_and_or_b32 v2, 0xffffff1d, v2, 34
	v_add_co_u32 v0, vcc_lo, v8, s8
	v_add_co_ci_u32_e32 v1, vcc_lo, s9, v9, vcc_lo
	s_mov_b32 s8, 0
	s_waitcnt lgkmcnt(0)
	v_ashrrev_i32_e32 v5, 31, v31
	s_mov_b32 s9, s8
	s_mov_b32 s10, s8
	;; [unrolled: 1-line block ×3, first 2 shown]
	v_mov_b32_e32 v4, v31
	v_readfirstlane_b32 s12, v0
	v_readfirstlane_b32 s13, v1
	v_mov_b32_e32 v8, s8
	v_mov_b32_e32 v9, s9
	;; [unrolled: 1-line block ×4, first 2 shown]
	global_store_dwordx4 v64, v[2:5], s[12:13]
	global_store_dwordx4 v64, v[8:11], s[12:13] offset:16
	global_store_dwordx4 v64, v[8:11], s[12:13] offset:32
	;; [unrolled: 1-line block ×3, first 2 shown]
	s_and_saveexec_b32 s5, s4
	s_cbranch_execz .LBB10_471
; %bb.464:
	v_mov_b32_e32 v8, 0
	v_mov_b32_e32 v9, s6
	;; [unrolled: 1-line block ×3, first 2 shown]
	s_clause 0x1
	global_load_dwordx2 v[11:12], v8, s[28:29] offset:32 glc dlc
	global_load_dwordx2 v[0:1], v8, s[28:29] offset:40
	s_waitcnt vmcnt(0)
	v_readfirstlane_b32 s8, v0
	v_readfirstlane_b32 s9, v1
	s_and_b64 s[8:9], s[8:9], s[6:7]
	s_mul_i32 s9, s9, 24
	s_mul_hi_u32 s10, s8, 24
	s_mul_i32 s8, s8, 24
	s_add_i32 s10, s10, s9
	v_add_co_u32 v4, vcc_lo, v6, s8
	v_add_co_ci_u32_e32 v5, vcc_lo, s10, v7, vcc_lo
	s_mov_b32 s8, exec_lo
	global_store_dwordx2 v[4:5], v[11:12], off
	s_waitcnt_vscnt null, 0x0
	global_atomic_cmpswap_x2 v[2:3], v8, v[9:12], s[28:29] offset:32 glc
	s_waitcnt vmcnt(0)
	v_cmpx_ne_u64_e64 v[2:3], v[11:12]
	s_cbranch_execz .LBB10_467
; %bb.465:
	s_mov_b32 s9, 0
.LBB10_466:                             ; =>This Inner Loop Header: Depth=1
	v_mov_b32_e32 v0, s6
	v_mov_b32_e32 v1, s7
	s_sleep 1
	global_store_dwordx2 v[4:5], v[2:3], off
	s_waitcnt_vscnt null, 0x0
	global_atomic_cmpswap_x2 v[0:1], v8, v[0:3], s[28:29] offset:32 glc
	s_waitcnt vmcnt(0)
	v_cmp_eq_u64_e32 vcc_lo, v[0:1], v[2:3]
	v_mov_b32_e32 v3, v1
	v_mov_b32_e32 v2, v0
	s_or_b32 s9, vcc_lo, s9
	s_andn2_b32 exec_lo, exec_lo, s9
	s_cbranch_execnz .LBB10_466
.LBB10_467:
	s_or_b32 exec_lo, exec_lo, s8
	v_mov_b32_e32 v3, 0
	s_mov_b32 s9, exec_lo
	s_mov_b32 s8, exec_lo
	v_mbcnt_lo_u32_b32 v2, s9, 0
	global_load_dwordx2 v[0:1], v3, s[28:29] offset:16
	v_cmpx_eq_u32_e32 0, v2
	s_cbranch_execz .LBB10_469
; %bb.468:
	s_bcnt1_i32_b32 s9, s9
	v_mov_b32_e32 v2, s9
	s_waitcnt vmcnt(0)
	global_atomic_add_x2 v[0:1], v[2:3], off offset:8
.LBB10_469:
	s_or_b32 exec_lo, exec_lo, s8
	s_waitcnt vmcnt(0)
	global_load_dwordx2 v[2:3], v[0:1], off offset:16
	s_waitcnt vmcnt(0)
	v_cmp_eq_u64_e32 vcc_lo, 0, v[2:3]
	s_cbranch_vccnz .LBB10_471
; %bb.470:
	global_load_dword v0, v[0:1], off offset:24
	v_mov_b32_e32 v1, 0
	s_waitcnt vmcnt(0)
	v_and_b32_e32 v4, 0x7fffff, v0
	s_waitcnt_vscnt null, 0x0
	global_store_dwordx2 v[2:3], v[0:1], off
	v_readfirstlane_b32 m0, v4
	s_sendmsg sendmsg(MSG_INTERRUPT)
.LBB10_471:
	s_or_b32 exec_lo, exec_lo, s5
	s_branch .LBB10_475
	.p2align	6
.LBB10_472:                             ;   in Loop: Header=BB10_475 Depth=1
	s_or_b32 exec_lo, exec_lo, s5
	v_readfirstlane_b32 s5, v0
	s_cmp_eq_u32 s5, 0
	s_cbranch_scc1 .LBB10_474
; %bb.473:                              ;   in Loop: Header=BB10_475 Depth=1
	s_sleep 1
	s_cbranch_execnz .LBB10_475
	s_branch .LBB10_477
	.p2align	6
.LBB10_474:
	s_branch .LBB10_477
.LBB10_475:                             ; =>This Inner Loop Header: Depth=1
	v_mov_b32_e32 v0, 1
	s_and_saveexec_b32 s5, s4
	s_cbranch_execz .LBB10_472
; %bb.476:                              ;   in Loop: Header=BB10_475 Depth=1
	global_load_dword v0, v[14:15], off offset:20 glc dlc
	s_waitcnt vmcnt(0)
	buffer_gl1_inv
	buffer_gl0_inv
	v_and_b32_e32 v0, 1, v0
	s_branch .LBB10_472
.LBB10_477:
	s_and_saveexec_b32 s5, s4
	s_cbranch_execz .LBB10_481
; %bb.478:
	v_mov_b32_e32 v6, 0
	s_clause 0x2
	global_load_dwordx2 v[2:3], v6, s[28:29] offset:40
	global_load_dwordx2 v[7:8], v6, s[28:29] offset:24 glc dlc
	global_load_dwordx2 v[4:5], v6, s[28:29]
	s_waitcnt vmcnt(2)
	v_add_co_u32 v9, vcc_lo, v2, 1
	v_add_co_ci_u32_e32 v10, vcc_lo, 0, v3, vcc_lo
	v_add_co_u32 v0, vcc_lo, v9, s6
	v_add_co_ci_u32_e32 v1, vcc_lo, s7, v10, vcc_lo
	v_cmp_eq_u64_e32 vcc_lo, 0, v[0:1]
	v_cndmask_b32_e32 v1, v1, v10, vcc_lo
	v_cndmask_b32_e32 v0, v0, v9, vcc_lo
	v_and_b32_e32 v3, v1, v3
	v_and_b32_e32 v2, v0, v2
	v_mul_lo_u32 v3, v3, 24
	v_mul_hi_u32 v9, v2, 24
	v_mul_lo_u32 v2, v2, 24
	v_add_nc_u32_e32 v3, v9, v3
	s_waitcnt vmcnt(0)
	v_add_co_u32 v4, vcc_lo, v4, v2
	v_mov_b32_e32 v2, v7
	v_add_co_ci_u32_e32 v5, vcc_lo, v5, v3, vcc_lo
	v_mov_b32_e32 v3, v8
	global_store_dwordx2 v[4:5], v[7:8], off
	s_waitcnt_vscnt null, 0x0
	global_atomic_cmpswap_x2 v[2:3], v6, v[0:3], s[28:29] offset:24 glc
	s_waitcnt vmcnt(0)
	v_cmp_ne_u64_e32 vcc_lo, v[2:3], v[7:8]
	s_and_b32 exec_lo, exec_lo, vcc_lo
	s_cbranch_execz .LBB10_481
; %bb.479:
	s_mov_b32 s4, 0
.LBB10_480:                             ; =>This Inner Loop Header: Depth=1
	s_sleep 1
	global_store_dwordx2 v[4:5], v[2:3], off
	s_waitcnt_vscnt null, 0x0
	global_atomic_cmpswap_x2 v[7:8], v6, v[0:3], s[28:29] offset:24 glc
	s_waitcnt vmcnt(0)
	v_cmp_eq_u64_e32 vcc_lo, v[7:8], v[2:3]
	v_mov_b32_e32 v2, v7
	v_mov_b32_e32 v3, v8
	s_or_b32 s4, vcc_lo, s4
	s_andn2_b32 exec_lo, exec_lo, s4
	s_cbranch_execnz .LBB10_480
.LBB10_481:
	s_or_b32 exec_lo, exec_lo, s5
	v_readlane_b32 s30, v40, 0
	v_readlane_b32 s31, v40, 1
	;; [unrolled: 1-line block ×3, first 2 shown]
	s_or_saveexec_b32 s5, -1
	buffer_load_dword v40, off, s[0:3], s33 ; 4-byte Folded Reload
	s_mov_b32 exec_lo, s5
	s_addk_i32 s32, 0xfe00
	s_mov_b32 s33, s4
	s_waitcnt vmcnt(0) lgkmcnt(0)
	s_setpc_b64 s[30:31]
.Lfunc_end10:
	.size	_ZN8migraphx4testlsIKNS_13basic_printerIZNS_4coutEvEUlT_E_EEEERS3_S7_RKNS0_10expressionINS0_14lhs_expressionIRNS_5arrayIiLj2EEENS0_3nopEEESC_NS0_5equalEEE, .Lfunc_end10-_ZN8migraphx4testlsIKNS_13basic_printerIZNS_4coutEvEUlT_E_EEEERS3_S7_RKNS0_10expressionINS0_14lhs_expressionIRNS_5arrayIiLj2EEENS0_3nopEEESC_NS0_5equalEEE
                                        ; -- End function
	.section	.AMDGPU.csdata,"",@progbits
; Function info:
; codeLenInByte = 18116
; NumSgprs: 40
; NumVgprs: 66
; ScratchSize: 16
; MemoryBound: 0
	.text
	.p2align	2                               ; -- Begin function _ZL21merge_single_elementsRN8migraphx4test12test_managerE
	.type	_ZL21merge_single_elementsRN8migraphx4test12test_managerE,@function
_ZL21merge_single_elementsRN8migraphx4test12test_managerE: ; @_ZL21merge_single_elementsRN8migraphx4test12test_managerE
; %bb.0:
	s_waitcnt vmcnt(0) expcnt(0) lgkmcnt(0)
	s_mov_b32 s4, s33
	s_mov_b32 s33, s32
	s_or_saveexec_b32 s5, -1
	buffer_store_dword v41, off, s[0:3], s33 offset:40 ; 4-byte Folded Spill
	s_mov_b32 exec_lo, s5
	v_writelane_b32 v41, s4, 2
	v_writelane_b32 v41, s30, 0
	s_addk_i32 s32, 0x600
	v_writelane_b32 v41, s31, 1
	v_lshrrev_b32_e64 v2, 5, s33
	v_mov_b32_e32 v67, v1
	v_mov_b32_e32 v66, v0
	;; [unrolled: 1-line block ×5, first 2 shown]
	v_add_nc_u32_e32 v2, 8, v2
	v_mov_b32_e32 v6, 0
	s_mov_b32 s4, 0
	buffer_store_dword v0, off, s[0:3], s33
	buffer_store_dword v1, off, s[0:3], s33 offset:4
	buffer_store_dword v4, off, s[0:3], s33 offset:8
	;; [unrolled: 1-line block ×3, first 2 shown]
                                        ; implicit-def: $sgpr5
                                        ; implicit-def: $sgpr7
                                        ; implicit-def: $sgpr6
	s_inst_prefetch 0x1
	s_branch .LBB11_2
	.p2align	6
.LBB11_1:                               ;   in Loop: Header=BB11_2 Depth=1
	s_or_b32 exec_lo, exec_lo, s10
	s_and_b32 s10, exec_lo, s7
	s_or_b32 s4, s10, s4
	s_andn2_b32 s5, s5, exec_lo
	s_and_b32 s10, s6, exec_lo
	s_or_b32 s5, s5, s10
	s_andn2_b32 exec_lo, exec_lo, s4
	s_cbranch_execz .LBB11_4
.LBB11_2:                               ; =>This Inner Loop Header: Depth=1
	v_mov_b32_e32 v3, v4
	v_mov_b32_e32 v1, v6
	;; [unrolled: 1-line block ×3, first 2 shown]
	s_or_b32 s6, s6, exec_lo
	s_or_b32 s7, s7, exec_lo
	s_mov_b32 s10, exec_lo
                                        ; implicit-def: $vgpr6
                                        ; implicit-def: $vgpr4
                                        ; implicit-def: $vgpr2
                                        ; implicit-def: $vgpr5
	v_cmpx_ne_u32_e32 4, v3
	s_cbranch_execz .LBB11_1
; %bb.3:                                ;   in Loop: Header=BB11_2 Depth=1
	v_lshrrev_b32_e64 v4, 5, s33
	v_lshrrev_b32_e64 v5, 5, s33
	s_andn2_b32 s7, s7, exec_lo
	s_andn2_b32 s6, s6, exec_lo
	v_add_nc_u32_e32 v4, 4, v4
	v_add_nc_u32_e32 v2, v4, v3
	;; [unrolled: 1-line block ×3, first 2 shown]
	s_clause 0x1
	buffer_load_dword v2, v2, s[0:3], 0 offen
	buffer_load_dword v4, v4, s[0:3], 0 offen
	s_waitcnt vmcnt(0)
	v_cmp_ge_i32_e32 vcc_lo, v2, v4
	v_cndmask_b32_e64 v5, 0, 1, vcc_lo
	v_cmp_lt_i32_e32 vcc_lo, v2, v4
	v_lshl_add_u32 v6, v5, 2, v1
	v_cndmask_b32_e64 v7, 0, 1, vcc_lo
	v_cmp_eq_u32_e32 vcc_lo, 4, v6
	v_lshlrev_b32_e32 v5, 2, v7
	v_min_i32_e32 v7, v2, v4
	v_add_nc_u32_e32 v2, 4, v0
	s_and_b32 s11, vcc_lo, exec_lo
	v_add_nc_u32_e32 v4, v5, v3
	s_or_b32 s7, s7, s11
	buffer_store_dword v7, v0, s[0:3], 0 offen
	s_branch .LBB11_1
.LBB11_4:
	s_inst_prefetch 0x2
	s_or_b32 exec_lo, exec_lo, s4
	s_xor_b32 s4, s5, -1
	s_and_saveexec_b32 s5, s4
	s_xor_b32 s4, exec_lo, s5
	s_cbranch_execz .LBB11_9
; %bb.5:
	s_mov_b32 s5, exec_lo
	v_cmpx_ne_u32_e32 4, v4
	s_cbranch_execz .LBB11_8
; %bb.6:
	v_lshrrev_b32_e64 v6, 5, s33
	v_add_nc_u32_e32 v5, v5, v3
	s_mov_b32 s6, 0
	s_mov_b32 s7, 0
	v_add_nc_u32_e32 v6, 4, v6
	v_add_nc_u32_e32 v3, v6, v4
	v_sub_nc_u32_e32 v4, 4, v5
.LBB11_7:                               ; =>This Inner Loop Header: Depth=1
	v_add_nc_u32_e32 v5, s7, v3
	v_add_nc_u32_e32 v6, s7, v2
	s_add_i32 s7, s7, 4
	v_cmp_eq_u32_e32 vcc_lo, s7, v4
	buffer_load_dword v5, v5, s[0:3], 0 offen
	s_or_b32 s6, vcc_lo, s6
	s_waitcnt vmcnt(0)
	buffer_store_dword v5, v6, s[0:3], 0 offen
	s_andn2_b32 exec_lo, exec_lo, s6
	s_cbranch_execnz .LBB11_7
.LBB11_8:
	s_or_b32 exec_lo, exec_lo, s5
.LBB11_9:
	s_andn2_saveexec_b32 s4, s4
	s_cbranch_execz .LBB11_13
; %bb.10:
	v_lshrrev_b32_e64 v3, 5, s33
	s_mov_b32 s5, 0
	s_mov_b32 s6, 0
	v_add_nc_u32_e32 v2, v3, v1
	v_sub_nc_u32_e32 v1, 4, v1
.LBB11_11:                              ; =>This Inner Loop Header: Depth=1
	v_add_nc_u32_e32 v3, s6, v2
	v_add_nc_u32_e32 v4, s6, v0
	s_add_i32 s6, s6, 4
	v_cmp_eq_u32_e32 vcc_lo, s6, v1
	buffer_load_dword v3, v3, s[0:3], 0 offen
	s_or_b32 s5, vcc_lo, s5
	s_waitcnt vmcnt(0)
	buffer_store_dword v3, v4, s[0:3], 0 offen
	s_andn2_b32 exec_lo, exec_lo, s5
	s_cbranch_execnz .LBB11_11
; %bb.12:
	s_or_b32 exec_lo, exec_lo, s5
.LBB11_13:
	s_or_b32 exec_lo, exec_lo, s4
	s_clause 0x1
	buffer_load_dword v0, off, s[0:3], s33 offset:8
	buffer_load_dword v1, off, s[0:3], s33 offset:12
	v_lshrrev_b32_e64 v4, 5, s33
	s_mov_b64 s[4:5], src_private_base
	v_mov_b32_e32 v2, 1
	v_mov_b32_e32 v5, s5
	;; [unrolled: 1-line block ×3, first 2 shown]
	v_add_nc_u32_e32 v4, 8, v4
	buffer_store_dword v2, off, s[0:3], s33 offset:16
	buffer_store_dword v3, off, s[0:3], s33 offset:20
	;; [unrolled: 1-line block ×5, first 2 shown]
	s_waitcnt vmcnt(1)
	v_cmp_ne_u32_e32 vcc_lo, 1, v0
	v_lshrrev_b32_e64 v0, 5, s33
	s_waitcnt vmcnt(0)
	v_cmp_ne_u32_e64 s4, 3, v1
	v_add_nc_u32_e32 v0, 16, v0
	s_or_b32 s4, vcc_lo, s4
	buffer_store_dword v0, off, s[0:3], s33 offset:32
	s_and_saveexec_b32 s5, s4
	s_xor_b32 s42, exec_lo, s5
	s_cbranch_execz .LBB11_1692
; %bb.14:
	v_and_b32_e32 v0, 0x3ff, v31
	s_mov_b32 s43, exec_lo
	v_cmpx_eq_u32_e32 0, v0
	s_cbranch_execz .LBB11_1691
; %bb.15:
	s_load_dwordx2 s[40:41], s[8:9], 0x50
	v_mbcnt_lo_u32_b32 v69, -1, 0
	v_mov_b32_e32 v6, 0
	v_mov_b32_e32 v7, 0
	v_readfirstlane_b32 s4, v69
	v_cmp_eq_u32_e64 s4, s4, v69
	s_and_saveexec_b32 s5, s4
	s_cbranch_execz .LBB11_21
; %bb.16:
	v_mov_b32_e32 v0, 0
	s_mov_b32 s6, exec_lo
	s_waitcnt lgkmcnt(0)
	global_load_dwordx2 v[3:4], v0, s[40:41] offset:24 glc dlc
	s_waitcnt vmcnt(0)
	buffer_gl1_inv
	buffer_gl0_inv
	s_clause 0x1
	global_load_dwordx2 v[1:2], v0, s[40:41] offset:40
	global_load_dwordx2 v[5:6], v0, s[40:41]
	s_waitcnt vmcnt(1)
	v_and_b32_e32 v2, v2, v4
	v_and_b32_e32 v1, v1, v3
	v_mul_lo_u32 v2, v2, 24
	v_mul_hi_u32 v7, v1, 24
	v_mul_lo_u32 v1, v1, 24
	v_add_nc_u32_e32 v2, v7, v2
	s_waitcnt vmcnt(0)
	v_add_co_u32 v1, vcc_lo, v5, v1
	v_add_co_ci_u32_e32 v2, vcc_lo, v6, v2, vcc_lo
	global_load_dwordx2 v[1:2], v[1:2], off glc dlc
	s_waitcnt vmcnt(0)
	global_atomic_cmpswap_x2 v[6:7], v0, v[1:4], s[40:41] offset:24 glc
	s_waitcnt vmcnt(0)
	buffer_gl1_inv
	buffer_gl0_inv
	v_cmpx_ne_u64_e64 v[6:7], v[3:4]
	s_cbranch_execz .LBB11_20
; %bb.17:
	s_mov_b32 s7, 0
	.p2align	6
.LBB11_18:                              ; =>This Inner Loop Header: Depth=1
	s_sleep 1
	s_clause 0x1
	global_load_dwordx2 v[1:2], v0, s[40:41] offset:40
	global_load_dwordx2 v[8:9], v0, s[40:41]
	v_mov_b32_e32 v3, v6
	v_mov_b32_e32 v4, v7
	s_waitcnt vmcnt(1)
	v_and_b32_e32 v1, v1, v3
	v_and_b32_e32 v2, v2, v4
	s_waitcnt vmcnt(0)
	v_mad_u64_u32 v[5:6], null, v1, 24, v[8:9]
	v_mov_b32_e32 v1, v6
	v_mad_u64_u32 v[1:2], null, v2, 24, v[1:2]
	v_mov_b32_e32 v6, v1
	global_load_dwordx2 v[1:2], v[5:6], off glc dlc
	s_waitcnt vmcnt(0)
	global_atomic_cmpswap_x2 v[6:7], v0, v[1:4], s[40:41] offset:24 glc
	s_waitcnt vmcnt(0)
	buffer_gl1_inv
	buffer_gl0_inv
	v_cmp_eq_u64_e32 vcc_lo, v[6:7], v[3:4]
	s_or_b32 s7, vcc_lo, s7
	s_andn2_b32 exec_lo, exec_lo, s7
	s_cbranch_execnz .LBB11_18
; %bb.19:
	s_or_b32 exec_lo, exec_lo, s7
.LBB11_20:
	s_or_b32 exec_lo, exec_lo, s6
.LBB11_21:
	s_or_b32 exec_lo, exec_lo, s5
	v_mov_b32_e32 v5, 0
	v_readfirstlane_b32 s6, v6
	v_readfirstlane_b32 s7, v7
	s_mov_b32 s5, exec_lo
	s_waitcnt lgkmcnt(0)
	s_clause 0x1
	global_load_dwordx2 v[8:9], v5, s[40:41] offset:40
	global_load_dwordx4 v[0:3], v5, s[40:41]
	s_waitcnt vmcnt(1)
	v_readfirstlane_b32 s10, v8
	v_readfirstlane_b32 s11, v9
	s_and_b64 s[10:11], s[6:7], s[10:11]
	s_mul_i32 s15, s11, 24
	s_mul_hi_u32 s16, s10, 24
	s_mul_i32 s17, s10, 24
	s_add_i32 s16, s16, s15
	s_waitcnt vmcnt(0)
	v_add_co_u32 v8, vcc_lo, v0, s17
	v_add_co_ci_u32_e32 v9, vcc_lo, s16, v1, vcc_lo
	s_and_saveexec_b32 s15, s4
	s_cbranch_execz .LBB11_23
; %bb.22:
	v_mov_b32_e32 v4, s5
	v_mov_b32_e32 v6, 2
	;; [unrolled: 1-line block ×3, first 2 shown]
	global_store_dwordx4 v[8:9], v[4:7], off offset:8
.LBB11_23:
	s_or_b32 exec_lo, exec_lo, s15
	s_lshl_b64 s[10:11], s[10:11], 12
	v_lshlrev_b32_e32 v68, 6, v69
	v_add_co_u32 v2, vcc_lo, v2, s10
	v_add_co_ci_u32_e32 v3, vcc_lo, s11, v3, vcc_lo
	s_mov_b32 s16, 0
	v_add_co_u32 v10, vcc_lo, v2, v68
	s_mov_b32 s17, s16
	s_mov_b32 s18, s16
	s_mov_b32 s19, s16
	v_mov_b32_e32 v4, 33
	v_mov_b32_e32 v6, v5
	;; [unrolled: 1-line block ×3, first 2 shown]
	v_readfirstlane_b32 s10, v2
	v_readfirstlane_b32 s11, v3
	v_mov_b32_e32 v12, s16
	v_add_co_ci_u32_e32 v11, vcc_lo, 0, v3, vcc_lo
	v_mov_b32_e32 v13, s17
	v_mov_b32_e32 v14, s18
	;; [unrolled: 1-line block ×3, first 2 shown]
	global_store_dwordx4 v68, v[4:7], s[10:11]
	global_store_dwordx4 v68, v[12:15], s[10:11] offset:16
	global_store_dwordx4 v68, v[12:15], s[10:11] offset:32
	;; [unrolled: 1-line block ×3, first 2 shown]
	s_and_saveexec_b32 s5, s4
	s_cbranch_execz .LBB11_31
; %bb.24:
	v_mov_b32_e32 v6, 0
	v_mov_b32_e32 v12, s6
	v_mov_b32_e32 v13, s7
	s_mov_b32 s10, exec_lo
	s_clause 0x1
	global_load_dwordx2 v[14:15], v6, s[40:41] offset:32 glc dlc
	global_load_dwordx2 v[2:3], v6, s[40:41] offset:40
	s_waitcnt vmcnt(0)
	v_and_b32_e32 v3, s7, v3
	v_and_b32_e32 v2, s6, v2
	v_mul_lo_u32 v3, v3, 24
	v_mul_hi_u32 v4, v2, 24
	v_mul_lo_u32 v2, v2, 24
	v_add_nc_u32_e32 v3, v4, v3
	v_add_co_u32 v4, vcc_lo, v0, v2
	v_add_co_ci_u32_e32 v5, vcc_lo, v1, v3, vcc_lo
	global_store_dwordx2 v[4:5], v[14:15], off
	s_waitcnt_vscnt null, 0x0
	global_atomic_cmpswap_x2 v[2:3], v6, v[12:15], s[40:41] offset:32 glc
	s_waitcnt vmcnt(0)
	v_cmpx_ne_u64_e64 v[2:3], v[14:15]
	s_cbranch_execz .LBB11_27
; %bb.25:
	s_mov_b32 s11, 0
.LBB11_26:                              ; =>This Inner Loop Header: Depth=1
	v_mov_b32_e32 v0, s6
	v_mov_b32_e32 v1, s7
	s_sleep 1
	global_store_dwordx2 v[4:5], v[2:3], off
	s_waitcnt_vscnt null, 0x0
	global_atomic_cmpswap_x2 v[0:1], v6, v[0:3], s[40:41] offset:32 glc
	s_waitcnt vmcnt(0)
	v_cmp_eq_u64_e32 vcc_lo, v[0:1], v[2:3]
	v_mov_b32_e32 v3, v1
	v_mov_b32_e32 v2, v0
	s_or_b32 s11, vcc_lo, s11
	s_andn2_b32 exec_lo, exec_lo, s11
	s_cbranch_execnz .LBB11_26
.LBB11_27:
	s_or_b32 exec_lo, exec_lo, s10
	v_mov_b32_e32 v3, 0
	s_mov_b32 s11, exec_lo
	s_mov_b32 s10, exec_lo
	v_mbcnt_lo_u32_b32 v2, s11, 0
	global_load_dwordx2 v[0:1], v3, s[40:41] offset:16
	v_cmpx_eq_u32_e32 0, v2
	s_cbranch_execz .LBB11_29
; %bb.28:
	s_bcnt1_i32_b32 s11, s11
	v_mov_b32_e32 v2, s11
	s_waitcnt vmcnt(0)
	global_atomic_add_x2 v[0:1], v[2:3], off offset:8
.LBB11_29:
	s_or_b32 exec_lo, exec_lo, s10
	s_waitcnt vmcnt(0)
	global_load_dwordx2 v[2:3], v[0:1], off offset:16
	s_waitcnt vmcnt(0)
	v_cmp_eq_u64_e32 vcc_lo, 0, v[2:3]
	s_cbranch_vccnz .LBB11_31
; %bb.30:
	global_load_dword v0, v[0:1], off offset:24
	v_mov_b32_e32 v1, 0
	s_waitcnt vmcnt(0)
	v_and_b32_e32 v4, 0x7fffff, v0
	s_waitcnt_vscnt null, 0x0
	global_store_dwordx2 v[2:3], v[0:1], off
	v_readfirstlane_b32 m0, v4
	s_sendmsg sendmsg(MSG_INTERRUPT)
.LBB11_31:
	s_or_b32 exec_lo, exec_lo, s5
	s_branch .LBB11_35
	.p2align	6
.LBB11_32:                              ;   in Loop: Header=BB11_35 Depth=1
	s_or_b32 exec_lo, exec_lo, s5
	v_readfirstlane_b32 s5, v0
	s_cmp_eq_u32 s5, 0
	s_cbranch_scc1 .LBB11_34
; %bb.33:                               ;   in Loop: Header=BB11_35 Depth=1
	s_sleep 1
	s_cbranch_execnz .LBB11_35
	s_branch .LBB11_37
	.p2align	6
.LBB11_34:
	s_branch .LBB11_37
.LBB11_35:                              ; =>This Inner Loop Header: Depth=1
	v_mov_b32_e32 v0, 1
	s_and_saveexec_b32 s5, s4
	s_cbranch_execz .LBB11_32
; %bb.36:                               ;   in Loop: Header=BB11_35 Depth=1
	global_load_dword v0, v[8:9], off offset:20 glc dlc
	s_waitcnt vmcnt(0)
	buffer_gl1_inv
	buffer_gl0_inv
	v_and_b32_e32 v0, 1, v0
	s_branch .LBB11_32
.LBB11_37:
	global_load_dwordx2 v[4:5], v[10:11], off
	s_and_saveexec_b32 s5, s4
	s_cbranch_execz .LBB11_41
; %bb.38:
	v_mov_b32_e32 v8, 0
	s_clause 0x2
	global_load_dwordx2 v[2:3], v8, s[40:41] offset:40
	global_load_dwordx2 v[9:10], v8, s[40:41] offset:24 glc dlc
	global_load_dwordx2 v[6:7], v8, s[40:41]
	s_waitcnt vmcnt(2)
	v_add_co_u32 v11, vcc_lo, v2, 1
	v_add_co_ci_u32_e32 v12, vcc_lo, 0, v3, vcc_lo
	v_add_co_u32 v0, vcc_lo, v11, s6
	v_add_co_ci_u32_e32 v1, vcc_lo, s7, v12, vcc_lo
	v_cmp_eq_u64_e32 vcc_lo, 0, v[0:1]
	v_cndmask_b32_e32 v1, v1, v12, vcc_lo
	v_cndmask_b32_e32 v0, v0, v11, vcc_lo
	v_and_b32_e32 v3, v1, v3
	v_and_b32_e32 v2, v0, v2
	v_mul_lo_u32 v3, v3, 24
	v_mul_hi_u32 v11, v2, 24
	v_mul_lo_u32 v2, v2, 24
	v_add_nc_u32_e32 v3, v11, v3
	s_waitcnt vmcnt(0)
	v_add_co_u32 v6, vcc_lo, v6, v2
	v_mov_b32_e32 v2, v9
	v_add_co_ci_u32_e32 v7, vcc_lo, v7, v3, vcc_lo
	v_mov_b32_e32 v3, v10
	global_store_dwordx2 v[6:7], v[9:10], off
	s_waitcnt_vscnt null, 0x0
	global_atomic_cmpswap_x2 v[2:3], v8, v[0:3], s[40:41] offset:24 glc
	s_waitcnt vmcnt(0)
	v_cmp_ne_u64_e32 vcc_lo, v[2:3], v[9:10]
	s_and_b32 exec_lo, exec_lo, vcc_lo
	s_cbranch_execz .LBB11_41
; %bb.39:
	s_mov_b32 s4, 0
.LBB11_40:                              ; =>This Inner Loop Header: Depth=1
	s_sleep 1
	global_store_dwordx2 v[6:7], v[2:3], off
	s_waitcnt_vscnt null, 0x0
	global_atomic_cmpswap_x2 v[9:10], v8, v[0:3], s[40:41] offset:24 glc
	s_waitcnt vmcnt(0)
	v_cmp_eq_u64_e32 vcc_lo, v[9:10], v[2:3]
	v_mov_b32_e32 v2, v9
	v_mov_b32_e32 v3, v10
	s_or_b32 s4, vcc_lo, s4
	s_andn2_b32 exec_lo, exec_lo, s4
	s_cbranch_execnz .LBB11_40
.LBB11_41:
	s_or_b32 exec_lo, exec_lo, s5
	s_getpc_b64 s[6:7]
	s_add_u32 s6, s6, .str.5@rel32@lo+4
	s_addc_u32 s7, s7, .str.5@rel32@hi+12
	s_cmp_lg_u64 s[6:7], 0
	s_cselect_b32 s15, -1, 0
	s_and_b32 vcc_lo, exec_lo, s15
	s_cbranch_vccz .LBB11_120
; %bb.42:
	s_waitcnt vmcnt(0)
	v_and_b32_e32 v28, 2, v4
	v_mov_b32_e32 v7, 0
	v_and_b32_e32 v0, -3, v4
	v_mov_b32_e32 v1, v5
	v_mov_b32_e32 v8, 2
	;; [unrolled: 1-line block ×3, first 2 shown]
	s_mov_b64 s[10:11], 3
	s_branch .LBB11_44
.LBB11_43:                              ;   in Loop: Header=BB11_44 Depth=1
	s_or_b32 exec_lo, exec_lo, s5
	s_sub_u32 s10, s10, s16
	s_subb_u32 s11, s11, s17
	s_add_u32 s6, s6, s16
	s_addc_u32 s7, s7, s17
	s_cmp_lg_u64 s[10:11], 0
	s_cbranch_scc0 .LBB11_119
.LBB11_44:                              ; =>This Loop Header: Depth=1
                                        ;     Child Loop BB11_53 Depth 2
                                        ;     Child Loop BB11_49 Depth 2
	;; [unrolled: 1-line block ×11, first 2 shown]
	v_cmp_lt_u64_e64 s4, s[10:11], 56
	v_cmp_gt_u64_e64 s5, s[10:11], 7
                                        ; implicit-def: $vgpr2_vgpr3
                                        ; implicit-def: $sgpr22
	s_and_b32 s4, s4, exec_lo
	s_cselect_b32 s17, s11, 0
	s_cselect_b32 s16, s10, 56
	s_and_b32 vcc_lo, exec_lo, s5
	s_mov_b32 s4, -1
	s_cbranch_vccz .LBB11_51
; %bb.45:                               ;   in Loop: Header=BB11_44 Depth=1
	s_andn2_b32 vcc_lo, exec_lo, s4
	s_mov_b64 s[4:5], s[6:7]
	s_cbranch_vccz .LBB11_55
.LBB11_46:                              ;   in Loop: Header=BB11_44 Depth=1
	s_cmp_gt_u32 s22, 7
	s_cbranch_scc1 .LBB11_56
.LBB11_47:                              ;   in Loop: Header=BB11_44 Depth=1
	v_mov_b32_e32 v10, 0
	v_mov_b32_e32 v11, 0
	s_cmp_eq_u32 s22, 0
	s_cbranch_scc1 .LBB11_50
; %bb.48:                               ;   in Loop: Header=BB11_44 Depth=1
	s_mov_b64 s[18:19], 0
	s_mov_b64 s[20:21], 0
.LBB11_49:                              ;   Parent Loop BB11_44 Depth=1
                                        ; =>  This Inner Loop Header: Depth=2
	s_add_u32 s24, s4, s20
	s_addc_u32 s25, s5, s21
	s_add_u32 s20, s20, 1
	global_load_ubyte v6, v7, s[24:25]
	s_addc_u32 s21, s21, 0
	s_waitcnt vmcnt(0)
	v_and_b32_e32 v6, 0xffff, v6
	v_lshlrev_b64 v[12:13], s18, v[6:7]
	s_add_u32 s18, s18, 8
	s_addc_u32 s19, s19, 0
	s_cmp_lg_u32 s22, s20
	v_or_b32_e32 v10, v12, v10
	v_or_b32_e32 v11, v13, v11
	s_cbranch_scc1 .LBB11_49
.LBB11_50:                              ;   in Loop: Header=BB11_44 Depth=1
	s_mov_b32 s23, 0
	s_cbranch_execz .LBB11_57
	s_branch .LBB11_58
.LBB11_51:                              ;   in Loop: Header=BB11_44 Depth=1
	s_waitcnt vmcnt(0)
	v_mov_b32_e32 v2, 0
	v_mov_b32_e32 v3, 0
	s_cmp_eq_u64 s[10:11], 0
	s_mov_b64 s[4:5], 0
	s_cbranch_scc1 .LBB11_54
; %bb.52:                               ;   in Loop: Header=BB11_44 Depth=1
	v_mov_b32_e32 v2, 0
	v_mov_b32_e32 v3, 0
	s_lshl_b64 s[18:19], s[16:17], 3
	s_mov_b64 s[20:21], s[6:7]
.LBB11_53:                              ;   Parent Loop BB11_44 Depth=1
                                        ; =>  This Inner Loop Header: Depth=2
	global_load_ubyte v6, v7, s[20:21]
	s_waitcnt vmcnt(0)
	v_and_b32_e32 v6, 0xffff, v6
	v_lshlrev_b64 v[10:11], s4, v[6:7]
	s_add_u32 s4, s4, 8
	s_addc_u32 s5, s5, 0
	s_add_u32 s20, s20, 1
	s_addc_u32 s21, s21, 0
	s_cmp_lg_u32 s18, s4
	v_or_b32_e32 v2, v10, v2
	v_or_b32_e32 v3, v11, v3
	s_cbranch_scc1 .LBB11_53
.LBB11_54:                              ;   in Loop: Header=BB11_44 Depth=1
	s_mov_b32 s22, 0
	s_mov_b64 s[4:5], s[6:7]
	s_cbranch_execnz .LBB11_46
.LBB11_55:                              ;   in Loop: Header=BB11_44 Depth=1
	global_load_dwordx2 v[2:3], v7, s[6:7]
	s_add_i32 s22, s16, -8
	s_add_u32 s4, s6, 8
	s_addc_u32 s5, s7, 0
	s_cmp_gt_u32 s22, 7
	s_cbranch_scc0 .LBB11_47
.LBB11_56:                              ;   in Loop: Header=BB11_44 Depth=1
                                        ; implicit-def: $vgpr10_vgpr11
                                        ; implicit-def: $sgpr23
.LBB11_57:                              ;   in Loop: Header=BB11_44 Depth=1
	global_load_dwordx2 v[10:11], v7, s[4:5]
	s_add_i32 s23, s22, -8
	s_add_u32 s4, s4, 8
	s_addc_u32 s5, s5, 0
.LBB11_58:                              ;   in Loop: Header=BB11_44 Depth=1
	s_cmp_gt_u32 s23, 7
	s_cbranch_scc1 .LBB11_63
; %bb.59:                               ;   in Loop: Header=BB11_44 Depth=1
	v_mov_b32_e32 v12, 0
	v_mov_b32_e32 v13, 0
	s_cmp_eq_u32 s23, 0
	s_cbranch_scc1 .LBB11_62
; %bb.60:                               ;   in Loop: Header=BB11_44 Depth=1
	s_mov_b64 s[18:19], 0
	s_mov_b64 s[20:21], 0
.LBB11_61:                              ;   Parent Loop BB11_44 Depth=1
                                        ; =>  This Inner Loop Header: Depth=2
	s_add_u32 s24, s4, s20
	s_addc_u32 s25, s5, s21
	s_add_u32 s20, s20, 1
	global_load_ubyte v6, v7, s[24:25]
	s_addc_u32 s21, s21, 0
	s_waitcnt vmcnt(0)
	v_and_b32_e32 v6, 0xffff, v6
	v_lshlrev_b64 v[14:15], s18, v[6:7]
	s_add_u32 s18, s18, 8
	s_addc_u32 s19, s19, 0
	s_cmp_lg_u32 s23, s20
	v_or_b32_e32 v12, v14, v12
	v_or_b32_e32 v13, v15, v13
	s_cbranch_scc1 .LBB11_61
.LBB11_62:                              ;   in Loop: Header=BB11_44 Depth=1
	s_mov_b32 s22, 0
	s_cbranch_execz .LBB11_64
	s_branch .LBB11_65
.LBB11_63:                              ;   in Loop: Header=BB11_44 Depth=1
                                        ; implicit-def: $sgpr22
.LBB11_64:                              ;   in Loop: Header=BB11_44 Depth=1
	global_load_dwordx2 v[12:13], v7, s[4:5]
	s_add_i32 s22, s23, -8
	s_add_u32 s4, s4, 8
	s_addc_u32 s5, s5, 0
.LBB11_65:                              ;   in Loop: Header=BB11_44 Depth=1
	s_cmp_gt_u32 s22, 7
	s_cbranch_scc1 .LBB11_70
; %bb.66:                               ;   in Loop: Header=BB11_44 Depth=1
	v_mov_b32_e32 v14, 0
	v_mov_b32_e32 v15, 0
	s_cmp_eq_u32 s22, 0
	s_cbranch_scc1 .LBB11_69
; %bb.67:                               ;   in Loop: Header=BB11_44 Depth=1
	s_mov_b64 s[18:19], 0
	s_mov_b64 s[20:21], 0
.LBB11_68:                              ;   Parent Loop BB11_44 Depth=1
                                        ; =>  This Inner Loop Header: Depth=2
	s_add_u32 s24, s4, s20
	s_addc_u32 s25, s5, s21
	s_add_u32 s20, s20, 1
	global_load_ubyte v6, v7, s[24:25]
	s_addc_u32 s21, s21, 0
	s_waitcnt vmcnt(0)
	v_and_b32_e32 v6, 0xffff, v6
	v_lshlrev_b64 v[16:17], s18, v[6:7]
	s_add_u32 s18, s18, 8
	s_addc_u32 s19, s19, 0
	s_cmp_lg_u32 s22, s20
	v_or_b32_e32 v14, v16, v14
	v_or_b32_e32 v15, v17, v15
	s_cbranch_scc1 .LBB11_68
.LBB11_69:                              ;   in Loop: Header=BB11_44 Depth=1
	s_mov_b32 s23, 0
	s_cbranch_execz .LBB11_71
	s_branch .LBB11_72
.LBB11_70:                              ;   in Loop: Header=BB11_44 Depth=1
                                        ; implicit-def: $vgpr14_vgpr15
                                        ; implicit-def: $sgpr23
.LBB11_71:                              ;   in Loop: Header=BB11_44 Depth=1
	global_load_dwordx2 v[14:15], v7, s[4:5]
	s_add_i32 s23, s22, -8
	s_add_u32 s4, s4, 8
	s_addc_u32 s5, s5, 0
.LBB11_72:                              ;   in Loop: Header=BB11_44 Depth=1
	s_cmp_gt_u32 s23, 7
	s_cbranch_scc1 .LBB11_77
; %bb.73:                               ;   in Loop: Header=BB11_44 Depth=1
	v_mov_b32_e32 v16, 0
	v_mov_b32_e32 v17, 0
	s_cmp_eq_u32 s23, 0
	s_cbranch_scc1 .LBB11_76
; %bb.74:                               ;   in Loop: Header=BB11_44 Depth=1
	s_mov_b64 s[18:19], 0
	s_mov_b64 s[20:21], 0
.LBB11_75:                              ;   Parent Loop BB11_44 Depth=1
                                        ; =>  This Inner Loop Header: Depth=2
	s_add_u32 s24, s4, s20
	s_addc_u32 s25, s5, s21
	s_add_u32 s20, s20, 1
	global_load_ubyte v6, v7, s[24:25]
	s_addc_u32 s21, s21, 0
	s_waitcnt vmcnt(0)
	v_and_b32_e32 v6, 0xffff, v6
	v_lshlrev_b64 v[18:19], s18, v[6:7]
	s_add_u32 s18, s18, 8
	s_addc_u32 s19, s19, 0
	s_cmp_lg_u32 s23, s20
	v_or_b32_e32 v16, v18, v16
	v_or_b32_e32 v17, v19, v17
	s_cbranch_scc1 .LBB11_75
.LBB11_76:                              ;   in Loop: Header=BB11_44 Depth=1
	s_mov_b32 s22, 0
	s_cbranch_execz .LBB11_78
	s_branch .LBB11_79
.LBB11_77:                              ;   in Loop: Header=BB11_44 Depth=1
                                        ; implicit-def: $sgpr22
.LBB11_78:                              ;   in Loop: Header=BB11_44 Depth=1
	global_load_dwordx2 v[16:17], v7, s[4:5]
	s_add_i32 s22, s23, -8
	s_add_u32 s4, s4, 8
	s_addc_u32 s5, s5, 0
.LBB11_79:                              ;   in Loop: Header=BB11_44 Depth=1
	s_cmp_gt_u32 s22, 7
	s_cbranch_scc1 .LBB11_84
; %bb.80:                               ;   in Loop: Header=BB11_44 Depth=1
	v_mov_b32_e32 v18, 0
	v_mov_b32_e32 v19, 0
	s_cmp_eq_u32 s22, 0
	s_cbranch_scc1 .LBB11_83
; %bb.81:                               ;   in Loop: Header=BB11_44 Depth=1
	s_mov_b64 s[18:19], 0
	s_mov_b64 s[20:21], 0
.LBB11_82:                              ;   Parent Loop BB11_44 Depth=1
                                        ; =>  This Inner Loop Header: Depth=2
	s_add_u32 s24, s4, s20
	s_addc_u32 s25, s5, s21
	s_add_u32 s20, s20, 1
	global_load_ubyte v6, v7, s[24:25]
	s_addc_u32 s21, s21, 0
	s_waitcnt vmcnt(0)
	v_and_b32_e32 v6, 0xffff, v6
	v_lshlrev_b64 v[20:21], s18, v[6:7]
	s_add_u32 s18, s18, 8
	s_addc_u32 s19, s19, 0
	s_cmp_lg_u32 s22, s20
	v_or_b32_e32 v18, v20, v18
	v_or_b32_e32 v19, v21, v19
	s_cbranch_scc1 .LBB11_82
.LBB11_83:                              ;   in Loop: Header=BB11_44 Depth=1
	s_mov_b32 s23, 0
	s_cbranch_execz .LBB11_85
	s_branch .LBB11_86
.LBB11_84:                              ;   in Loop: Header=BB11_44 Depth=1
                                        ; implicit-def: $vgpr18_vgpr19
                                        ; implicit-def: $sgpr23
.LBB11_85:                              ;   in Loop: Header=BB11_44 Depth=1
	global_load_dwordx2 v[18:19], v7, s[4:5]
	s_add_i32 s23, s22, -8
	s_add_u32 s4, s4, 8
	s_addc_u32 s5, s5, 0
.LBB11_86:                              ;   in Loop: Header=BB11_44 Depth=1
	s_cmp_gt_u32 s23, 7
	s_cbranch_scc1 .LBB11_91
; %bb.87:                               ;   in Loop: Header=BB11_44 Depth=1
	v_mov_b32_e32 v20, 0
	v_mov_b32_e32 v21, 0
	s_cmp_eq_u32 s23, 0
	s_cbranch_scc1 .LBB11_90
; %bb.88:                               ;   in Loop: Header=BB11_44 Depth=1
	s_mov_b64 s[18:19], 0
	s_mov_b64 s[20:21], s[4:5]
.LBB11_89:                              ;   Parent Loop BB11_44 Depth=1
                                        ; =>  This Inner Loop Header: Depth=2
	global_load_ubyte v6, v7, s[20:21]
	s_add_i32 s23, s23, -1
	s_waitcnt vmcnt(0)
	v_and_b32_e32 v6, 0xffff, v6
	v_lshlrev_b64 v[22:23], s18, v[6:7]
	s_add_u32 s18, s18, 8
	s_addc_u32 s19, s19, 0
	s_add_u32 s20, s20, 1
	s_addc_u32 s21, s21, 0
	s_cmp_lg_u32 s23, 0
	v_or_b32_e32 v20, v22, v20
	v_or_b32_e32 v21, v23, v21
	s_cbranch_scc1 .LBB11_89
.LBB11_90:                              ;   in Loop: Header=BB11_44 Depth=1
	s_cbranch_execz .LBB11_92
	s_branch .LBB11_93
.LBB11_91:                              ;   in Loop: Header=BB11_44 Depth=1
.LBB11_92:                              ;   in Loop: Header=BB11_44 Depth=1
	global_load_dwordx2 v[20:21], v7, s[4:5]
.LBB11_93:                              ;   in Loop: Header=BB11_44 Depth=1
	v_readfirstlane_b32 s4, v69
	v_mov_b32_e32 v26, 0
	v_mov_b32_e32 v27, 0
	v_cmp_eq_u32_e64 s4, s4, v69
	s_and_saveexec_b32 s5, s4
	s_cbranch_execz .LBB11_99
; %bb.94:                               ;   in Loop: Header=BB11_44 Depth=1
	global_load_dwordx2 v[24:25], v7, s[40:41] offset:24 glc dlc
	s_waitcnt vmcnt(0)
	buffer_gl1_inv
	buffer_gl0_inv
	s_clause 0x1
	global_load_dwordx2 v[22:23], v7, s[40:41] offset:40
	global_load_dwordx2 v[26:27], v7, s[40:41]
	s_mov_b32 s18, exec_lo
	s_waitcnt vmcnt(1)
	v_and_b32_e32 v6, v23, v25
	v_and_b32_e32 v22, v22, v24
	v_mul_lo_u32 v6, v6, 24
	v_mul_hi_u32 v23, v22, 24
	v_mul_lo_u32 v22, v22, 24
	v_add_nc_u32_e32 v6, v23, v6
	s_waitcnt vmcnt(0)
	v_add_co_u32 v22, vcc_lo, v26, v22
	v_add_co_ci_u32_e32 v23, vcc_lo, v27, v6, vcc_lo
	global_load_dwordx2 v[22:23], v[22:23], off glc dlc
	s_waitcnt vmcnt(0)
	global_atomic_cmpswap_x2 v[26:27], v7, v[22:25], s[40:41] offset:24 glc
	s_waitcnt vmcnt(0)
	buffer_gl1_inv
	buffer_gl0_inv
	v_cmpx_ne_u64_e64 v[26:27], v[24:25]
	s_cbranch_execz .LBB11_98
; %bb.95:                               ;   in Loop: Header=BB11_44 Depth=1
	s_mov_b32 s19, 0
	.p2align	6
.LBB11_96:                              ;   Parent Loop BB11_44 Depth=1
                                        ; =>  This Inner Loop Header: Depth=2
	s_sleep 1
	s_clause 0x1
	global_load_dwordx2 v[22:23], v7, s[40:41] offset:40
	global_load_dwordx2 v[29:30], v7, s[40:41]
	v_mov_b32_e32 v24, v26
	v_mov_b32_e32 v25, v27
	s_waitcnt vmcnt(1)
	v_and_b32_e32 v6, v22, v24
	v_and_b32_e32 v22, v23, v25
	s_waitcnt vmcnt(0)
	v_mad_u64_u32 v[26:27], null, v6, 24, v[29:30]
	v_mov_b32_e32 v6, v27
	v_mad_u64_u32 v[22:23], null, v22, 24, v[6:7]
	v_mov_b32_e32 v27, v22
	global_load_dwordx2 v[22:23], v[26:27], off glc dlc
	s_waitcnt vmcnt(0)
	global_atomic_cmpswap_x2 v[26:27], v7, v[22:25], s[40:41] offset:24 glc
	s_waitcnt vmcnt(0)
	buffer_gl1_inv
	buffer_gl0_inv
	v_cmp_eq_u64_e32 vcc_lo, v[26:27], v[24:25]
	s_or_b32 s19, vcc_lo, s19
	s_andn2_b32 exec_lo, exec_lo, s19
	s_cbranch_execnz .LBB11_96
; %bb.97:                               ;   in Loop: Header=BB11_44 Depth=1
	s_or_b32 exec_lo, exec_lo, s19
.LBB11_98:                              ;   in Loop: Header=BB11_44 Depth=1
	s_or_b32 exec_lo, exec_lo, s18
.LBB11_99:                              ;   in Loop: Header=BB11_44 Depth=1
	s_or_b32 exec_lo, exec_lo, s5
	s_clause 0x1
	global_load_dwordx2 v[29:30], v7, s[40:41] offset:40
	global_load_dwordx4 v[22:25], v7, s[40:41]
	v_readfirstlane_b32 s18, v26
	v_readfirstlane_b32 s19, v27
	s_mov_b32 s5, exec_lo
	s_waitcnt vmcnt(1)
	v_readfirstlane_b32 s20, v29
	v_readfirstlane_b32 s21, v30
	s_and_b64 s[20:21], s[18:19], s[20:21]
	s_mul_i32 s22, s21, 24
	s_mul_hi_u32 s23, s20, 24
	s_mul_i32 s24, s20, 24
	s_add_i32 s23, s23, s22
	s_waitcnt vmcnt(0)
	v_add_co_u32 v26, vcc_lo, v22, s24
	v_add_co_ci_u32_e32 v27, vcc_lo, s23, v23, vcc_lo
	s_and_saveexec_b32 s22, s4
	s_cbranch_execz .LBB11_101
; %bb.100:                              ;   in Loop: Header=BB11_44 Depth=1
	v_mov_b32_e32 v6, s5
	global_store_dwordx4 v[26:27], v[6:9], off offset:8
.LBB11_101:                             ;   in Loop: Header=BB11_44 Depth=1
	s_or_b32 exec_lo, exec_lo, s22
	s_lshl_b64 s[20:21], s[20:21], 12
	v_cmp_gt_u64_e64 vcc_lo, s[10:11], 56
	v_or_b32_e32 v29, v0, v28
	v_add_co_u32 v24, s5, v24, s20
	v_add_co_ci_u32_e64 v25, s5, s21, v25, s5
	s_lshl_b32 s5, s16, 2
	v_or_b32_e32 v6, 0, v1
	v_cndmask_b32_e32 v0, v29, v0, vcc_lo
	s_add_i32 s5, s5, 28
	v_readfirstlane_b32 s20, v24
	s_and_b32 s5, s5, 0x1e0
	v_cndmask_b32_e32 v1, v6, v1, vcc_lo
	v_readfirstlane_b32 s21, v25
	v_and_or_b32 v0, 0xffffff1f, v0, s5
	global_store_dwordx4 v68, v[0:3], s[20:21]
	global_store_dwordx4 v68, v[10:13], s[20:21] offset:16
	global_store_dwordx4 v68, v[14:17], s[20:21] offset:32
	;; [unrolled: 1-line block ×3, first 2 shown]
	s_and_saveexec_b32 s5, s4
	s_cbranch_execz .LBB11_109
; %bb.102:                              ;   in Loop: Header=BB11_44 Depth=1
	s_clause 0x1
	global_load_dwordx2 v[14:15], v7, s[40:41] offset:32 glc dlc
	global_load_dwordx2 v[0:1], v7, s[40:41] offset:40
	v_mov_b32_e32 v12, s18
	v_mov_b32_e32 v13, s19
	s_waitcnt vmcnt(0)
	v_readfirstlane_b32 s20, v0
	v_readfirstlane_b32 s21, v1
	s_and_b64 s[20:21], s[20:21], s[18:19]
	s_mul_i32 s21, s21, 24
	s_mul_hi_u32 s22, s20, 24
	s_mul_i32 s20, s20, 24
	s_add_i32 s22, s22, s21
	v_add_co_u32 v10, vcc_lo, v22, s20
	v_add_co_ci_u32_e32 v11, vcc_lo, s22, v23, vcc_lo
	s_mov_b32 s20, exec_lo
	global_store_dwordx2 v[10:11], v[14:15], off
	s_waitcnt_vscnt null, 0x0
	global_atomic_cmpswap_x2 v[2:3], v7, v[12:15], s[40:41] offset:32 glc
	s_waitcnt vmcnt(0)
	v_cmpx_ne_u64_e64 v[2:3], v[14:15]
	s_cbranch_execz .LBB11_105
; %bb.103:                              ;   in Loop: Header=BB11_44 Depth=1
	s_mov_b32 s21, 0
.LBB11_104:                             ;   Parent Loop BB11_44 Depth=1
                                        ; =>  This Inner Loop Header: Depth=2
	v_mov_b32_e32 v0, s18
	v_mov_b32_e32 v1, s19
	s_sleep 1
	global_store_dwordx2 v[10:11], v[2:3], off
	s_waitcnt_vscnt null, 0x0
	global_atomic_cmpswap_x2 v[0:1], v7, v[0:3], s[40:41] offset:32 glc
	s_waitcnt vmcnt(0)
	v_cmp_eq_u64_e32 vcc_lo, v[0:1], v[2:3]
	v_mov_b32_e32 v3, v1
	v_mov_b32_e32 v2, v0
	s_or_b32 s21, vcc_lo, s21
	s_andn2_b32 exec_lo, exec_lo, s21
	s_cbranch_execnz .LBB11_104
.LBB11_105:                             ;   in Loop: Header=BB11_44 Depth=1
	s_or_b32 exec_lo, exec_lo, s20
	global_load_dwordx2 v[0:1], v7, s[40:41] offset:16
	s_mov_b32 s21, exec_lo
	s_mov_b32 s20, exec_lo
	v_mbcnt_lo_u32_b32 v2, s21, 0
	v_cmpx_eq_u32_e32 0, v2
	s_cbranch_execz .LBB11_107
; %bb.106:                              ;   in Loop: Header=BB11_44 Depth=1
	s_bcnt1_i32_b32 s21, s21
	v_mov_b32_e32 v6, s21
	s_waitcnt vmcnt(0)
	global_atomic_add_x2 v[0:1], v[6:7], off offset:8
.LBB11_107:                             ;   in Loop: Header=BB11_44 Depth=1
	s_or_b32 exec_lo, exec_lo, s20
	s_waitcnt vmcnt(0)
	global_load_dwordx2 v[2:3], v[0:1], off offset:16
	s_waitcnt vmcnt(0)
	v_cmp_eq_u64_e32 vcc_lo, 0, v[2:3]
	s_cbranch_vccnz .LBB11_109
; %bb.108:                              ;   in Loop: Header=BB11_44 Depth=1
	global_load_dword v6, v[0:1], off offset:24
	s_waitcnt vmcnt(0)
	v_and_b32_e32 v0, 0x7fffff, v6
	s_waitcnt_vscnt null, 0x0
	global_store_dwordx2 v[2:3], v[6:7], off
	v_readfirstlane_b32 m0, v0
	s_sendmsg sendmsg(MSG_INTERRUPT)
.LBB11_109:                             ;   in Loop: Header=BB11_44 Depth=1
	s_or_b32 exec_lo, exec_lo, s5
	v_add_co_u32 v0, vcc_lo, v24, v68
	v_add_co_ci_u32_e32 v1, vcc_lo, 0, v25, vcc_lo
	s_branch .LBB11_113
	.p2align	6
.LBB11_110:                             ;   in Loop: Header=BB11_113 Depth=2
	s_or_b32 exec_lo, exec_lo, s5
	v_readfirstlane_b32 s5, v2
	s_cmp_eq_u32 s5, 0
	s_cbranch_scc1 .LBB11_112
; %bb.111:                              ;   in Loop: Header=BB11_113 Depth=2
	s_sleep 1
	s_cbranch_execnz .LBB11_113
	s_branch .LBB11_115
	.p2align	6
.LBB11_112:                             ;   in Loop: Header=BB11_44 Depth=1
	s_branch .LBB11_115
.LBB11_113:                             ;   Parent Loop BB11_44 Depth=1
                                        ; =>  This Inner Loop Header: Depth=2
	v_mov_b32_e32 v2, 1
	s_and_saveexec_b32 s5, s4
	s_cbranch_execz .LBB11_110
; %bb.114:                              ;   in Loop: Header=BB11_113 Depth=2
	global_load_dword v2, v[26:27], off offset:20 glc dlc
	s_waitcnt vmcnt(0)
	buffer_gl1_inv
	buffer_gl0_inv
	v_and_b32_e32 v2, 1, v2
	s_branch .LBB11_110
.LBB11_115:                             ;   in Loop: Header=BB11_44 Depth=1
	global_load_dwordx4 v[0:3], v[0:1], off
	s_and_saveexec_b32 s5, s4
	s_cbranch_execz .LBB11_43
; %bb.116:                              ;   in Loop: Header=BB11_44 Depth=1
	s_clause 0x2
	global_load_dwordx2 v[2:3], v7, s[40:41] offset:40
	global_load_dwordx2 v[14:15], v7, s[40:41] offset:24 glc dlc
	global_load_dwordx2 v[12:13], v7, s[40:41]
	s_waitcnt vmcnt(2)
	v_add_co_u32 v6, vcc_lo, v2, 1
	v_add_co_ci_u32_e32 v16, vcc_lo, 0, v3, vcc_lo
	v_add_co_u32 v10, vcc_lo, v6, s18
	v_add_co_ci_u32_e32 v11, vcc_lo, s19, v16, vcc_lo
	v_cmp_eq_u64_e32 vcc_lo, 0, v[10:11]
	v_cndmask_b32_e32 v11, v11, v16, vcc_lo
	v_cndmask_b32_e32 v10, v10, v6, vcc_lo
	v_and_b32_e32 v3, v11, v3
	v_and_b32_e32 v2, v10, v2
	v_mul_lo_u32 v3, v3, 24
	v_mul_hi_u32 v6, v2, 24
	v_mul_lo_u32 v2, v2, 24
	v_add_nc_u32_e32 v3, v6, v3
	s_waitcnt vmcnt(0)
	v_add_co_u32 v2, vcc_lo, v12, v2
	v_mov_b32_e32 v12, v14
	v_add_co_ci_u32_e32 v3, vcc_lo, v13, v3, vcc_lo
	v_mov_b32_e32 v13, v15
	global_store_dwordx2 v[2:3], v[14:15], off
	s_waitcnt_vscnt null, 0x0
	global_atomic_cmpswap_x2 v[12:13], v7, v[10:13], s[40:41] offset:24 glc
	s_waitcnt vmcnt(0)
	v_cmp_ne_u64_e32 vcc_lo, v[12:13], v[14:15]
	s_and_b32 exec_lo, exec_lo, vcc_lo
	s_cbranch_execz .LBB11_43
; %bb.117:                              ;   in Loop: Header=BB11_44 Depth=1
	s_mov_b32 s4, 0
.LBB11_118:                             ;   Parent Loop BB11_44 Depth=1
                                        ; =>  This Inner Loop Header: Depth=2
	s_sleep 1
	global_store_dwordx2 v[2:3], v[12:13], off
	s_waitcnt_vscnt null, 0x0
	global_atomic_cmpswap_x2 v[14:15], v7, v[10:13], s[40:41] offset:24 glc
	s_waitcnt vmcnt(0)
	v_cmp_eq_u64_e32 vcc_lo, v[14:15], v[12:13]
	v_mov_b32_e32 v12, v14
	v_mov_b32_e32 v13, v15
	s_or_b32 s4, vcc_lo, s4
	s_andn2_b32 exec_lo, exec_lo, s4
	s_cbranch_execnz .LBB11_118
	s_branch .LBB11_43
.LBB11_119:
	s_branch .LBB11_148
.LBB11_120:
                                        ; implicit-def: $vgpr0_vgpr1
	s_cbranch_execz .LBB11_148
; %bb.121:
	v_readfirstlane_b32 s4, v69
	v_mov_b32_e32 v7, 0
	v_mov_b32_e32 v8, 0
	v_cmp_eq_u32_e64 s4, s4, v69
	s_and_saveexec_b32 s5, s4
	s_cbranch_execz .LBB11_127
; %bb.122:
	s_waitcnt vmcnt(0)
	v_mov_b32_e32 v0, 0
	s_mov_b32 s6, exec_lo
	global_load_dwordx2 v[9:10], v0, s[40:41] offset:24 glc dlc
	s_waitcnt vmcnt(0)
	buffer_gl1_inv
	buffer_gl0_inv
	s_clause 0x1
	global_load_dwordx2 v[1:2], v0, s[40:41] offset:40
	global_load_dwordx2 v[6:7], v0, s[40:41]
	s_waitcnt vmcnt(1)
	v_and_b32_e32 v2, v2, v10
	v_and_b32_e32 v1, v1, v9
	v_mul_lo_u32 v2, v2, 24
	v_mul_hi_u32 v3, v1, 24
	v_mul_lo_u32 v1, v1, 24
	v_add_nc_u32_e32 v2, v3, v2
	s_waitcnt vmcnt(0)
	v_add_co_u32 v1, vcc_lo, v6, v1
	v_add_co_ci_u32_e32 v2, vcc_lo, v7, v2, vcc_lo
	global_load_dwordx2 v[7:8], v[1:2], off glc dlc
	s_waitcnt vmcnt(0)
	global_atomic_cmpswap_x2 v[7:8], v0, v[7:10], s[40:41] offset:24 glc
	s_waitcnt vmcnt(0)
	buffer_gl1_inv
	buffer_gl0_inv
	v_cmpx_ne_u64_e64 v[7:8], v[9:10]
	s_cbranch_execz .LBB11_126
; %bb.123:
	s_mov_b32 s7, 0
	.p2align	6
.LBB11_124:                             ; =>This Inner Loop Header: Depth=1
	s_sleep 1
	s_clause 0x1
	global_load_dwordx2 v[1:2], v0, s[40:41] offset:40
	global_load_dwordx2 v[11:12], v0, s[40:41]
	v_mov_b32_e32 v10, v8
	v_mov_b32_e32 v9, v7
	s_waitcnt vmcnt(1)
	v_and_b32_e32 v1, v1, v9
	v_and_b32_e32 v2, v2, v10
	s_waitcnt vmcnt(0)
	v_mad_u64_u32 v[6:7], null, v1, 24, v[11:12]
	v_mov_b32_e32 v1, v7
	v_mad_u64_u32 v[1:2], null, v2, 24, v[1:2]
	v_mov_b32_e32 v7, v1
	global_load_dwordx2 v[7:8], v[6:7], off glc dlc
	s_waitcnt vmcnt(0)
	global_atomic_cmpswap_x2 v[7:8], v0, v[7:10], s[40:41] offset:24 glc
	s_waitcnt vmcnt(0)
	buffer_gl1_inv
	buffer_gl0_inv
	v_cmp_eq_u64_e32 vcc_lo, v[7:8], v[9:10]
	s_or_b32 s7, vcc_lo, s7
	s_andn2_b32 exec_lo, exec_lo, s7
	s_cbranch_execnz .LBB11_124
; %bb.125:
	s_or_b32 exec_lo, exec_lo, s7
.LBB11_126:
	s_or_b32 exec_lo, exec_lo, s6
.LBB11_127:
	s_or_b32 exec_lo, exec_lo, s5
	v_mov_b32_e32 v6, 0
	v_readfirstlane_b32 s6, v7
	v_readfirstlane_b32 s7, v8
	s_mov_b32 s5, exec_lo
	s_clause 0x1
	global_load_dwordx2 v[9:10], v6, s[40:41] offset:40
	global_load_dwordx4 v[0:3], v6, s[40:41]
	s_waitcnt vmcnt(1)
	v_readfirstlane_b32 s10, v9
	v_readfirstlane_b32 s11, v10
	s_and_b64 s[10:11], s[6:7], s[10:11]
	s_mul_i32 s16, s11, 24
	s_mul_hi_u32 s17, s10, 24
	s_mul_i32 s18, s10, 24
	s_add_i32 s17, s17, s16
	s_waitcnt vmcnt(0)
	v_add_co_u32 v8, vcc_lo, v0, s18
	v_add_co_ci_u32_e32 v9, vcc_lo, s17, v1, vcc_lo
	s_and_saveexec_b32 s16, s4
	s_cbranch_execz .LBB11_129
; %bb.128:
	v_mov_b32_e32 v10, s5
	v_mov_b32_e32 v11, v6
	;; [unrolled: 1-line block ×4, first 2 shown]
	global_store_dwordx4 v[8:9], v[10:13], off offset:8
.LBB11_129:
	s_or_b32 exec_lo, exec_lo, s16
	s_lshl_b64 s[10:11], s[10:11], 12
	s_mov_b32 s16, 0
	v_add_co_u32 v2, vcc_lo, v2, s10
	v_add_co_ci_u32_e32 v3, vcc_lo, s11, v3, vcc_lo
	s_mov_b32 s17, s16
	v_add_co_u32 v10, vcc_lo, v2, v68
	s_mov_b32 s18, s16
	s_mov_b32 s19, s16
	v_and_or_b32 v4, 0xffffff1f, v4, 32
	v_mov_b32_e32 v7, v6
	v_readfirstlane_b32 s10, v2
	v_readfirstlane_b32 s11, v3
	v_mov_b32_e32 v12, s16
	v_add_co_ci_u32_e32 v11, vcc_lo, 0, v3, vcc_lo
	v_mov_b32_e32 v13, s17
	v_mov_b32_e32 v14, s18
	;; [unrolled: 1-line block ×3, first 2 shown]
	global_store_dwordx4 v68, v[4:7], s[10:11]
	global_store_dwordx4 v68, v[12:15], s[10:11] offset:16
	global_store_dwordx4 v68, v[12:15], s[10:11] offset:32
	;; [unrolled: 1-line block ×3, first 2 shown]
	s_and_saveexec_b32 s5, s4
	s_cbranch_execz .LBB11_137
; %bb.130:
	v_mov_b32_e32 v6, 0
	v_mov_b32_e32 v12, s6
	;; [unrolled: 1-line block ×3, first 2 shown]
	s_clause 0x1
	global_load_dwordx2 v[14:15], v6, s[40:41] offset:32 glc dlc
	global_load_dwordx2 v[2:3], v6, s[40:41] offset:40
	s_waitcnt vmcnt(0)
	v_readfirstlane_b32 s10, v2
	v_readfirstlane_b32 s11, v3
	s_and_b64 s[10:11], s[10:11], s[6:7]
	s_mul_i32 s11, s11, 24
	s_mul_hi_u32 s16, s10, 24
	s_mul_i32 s10, s10, 24
	s_add_i32 s16, s16, s11
	v_add_co_u32 v4, vcc_lo, v0, s10
	v_add_co_ci_u32_e32 v5, vcc_lo, s16, v1, vcc_lo
	s_mov_b32 s10, exec_lo
	global_store_dwordx2 v[4:5], v[14:15], off
	s_waitcnt_vscnt null, 0x0
	global_atomic_cmpswap_x2 v[2:3], v6, v[12:15], s[40:41] offset:32 glc
	s_waitcnt vmcnt(0)
	v_cmpx_ne_u64_e64 v[2:3], v[14:15]
	s_cbranch_execz .LBB11_133
; %bb.131:
	s_mov_b32 s11, 0
.LBB11_132:                             ; =>This Inner Loop Header: Depth=1
	v_mov_b32_e32 v0, s6
	v_mov_b32_e32 v1, s7
	s_sleep 1
	global_store_dwordx2 v[4:5], v[2:3], off
	s_waitcnt_vscnt null, 0x0
	global_atomic_cmpswap_x2 v[0:1], v6, v[0:3], s[40:41] offset:32 glc
	s_waitcnt vmcnt(0)
	v_cmp_eq_u64_e32 vcc_lo, v[0:1], v[2:3]
	v_mov_b32_e32 v3, v1
	v_mov_b32_e32 v2, v0
	s_or_b32 s11, vcc_lo, s11
	s_andn2_b32 exec_lo, exec_lo, s11
	s_cbranch_execnz .LBB11_132
.LBB11_133:
	s_or_b32 exec_lo, exec_lo, s10
	v_mov_b32_e32 v3, 0
	s_mov_b32 s11, exec_lo
	s_mov_b32 s10, exec_lo
	v_mbcnt_lo_u32_b32 v2, s11, 0
	global_load_dwordx2 v[0:1], v3, s[40:41] offset:16
	v_cmpx_eq_u32_e32 0, v2
	s_cbranch_execz .LBB11_135
; %bb.134:
	s_bcnt1_i32_b32 s11, s11
	v_mov_b32_e32 v2, s11
	s_waitcnt vmcnt(0)
	global_atomic_add_x2 v[0:1], v[2:3], off offset:8
.LBB11_135:
	s_or_b32 exec_lo, exec_lo, s10
	s_waitcnt vmcnt(0)
	global_load_dwordx2 v[2:3], v[0:1], off offset:16
	s_waitcnt vmcnt(0)
	v_cmp_eq_u64_e32 vcc_lo, 0, v[2:3]
	s_cbranch_vccnz .LBB11_137
; %bb.136:
	global_load_dword v0, v[0:1], off offset:24
	v_mov_b32_e32 v1, 0
	s_waitcnt vmcnt(0)
	v_and_b32_e32 v4, 0x7fffff, v0
	s_waitcnt_vscnt null, 0x0
	global_store_dwordx2 v[2:3], v[0:1], off
	v_readfirstlane_b32 m0, v4
	s_sendmsg sendmsg(MSG_INTERRUPT)
.LBB11_137:
	s_or_b32 exec_lo, exec_lo, s5
	s_branch .LBB11_141
	.p2align	6
.LBB11_138:                             ;   in Loop: Header=BB11_141 Depth=1
	s_or_b32 exec_lo, exec_lo, s5
	v_readfirstlane_b32 s5, v0
	s_cmp_eq_u32 s5, 0
	s_cbranch_scc1 .LBB11_140
; %bb.139:                              ;   in Loop: Header=BB11_141 Depth=1
	s_sleep 1
	s_cbranch_execnz .LBB11_141
	s_branch .LBB11_143
	.p2align	6
.LBB11_140:
	s_branch .LBB11_143
.LBB11_141:                             ; =>This Inner Loop Header: Depth=1
	v_mov_b32_e32 v0, 1
	s_and_saveexec_b32 s5, s4
	s_cbranch_execz .LBB11_138
; %bb.142:                              ;   in Loop: Header=BB11_141 Depth=1
	global_load_dword v0, v[8:9], off offset:20 glc dlc
	s_waitcnt vmcnt(0)
	buffer_gl1_inv
	buffer_gl0_inv
	v_and_b32_e32 v0, 1, v0
	s_branch .LBB11_138
.LBB11_143:
	global_load_dwordx2 v[0:1], v[10:11], off
	s_and_saveexec_b32 s5, s4
	s_cbranch_execz .LBB11_147
; %bb.144:
	v_mov_b32_e32 v8, 0
	s_clause 0x2
	global_load_dwordx2 v[4:5], v8, s[40:41] offset:40
	global_load_dwordx2 v[9:10], v8, s[40:41] offset:24 glc dlc
	global_load_dwordx2 v[6:7], v8, s[40:41]
	s_waitcnt vmcnt(2)
	v_add_co_u32 v11, vcc_lo, v4, 1
	v_add_co_ci_u32_e32 v12, vcc_lo, 0, v5, vcc_lo
	v_add_co_u32 v2, vcc_lo, v11, s6
	v_add_co_ci_u32_e32 v3, vcc_lo, s7, v12, vcc_lo
	v_cmp_eq_u64_e32 vcc_lo, 0, v[2:3]
	v_cndmask_b32_e32 v3, v3, v12, vcc_lo
	v_cndmask_b32_e32 v2, v2, v11, vcc_lo
	v_and_b32_e32 v5, v3, v5
	v_and_b32_e32 v4, v2, v4
	v_mul_lo_u32 v5, v5, 24
	v_mul_hi_u32 v11, v4, 24
	v_mul_lo_u32 v4, v4, 24
	v_add_nc_u32_e32 v5, v11, v5
	s_waitcnt vmcnt(0)
	v_add_co_u32 v6, vcc_lo, v6, v4
	v_mov_b32_e32 v4, v9
	v_add_co_ci_u32_e32 v7, vcc_lo, v7, v5, vcc_lo
	v_mov_b32_e32 v5, v10
	global_store_dwordx2 v[6:7], v[9:10], off
	s_waitcnt_vscnt null, 0x0
	global_atomic_cmpswap_x2 v[4:5], v8, v[2:5], s[40:41] offset:24 glc
	s_waitcnt vmcnt(0)
	v_cmp_ne_u64_e32 vcc_lo, v[4:5], v[9:10]
	s_and_b32 exec_lo, exec_lo, vcc_lo
	s_cbranch_execz .LBB11_147
; %bb.145:
	s_mov_b32 s4, 0
.LBB11_146:                             ; =>This Inner Loop Header: Depth=1
	s_sleep 1
	global_store_dwordx2 v[6:7], v[4:5], off
	s_waitcnt_vscnt null, 0x0
	global_atomic_cmpswap_x2 v[9:10], v8, v[2:5], s[40:41] offset:24 glc
	s_waitcnt vmcnt(0)
	v_cmp_eq_u64_e32 vcc_lo, v[9:10], v[4:5]
	v_mov_b32_e32 v4, v9
	v_mov_b32_e32 v5, v10
	s_or_b32 s4, vcc_lo, s4
	s_andn2_b32 exec_lo, exec_lo, s4
	s_cbranch_execnz .LBB11_146
.LBB11_147:
	s_or_b32 exec_lo, exec_lo, s5
.LBB11_148:
	s_getpc_b64 s[6:7]
	s_add_u32 s6, s6, __PRETTY_FUNCTION__._ZL21merge_single_elementsRN8migraphx4test12test_managerE@rel32@lo+4
	s_addc_u32 s7, s7, __PRETTY_FUNCTION__._ZL21merge_single_elementsRN8migraphx4test12test_managerE@rel32@hi+12
	s_cmp_lg_u64 s[6:7], 0
	s_cbranch_scc0 .LBB11_227
; %bb.149:
	s_waitcnt vmcnt(0)
	v_and_b32_e32 v6, -3, v0
	v_mov_b32_e32 v7, v1
	v_mov_b32_e32 v3, 0
	;; [unrolled: 1-line block ×4, first 2 shown]
	s_mov_b64 s[10:11], 59
	s_branch .LBB11_151
.LBB11_150:                             ;   in Loop: Header=BB11_151 Depth=1
	s_or_b32 exec_lo, exec_lo, s5
	s_sub_u32 s10, s10, s16
	s_subb_u32 s11, s11, s17
	s_add_u32 s6, s6, s16
	s_addc_u32 s7, s7, s17
	s_cmp_lg_u64 s[10:11], 0
	s_cbranch_scc0 .LBB11_226
.LBB11_151:                             ; =>This Loop Header: Depth=1
                                        ;     Child Loop BB11_160 Depth 2
                                        ;     Child Loop BB11_156 Depth 2
	;; [unrolled: 1-line block ×11, first 2 shown]
	v_cmp_lt_u64_e64 s4, s[10:11], 56
	v_cmp_gt_u64_e64 s5, s[10:11], 7
                                        ; implicit-def: $sgpr22
	s_and_b32 s4, s4, exec_lo
	s_cselect_b32 s17, s11, 0
	s_cselect_b32 s16, s10, 56
	s_and_b32 vcc_lo, exec_lo, s5
	s_mov_b32 s4, -1
	s_cbranch_vccz .LBB11_158
; %bb.152:                              ;   in Loop: Header=BB11_151 Depth=1
	s_andn2_b32 vcc_lo, exec_lo, s4
	s_mov_b64 s[4:5], s[6:7]
	s_cbranch_vccz .LBB11_162
.LBB11_153:                             ;   in Loop: Header=BB11_151 Depth=1
	s_cmp_gt_u32 s22, 7
	s_cbranch_scc1 .LBB11_163
.LBB11_154:                             ;   in Loop: Header=BB11_151 Depth=1
	v_mov_b32_e32 v10, 0
	v_mov_b32_e32 v11, 0
	s_cmp_eq_u32 s22, 0
	s_cbranch_scc1 .LBB11_157
; %bb.155:                              ;   in Loop: Header=BB11_151 Depth=1
	s_mov_b64 s[18:19], 0
	s_mov_b64 s[20:21], 0
.LBB11_156:                             ;   Parent Loop BB11_151 Depth=1
                                        ; =>  This Inner Loop Header: Depth=2
	s_add_u32 s24, s4, s20
	s_addc_u32 s25, s5, s21
	s_add_u32 s20, s20, 1
	global_load_ubyte v2, v3, s[24:25]
	s_addc_u32 s21, s21, 0
	s_waitcnt vmcnt(0)
	v_and_b32_e32 v2, 0xffff, v2
	v_lshlrev_b64 v[12:13], s18, v[2:3]
	s_add_u32 s18, s18, 8
	s_addc_u32 s19, s19, 0
	s_cmp_lg_u32 s22, s20
	v_or_b32_e32 v10, v12, v10
	v_or_b32_e32 v11, v13, v11
	s_cbranch_scc1 .LBB11_156
.LBB11_157:                             ;   in Loop: Header=BB11_151 Depth=1
	s_mov_b32 s23, 0
	s_cbranch_execz .LBB11_164
	s_branch .LBB11_165
.LBB11_158:                             ;   in Loop: Header=BB11_151 Depth=1
	s_waitcnt vmcnt(0)
	v_mov_b32_e32 v8, 0
	v_mov_b32_e32 v9, 0
	s_cmp_eq_u64 s[10:11], 0
	s_mov_b64 s[4:5], 0
	s_cbranch_scc1 .LBB11_161
; %bb.159:                              ;   in Loop: Header=BB11_151 Depth=1
	v_mov_b32_e32 v8, 0
	v_mov_b32_e32 v9, 0
	s_lshl_b64 s[18:19], s[16:17], 3
	s_mov_b64 s[20:21], s[6:7]
.LBB11_160:                             ;   Parent Loop BB11_151 Depth=1
                                        ; =>  This Inner Loop Header: Depth=2
	global_load_ubyte v2, v3, s[20:21]
	s_waitcnt vmcnt(0)
	v_and_b32_e32 v2, 0xffff, v2
	v_lshlrev_b64 v[10:11], s4, v[2:3]
	s_add_u32 s4, s4, 8
	s_addc_u32 s5, s5, 0
	s_add_u32 s20, s20, 1
	s_addc_u32 s21, s21, 0
	s_cmp_lg_u32 s18, s4
	v_or_b32_e32 v8, v10, v8
	v_or_b32_e32 v9, v11, v9
	s_cbranch_scc1 .LBB11_160
.LBB11_161:                             ;   in Loop: Header=BB11_151 Depth=1
	s_mov_b32 s22, 0
	s_mov_b64 s[4:5], s[6:7]
	s_cbranch_execnz .LBB11_153
.LBB11_162:                             ;   in Loop: Header=BB11_151 Depth=1
	global_load_dwordx2 v[8:9], v3, s[6:7]
	s_add_i32 s22, s16, -8
	s_add_u32 s4, s6, 8
	s_addc_u32 s5, s7, 0
	s_cmp_gt_u32 s22, 7
	s_cbranch_scc0 .LBB11_154
.LBB11_163:                             ;   in Loop: Header=BB11_151 Depth=1
                                        ; implicit-def: $vgpr10_vgpr11
                                        ; implicit-def: $sgpr23
.LBB11_164:                             ;   in Loop: Header=BB11_151 Depth=1
	global_load_dwordx2 v[10:11], v3, s[4:5]
	s_add_i32 s23, s22, -8
	s_add_u32 s4, s4, 8
	s_addc_u32 s5, s5, 0
.LBB11_165:                             ;   in Loop: Header=BB11_151 Depth=1
	s_cmp_gt_u32 s23, 7
	s_cbranch_scc1 .LBB11_170
; %bb.166:                              ;   in Loop: Header=BB11_151 Depth=1
	v_mov_b32_e32 v12, 0
	v_mov_b32_e32 v13, 0
	s_cmp_eq_u32 s23, 0
	s_cbranch_scc1 .LBB11_169
; %bb.167:                              ;   in Loop: Header=BB11_151 Depth=1
	s_mov_b64 s[18:19], 0
	s_mov_b64 s[20:21], 0
.LBB11_168:                             ;   Parent Loop BB11_151 Depth=1
                                        ; =>  This Inner Loop Header: Depth=2
	s_add_u32 s24, s4, s20
	s_addc_u32 s25, s5, s21
	s_add_u32 s20, s20, 1
	global_load_ubyte v2, v3, s[24:25]
	s_addc_u32 s21, s21, 0
	s_waitcnt vmcnt(0)
	v_and_b32_e32 v2, 0xffff, v2
	v_lshlrev_b64 v[14:15], s18, v[2:3]
	s_add_u32 s18, s18, 8
	s_addc_u32 s19, s19, 0
	s_cmp_lg_u32 s23, s20
	v_or_b32_e32 v12, v14, v12
	v_or_b32_e32 v13, v15, v13
	s_cbranch_scc1 .LBB11_168
.LBB11_169:                             ;   in Loop: Header=BB11_151 Depth=1
	s_mov_b32 s22, 0
	s_cbranch_execz .LBB11_171
	s_branch .LBB11_172
.LBB11_170:                             ;   in Loop: Header=BB11_151 Depth=1
                                        ; implicit-def: $sgpr22
.LBB11_171:                             ;   in Loop: Header=BB11_151 Depth=1
	global_load_dwordx2 v[12:13], v3, s[4:5]
	s_add_i32 s22, s23, -8
	s_add_u32 s4, s4, 8
	s_addc_u32 s5, s5, 0
.LBB11_172:                             ;   in Loop: Header=BB11_151 Depth=1
	s_cmp_gt_u32 s22, 7
	s_cbranch_scc1 .LBB11_177
; %bb.173:                              ;   in Loop: Header=BB11_151 Depth=1
	v_mov_b32_e32 v14, 0
	v_mov_b32_e32 v15, 0
	s_cmp_eq_u32 s22, 0
	s_cbranch_scc1 .LBB11_176
; %bb.174:                              ;   in Loop: Header=BB11_151 Depth=1
	s_mov_b64 s[18:19], 0
	s_mov_b64 s[20:21], 0
.LBB11_175:                             ;   Parent Loop BB11_151 Depth=1
                                        ; =>  This Inner Loop Header: Depth=2
	s_add_u32 s24, s4, s20
	s_addc_u32 s25, s5, s21
	s_add_u32 s20, s20, 1
	global_load_ubyte v2, v3, s[24:25]
	s_addc_u32 s21, s21, 0
	s_waitcnt vmcnt(0)
	v_and_b32_e32 v2, 0xffff, v2
	v_lshlrev_b64 v[16:17], s18, v[2:3]
	s_add_u32 s18, s18, 8
	s_addc_u32 s19, s19, 0
	s_cmp_lg_u32 s22, s20
	v_or_b32_e32 v14, v16, v14
	v_or_b32_e32 v15, v17, v15
	s_cbranch_scc1 .LBB11_175
.LBB11_176:                             ;   in Loop: Header=BB11_151 Depth=1
	s_mov_b32 s23, 0
	s_cbranch_execz .LBB11_178
	s_branch .LBB11_179
.LBB11_177:                             ;   in Loop: Header=BB11_151 Depth=1
                                        ; implicit-def: $vgpr14_vgpr15
                                        ; implicit-def: $sgpr23
.LBB11_178:                             ;   in Loop: Header=BB11_151 Depth=1
	global_load_dwordx2 v[14:15], v3, s[4:5]
	s_add_i32 s23, s22, -8
	s_add_u32 s4, s4, 8
	s_addc_u32 s5, s5, 0
.LBB11_179:                             ;   in Loop: Header=BB11_151 Depth=1
	s_cmp_gt_u32 s23, 7
	s_cbranch_scc1 .LBB11_184
; %bb.180:                              ;   in Loop: Header=BB11_151 Depth=1
	v_mov_b32_e32 v16, 0
	v_mov_b32_e32 v17, 0
	s_cmp_eq_u32 s23, 0
	s_cbranch_scc1 .LBB11_183
; %bb.181:                              ;   in Loop: Header=BB11_151 Depth=1
	s_mov_b64 s[18:19], 0
	s_mov_b64 s[20:21], 0
.LBB11_182:                             ;   Parent Loop BB11_151 Depth=1
                                        ; =>  This Inner Loop Header: Depth=2
	s_add_u32 s24, s4, s20
	s_addc_u32 s25, s5, s21
	s_add_u32 s20, s20, 1
	global_load_ubyte v2, v3, s[24:25]
	s_addc_u32 s21, s21, 0
	s_waitcnt vmcnt(0)
	v_and_b32_e32 v2, 0xffff, v2
	v_lshlrev_b64 v[18:19], s18, v[2:3]
	s_add_u32 s18, s18, 8
	s_addc_u32 s19, s19, 0
	s_cmp_lg_u32 s23, s20
	v_or_b32_e32 v16, v18, v16
	v_or_b32_e32 v17, v19, v17
	s_cbranch_scc1 .LBB11_182
.LBB11_183:                             ;   in Loop: Header=BB11_151 Depth=1
	s_mov_b32 s22, 0
	s_cbranch_execz .LBB11_185
	s_branch .LBB11_186
.LBB11_184:                             ;   in Loop: Header=BB11_151 Depth=1
                                        ; implicit-def: $sgpr22
.LBB11_185:                             ;   in Loop: Header=BB11_151 Depth=1
	global_load_dwordx2 v[16:17], v3, s[4:5]
	s_add_i32 s22, s23, -8
	s_add_u32 s4, s4, 8
	s_addc_u32 s5, s5, 0
.LBB11_186:                             ;   in Loop: Header=BB11_151 Depth=1
	s_cmp_gt_u32 s22, 7
	s_cbranch_scc1 .LBB11_191
; %bb.187:                              ;   in Loop: Header=BB11_151 Depth=1
	v_mov_b32_e32 v18, 0
	v_mov_b32_e32 v19, 0
	s_cmp_eq_u32 s22, 0
	s_cbranch_scc1 .LBB11_190
; %bb.188:                              ;   in Loop: Header=BB11_151 Depth=1
	s_mov_b64 s[18:19], 0
	s_mov_b64 s[20:21], 0
.LBB11_189:                             ;   Parent Loop BB11_151 Depth=1
                                        ; =>  This Inner Loop Header: Depth=2
	s_add_u32 s24, s4, s20
	s_addc_u32 s25, s5, s21
	s_add_u32 s20, s20, 1
	global_load_ubyte v2, v3, s[24:25]
	s_addc_u32 s21, s21, 0
	s_waitcnt vmcnt(0)
	v_and_b32_e32 v2, 0xffff, v2
	v_lshlrev_b64 v[20:21], s18, v[2:3]
	s_add_u32 s18, s18, 8
	s_addc_u32 s19, s19, 0
	s_cmp_lg_u32 s22, s20
	v_or_b32_e32 v18, v20, v18
	v_or_b32_e32 v19, v21, v19
	s_cbranch_scc1 .LBB11_189
.LBB11_190:                             ;   in Loop: Header=BB11_151 Depth=1
	s_mov_b32 s23, 0
	s_cbranch_execz .LBB11_192
	s_branch .LBB11_193
.LBB11_191:                             ;   in Loop: Header=BB11_151 Depth=1
                                        ; implicit-def: $vgpr18_vgpr19
                                        ; implicit-def: $sgpr23
.LBB11_192:                             ;   in Loop: Header=BB11_151 Depth=1
	global_load_dwordx2 v[18:19], v3, s[4:5]
	s_add_i32 s23, s22, -8
	s_add_u32 s4, s4, 8
	s_addc_u32 s5, s5, 0
.LBB11_193:                             ;   in Loop: Header=BB11_151 Depth=1
	s_cmp_gt_u32 s23, 7
	s_cbranch_scc1 .LBB11_198
; %bb.194:                              ;   in Loop: Header=BB11_151 Depth=1
	v_mov_b32_e32 v20, 0
	v_mov_b32_e32 v21, 0
	s_cmp_eq_u32 s23, 0
	s_cbranch_scc1 .LBB11_197
; %bb.195:                              ;   in Loop: Header=BB11_151 Depth=1
	s_mov_b64 s[18:19], 0
	s_mov_b64 s[20:21], s[4:5]
.LBB11_196:                             ;   Parent Loop BB11_151 Depth=1
                                        ; =>  This Inner Loop Header: Depth=2
	global_load_ubyte v2, v3, s[20:21]
	s_add_i32 s23, s23, -1
	s_waitcnt vmcnt(0)
	v_and_b32_e32 v2, 0xffff, v2
	v_lshlrev_b64 v[22:23], s18, v[2:3]
	s_add_u32 s18, s18, 8
	s_addc_u32 s19, s19, 0
	s_add_u32 s20, s20, 1
	s_addc_u32 s21, s21, 0
	s_cmp_lg_u32 s23, 0
	v_or_b32_e32 v20, v22, v20
	v_or_b32_e32 v21, v23, v21
	s_cbranch_scc1 .LBB11_196
.LBB11_197:                             ;   in Loop: Header=BB11_151 Depth=1
	s_cbranch_execz .LBB11_199
	s_branch .LBB11_200
.LBB11_198:                             ;   in Loop: Header=BB11_151 Depth=1
.LBB11_199:                             ;   in Loop: Header=BB11_151 Depth=1
	global_load_dwordx2 v[20:21], v3, s[4:5]
.LBB11_200:                             ;   in Loop: Header=BB11_151 Depth=1
	v_readfirstlane_b32 s4, v69
	v_mov_b32_e32 v26, 0
	v_mov_b32_e32 v27, 0
	v_cmp_eq_u32_e64 s4, s4, v69
	s_and_saveexec_b32 s5, s4
	s_cbranch_execz .LBB11_206
; %bb.201:                              ;   in Loop: Header=BB11_151 Depth=1
	global_load_dwordx2 v[24:25], v3, s[40:41] offset:24 glc dlc
	s_waitcnt vmcnt(0)
	buffer_gl1_inv
	buffer_gl0_inv
	s_clause 0x1
	global_load_dwordx2 v[22:23], v3, s[40:41] offset:40
	global_load_dwordx2 v[26:27], v3, s[40:41]
	s_mov_b32 s18, exec_lo
	s_waitcnt vmcnt(1)
	v_and_b32_e32 v2, v23, v25
	v_and_b32_e32 v22, v22, v24
	v_mul_lo_u32 v2, v2, 24
	v_mul_hi_u32 v23, v22, 24
	v_mul_lo_u32 v22, v22, 24
	v_add_nc_u32_e32 v2, v23, v2
	s_waitcnt vmcnt(0)
	v_add_co_u32 v22, vcc_lo, v26, v22
	v_add_co_ci_u32_e32 v23, vcc_lo, v27, v2, vcc_lo
	global_load_dwordx2 v[22:23], v[22:23], off glc dlc
	s_waitcnt vmcnt(0)
	global_atomic_cmpswap_x2 v[26:27], v3, v[22:25], s[40:41] offset:24 glc
	s_waitcnt vmcnt(0)
	buffer_gl1_inv
	buffer_gl0_inv
	v_cmpx_ne_u64_e64 v[26:27], v[24:25]
	s_cbranch_execz .LBB11_205
; %bb.202:                              ;   in Loop: Header=BB11_151 Depth=1
	s_mov_b32 s19, 0
	.p2align	6
.LBB11_203:                             ;   Parent Loop BB11_151 Depth=1
                                        ; =>  This Inner Loop Header: Depth=2
	s_sleep 1
	s_clause 0x1
	global_load_dwordx2 v[22:23], v3, s[40:41] offset:40
	global_load_dwordx2 v[28:29], v3, s[40:41]
	v_mov_b32_e32 v24, v26
	v_mov_b32_e32 v25, v27
	s_waitcnt vmcnt(1)
	v_and_b32_e32 v2, v22, v24
	v_and_b32_e32 v22, v23, v25
	s_waitcnt vmcnt(0)
	v_mad_u64_u32 v[26:27], null, v2, 24, v[28:29]
	v_mov_b32_e32 v2, v27
	v_mad_u64_u32 v[22:23], null, v22, 24, v[2:3]
	v_mov_b32_e32 v27, v22
	global_load_dwordx2 v[22:23], v[26:27], off glc dlc
	s_waitcnt vmcnt(0)
	global_atomic_cmpswap_x2 v[26:27], v3, v[22:25], s[40:41] offset:24 glc
	s_waitcnt vmcnt(0)
	buffer_gl1_inv
	buffer_gl0_inv
	v_cmp_eq_u64_e32 vcc_lo, v[26:27], v[24:25]
	s_or_b32 s19, vcc_lo, s19
	s_andn2_b32 exec_lo, exec_lo, s19
	s_cbranch_execnz .LBB11_203
; %bb.204:                              ;   in Loop: Header=BB11_151 Depth=1
	s_or_b32 exec_lo, exec_lo, s19
.LBB11_205:                             ;   in Loop: Header=BB11_151 Depth=1
	s_or_b32 exec_lo, exec_lo, s18
.LBB11_206:                             ;   in Loop: Header=BB11_151 Depth=1
	s_or_b32 exec_lo, exec_lo, s5
	s_clause 0x1
	global_load_dwordx2 v[28:29], v3, s[40:41] offset:40
	global_load_dwordx4 v[22:25], v3, s[40:41]
	v_readfirstlane_b32 s18, v26
	v_readfirstlane_b32 s19, v27
	s_mov_b32 s5, exec_lo
	s_waitcnt vmcnt(1)
	v_readfirstlane_b32 s20, v28
	v_readfirstlane_b32 s21, v29
	s_and_b64 s[20:21], s[18:19], s[20:21]
	s_mul_i32 s22, s21, 24
	s_mul_hi_u32 s23, s20, 24
	s_mul_i32 s24, s20, 24
	s_add_i32 s23, s23, s22
	s_waitcnt vmcnt(0)
	v_add_co_u32 v26, vcc_lo, v22, s24
	v_add_co_ci_u32_e32 v27, vcc_lo, s23, v23, vcc_lo
	s_and_saveexec_b32 s22, s4
	s_cbranch_execz .LBB11_208
; %bb.207:                              ;   in Loop: Header=BB11_151 Depth=1
	v_mov_b32_e32 v2, s5
	global_store_dwordx4 v[26:27], v[2:5], off offset:8
.LBB11_208:                             ;   in Loop: Header=BB11_151 Depth=1
	s_or_b32 exec_lo, exec_lo, s22
	s_lshl_b64 s[20:21], s[20:21], 12
	v_or_b32_e32 v2, 2, v6
	v_add_co_u32 v24, vcc_lo, v24, s20
	v_add_co_ci_u32_e32 v25, vcc_lo, s21, v25, vcc_lo
	v_cmp_gt_u64_e64 vcc_lo, s[10:11], 56
	s_lshl_b32 s5, s16, 2
	v_readfirstlane_b32 s20, v24
	s_add_i32 s5, s5, 28
	v_readfirstlane_b32 s21, v25
	s_and_b32 s5, s5, 0x1e0
	v_cndmask_b32_e32 v2, v2, v6, vcc_lo
	v_and_or_b32 v6, 0xffffff1f, v2, s5
	global_store_dwordx4 v68, v[10:13], s[20:21] offset:16
	global_store_dwordx4 v68, v[6:9], s[20:21]
	global_store_dwordx4 v68, v[14:17], s[20:21] offset:32
	global_store_dwordx4 v68, v[18:21], s[20:21] offset:48
	s_and_saveexec_b32 s5, s4
	s_cbranch_execz .LBB11_216
; %bb.209:                              ;   in Loop: Header=BB11_151 Depth=1
	s_clause 0x1
	global_load_dwordx2 v[14:15], v3, s[40:41] offset:32 glc dlc
	global_load_dwordx2 v[6:7], v3, s[40:41] offset:40
	v_mov_b32_e32 v12, s18
	v_mov_b32_e32 v13, s19
	s_waitcnt vmcnt(0)
	v_readfirstlane_b32 s20, v6
	v_readfirstlane_b32 s21, v7
	s_and_b64 s[20:21], s[20:21], s[18:19]
	s_mul_i32 s21, s21, 24
	s_mul_hi_u32 s22, s20, 24
	s_mul_i32 s20, s20, 24
	s_add_i32 s22, s22, s21
	v_add_co_u32 v10, vcc_lo, v22, s20
	v_add_co_ci_u32_e32 v11, vcc_lo, s22, v23, vcc_lo
	s_mov_b32 s20, exec_lo
	global_store_dwordx2 v[10:11], v[14:15], off
	s_waitcnt_vscnt null, 0x0
	global_atomic_cmpswap_x2 v[8:9], v3, v[12:15], s[40:41] offset:32 glc
	s_waitcnt vmcnt(0)
	v_cmpx_ne_u64_e64 v[8:9], v[14:15]
	s_cbranch_execz .LBB11_212
; %bb.210:                              ;   in Loop: Header=BB11_151 Depth=1
	s_mov_b32 s21, 0
.LBB11_211:                             ;   Parent Loop BB11_151 Depth=1
                                        ; =>  This Inner Loop Header: Depth=2
	v_mov_b32_e32 v6, s18
	v_mov_b32_e32 v7, s19
	s_sleep 1
	global_store_dwordx2 v[10:11], v[8:9], off
	s_waitcnt_vscnt null, 0x0
	global_atomic_cmpswap_x2 v[6:7], v3, v[6:9], s[40:41] offset:32 glc
	s_waitcnt vmcnt(0)
	v_cmp_eq_u64_e32 vcc_lo, v[6:7], v[8:9]
	v_mov_b32_e32 v9, v7
	v_mov_b32_e32 v8, v6
	s_or_b32 s21, vcc_lo, s21
	s_andn2_b32 exec_lo, exec_lo, s21
	s_cbranch_execnz .LBB11_211
.LBB11_212:                             ;   in Loop: Header=BB11_151 Depth=1
	s_or_b32 exec_lo, exec_lo, s20
	global_load_dwordx2 v[6:7], v3, s[40:41] offset:16
	s_mov_b32 s21, exec_lo
	s_mov_b32 s20, exec_lo
	v_mbcnt_lo_u32_b32 v2, s21, 0
	v_cmpx_eq_u32_e32 0, v2
	s_cbranch_execz .LBB11_214
; %bb.213:                              ;   in Loop: Header=BB11_151 Depth=1
	s_bcnt1_i32_b32 s21, s21
	v_mov_b32_e32 v2, s21
	s_waitcnt vmcnt(0)
	global_atomic_add_x2 v[6:7], v[2:3], off offset:8
.LBB11_214:                             ;   in Loop: Header=BB11_151 Depth=1
	s_or_b32 exec_lo, exec_lo, s20
	s_waitcnt vmcnt(0)
	global_load_dwordx2 v[8:9], v[6:7], off offset:16
	s_waitcnt vmcnt(0)
	v_cmp_eq_u64_e32 vcc_lo, 0, v[8:9]
	s_cbranch_vccnz .LBB11_216
; %bb.215:                              ;   in Loop: Header=BB11_151 Depth=1
	global_load_dword v2, v[6:7], off offset:24
	s_waitcnt vmcnt(0)
	v_and_b32_e32 v6, 0x7fffff, v2
	s_waitcnt_vscnt null, 0x0
	global_store_dwordx2 v[8:9], v[2:3], off
	v_readfirstlane_b32 m0, v6
	s_sendmsg sendmsg(MSG_INTERRUPT)
.LBB11_216:                             ;   in Loop: Header=BB11_151 Depth=1
	s_or_b32 exec_lo, exec_lo, s5
	v_add_co_u32 v6, vcc_lo, v24, v68
	v_add_co_ci_u32_e32 v7, vcc_lo, 0, v25, vcc_lo
	s_branch .LBB11_220
	.p2align	6
.LBB11_217:                             ;   in Loop: Header=BB11_220 Depth=2
	s_or_b32 exec_lo, exec_lo, s5
	v_readfirstlane_b32 s5, v2
	s_cmp_eq_u32 s5, 0
	s_cbranch_scc1 .LBB11_219
; %bb.218:                              ;   in Loop: Header=BB11_220 Depth=2
	s_sleep 1
	s_cbranch_execnz .LBB11_220
	s_branch .LBB11_222
	.p2align	6
.LBB11_219:                             ;   in Loop: Header=BB11_151 Depth=1
	s_branch .LBB11_222
.LBB11_220:                             ;   Parent Loop BB11_151 Depth=1
                                        ; =>  This Inner Loop Header: Depth=2
	v_mov_b32_e32 v2, 1
	s_and_saveexec_b32 s5, s4
	s_cbranch_execz .LBB11_217
; %bb.221:                              ;   in Loop: Header=BB11_220 Depth=2
	global_load_dword v2, v[26:27], off offset:20 glc dlc
	s_waitcnt vmcnt(0)
	buffer_gl1_inv
	buffer_gl0_inv
	v_and_b32_e32 v2, 1, v2
	s_branch .LBB11_217
.LBB11_222:                             ;   in Loop: Header=BB11_151 Depth=1
	global_load_dwordx4 v[6:9], v[6:7], off
	s_and_saveexec_b32 s5, s4
	s_cbranch_execz .LBB11_150
; %bb.223:                              ;   in Loop: Header=BB11_151 Depth=1
	s_clause 0x2
	global_load_dwordx2 v[10:11], v3, s[40:41] offset:40
	global_load_dwordx2 v[14:15], v3, s[40:41] offset:24 glc dlc
	global_load_dwordx2 v[12:13], v3, s[40:41]
	s_waitcnt vmcnt(2)
	v_add_co_u32 v2, vcc_lo, v10, 1
	v_add_co_ci_u32_e32 v16, vcc_lo, 0, v11, vcc_lo
	v_add_co_u32 v8, vcc_lo, v2, s18
	v_add_co_ci_u32_e32 v9, vcc_lo, s19, v16, vcc_lo
	v_cmp_eq_u64_e32 vcc_lo, 0, v[8:9]
	v_cndmask_b32_e32 v9, v9, v16, vcc_lo
	v_cndmask_b32_e32 v8, v8, v2, vcc_lo
	v_and_b32_e32 v2, v9, v11
	v_and_b32_e32 v10, v8, v10
	v_mul_lo_u32 v2, v2, 24
	v_mul_hi_u32 v11, v10, 24
	v_mul_lo_u32 v10, v10, 24
	v_add_nc_u32_e32 v2, v11, v2
	s_waitcnt vmcnt(0)
	v_add_co_u32 v12, vcc_lo, v12, v10
	v_mov_b32_e32 v10, v14
	v_mov_b32_e32 v11, v15
	v_add_co_ci_u32_e32 v13, vcc_lo, v13, v2, vcc_lo
	global_store_dwordx2 v[12:13], v[14:15], off
	s_waitcnt_vscnt null, 0x0
	global_atomic_cmpswap_x2 v[10:11], v3, v[8:11], s[40:41] offset:24 glc
	s_waitcnt vmcnt(0)
	v_cmp_ne_u64_e32 vcc_lo, v[10:11], v[14:15]
	s_and_b32 exec_lo, exec_lo, vcc_lo
	s_cbranch_execz .LBB11_150
; %bb.224:                              ;   in Loop: Header=BB11_151 Depth=1
	s_mov_b32 s4, 0
.LBB11_225:                             ;   Parent Loop BB11_151 Depth=1
                                        ; =>  This Inner Loop Header: Depth=2
	s_sleep 1
	global_store_dwordx2 v[12:13], v[10:11], off
	s_waitcnt_vscnt null, 0x0
	global_atomic_cmpswap_x2 v[14:15], v3, v[8:11], s[40:41] offset:24 glc
	s_waitcnt vmcnt(0)
	v_cmp_eq_u64_e32 vcc_lo, v[14:15], v[10:11]
	v_mov_b32_e32 v10, v14
	v_mov_b32_e32 v11, v15
	s_or_b32 s4, vcc_lo, s4
	s_andn2_b32 exec_lo, exec_lo, s4
	s_cbranch_execnz .LBB11_225
	s_branch .LBB11_150
.LBB11_226:
	s_branch .LBB11_255
.LBB11_227:
	s_cbranch_execz .LBB11_255
; %bb.228:
	v_readfirstlane_b32 s4, v69
	s_waitcnt vmcnt(0)
	v_mov_b32_e32 v8, 0
	v_mov_b32_e32 v9, 0
	v_cmp_eq_u32_e64 s4, s4, v69
	s_and_saveexec_b32 s5, s4
	s_cbranch_execz .LBB11_234
; %bb.229:
	v_mov_b32_e32 v2, 0
	s_mov_b32 s6, exec_lo
	global_load_dwordx2 v[5:6], v2, s[40:41] offset:24 glc dlc
	s_waitcnt vmcnt(0)
	buffer_gl1_inv
	buffer_gl0_inv
	s_clause 0x1
	global_load_dwordx2 v[3:4], v2, s[40:41] offset:40
	global_load_dwordx2 v[7:8], v2, s[40:41]
	s_waitcnt vmcnt(1)
	v_and_b32_e32 v4, v4, v6
	v_and_b32_e32 v3, v3, v5
	v_mul_lo_u32 v4, v4, 24
	v_mul_hi_u32 v9, v3, 24
	v_mul_lo_u32 v3, v3, 24
	v_add_nc_u32_e32 v4, v9, v4
	s_waitcnt vmcnt(0)
	v_add_co_u32 v3, vcc_lo, v7, v3
	v_add_co_ci_u32_e32 v4, vcc_lo, v8, v4, vcc_lo
	global_load_dwordx2 v[3:4], v[3:4], off glc dlc
	s_waitcnt vmcnt(0)
	global_atomic_cmpswap_x2 v[8:9], v2, v[3:6], s[40:41] offset:24 glc
	s_waitcnt vmcnt(0)
	buffer_gl1_inv
	buffer_gl0_inv
	v_cmpx_ne_u64_e64 v[8:9], v[5:6]
	s_cbranch_execz .LBB11_233
; %bb.230:
	s_mov_b32 s7, 0
	.p2align	6
.LBB11_231:                             ; =>This Inner Loop Header: Depth=1
	s_sleep 1
	s_clause 0x1
	global_load_dwordx2 v[3:4], v2, s[40:41] offset:40
	global_load_dwordx2 v[10:11], v2, s[40:41]
	v_mov_b32_e32 v5, v8
	v_mov_b32_e32 v6, v9
	s_waitcnt vmcnt(1)
	v_and_b32_e32 v3, v3, v5
	v_and_b32_e32 v4, v4, v6
	s_waitcnt vmcnt(0)
	v_mad_u64_u32 v[7:8], null, v3, 24, v[10:11]
	v_mov_b32_e32 v3, v8
	v_mad_u64_u32 v[3:4], null, v4, 24, v[3:4]
	v_mov_b32_e32 v8, v3
	global_load_dwordx2 v[3:4], v[7:8], off glc dlc
	s_waitcnt vmcnt(0)
	global_atomic_cmpswap_x2 v[8:9], v2, v[3:6], s[40:41] offset:24 glc
	s_waitcnt vmcnt(0)
	buffer_gl1_inv
	buffer_gl0_inv
	v_cmp_eq_u64_e32 vcc_lo, v[8:9], v[5:6]
	s_or_b32 s7, vcc_lo, s7
	s_andn2_b32 exec_lo, exec_lo, s7
	s_cbranch_execnz .LBB11_231
; %bb.232:
	s_or_b32 exec_lo, exec_lo, s7
.LBB11_233:
	s_or_b32 exec_lo, exec_lo, s6
.LBB11_234:
	s_or_b32 exec_lo, exec_lo, s5
	v_mov_b32_e32 v2, 0
	v_readfirstlane_b32 s6, v8
	v_readfirstlane_b32 s7, v9
	s_mov_b32 s5, exec_lo
	s_clause 0x1
	global_load_dwordx2 v[10:11], v2, s[40:41] offset:40
	global_load_dwordx4 v[4:7], v2, s[40:41]
	s_waitcnt vmcnt(1)
	v_readfirstlane_b32 s10, v10
	v_readfirstlane_b32 s11, v11
	s_and_b64 s[10:11], s[6:7], s[10:11]
	s_mul_i32 s16, s11, 24
	s_mul_hi_u32 s17, s10, 24
	s_mul_i32 s18, s10, 24
	s_add_i32 s17, s17, s16
	s_waitcnt vmcnt(0)
	v_add_co_u32 v8, vcc_lo, v4, s18
	v_add_co_ci_u32_e32 v9, vcc_lo, s17, v5, vcc_lo
	s_and_saveexec_b32 s16, s4
	s_cbranch_execz .LBB11_236
; %bb.235:
	v_mov_b32_e32 v10, s5
	v_mov_b32_e32 v11, v2
	;; [unrolled: 1-line block ×4, first 2 shown]
	global_store_dwordx4 v[8:9], v[10:13], off offset:8
.LBB11_236:
	s_or_b32 exec_lo, exec_lo, s16
	s_lshl_b64 s[10:11], s[10:11], 12
	s_mov_b32 s16, 0
	v_add_co_u32 v6, vcc_lo, v6, s10
	v_add_co_ci_u32_e32 v7, vcc_lo, s11, v7, vcc_lo
	s_mov_b32 s17, s16
	s_mov_b32 s18, s16
	;; [unrolled: 1-line block ×3, first 2 shown]
	v_and_or_b32 v0, 0xffffff1d, v0, 34
	v_mov_b32_e32 v3, v2
	v_readfirstlane_b32 s10, v6
	v_readfirstlane_b32 s11, v7
	v_mov_b32_e32 v10, s16
	v_mov_b32_e32 v11, s17
	;; [unrolled: 1-line block ×4, first 2 shown]
	global_store_dwordx4 v68, v[0:3], s[10:11]
	global_store_dwordx4 v68, v[10:13], s[10:11] offset:16
	global_store_dwordx4 v68, v[10:13], s[10:11] offset:32
	;; [unrolled: 1-line block ×3, first 2 shown]
	s_and_saveexec_b32 s5, s4
	s_cbranch_execz .LBB11_244
; %bb.237:
	v_mov_b32_e32 v6, 0
	v_mov_b32_e32 v10, s6
	;; [unrolled: 1-line block ×3, first 2 shown]
	s_clause 0x1
	global_load_dwordx2 v[12:13], v6, s[40:41] offset:32 glc dlc
	global_load_dwordx2 v[0:1], v6, s[40:41] offset:40
	s_waitcnt vmcnt(0)
	v_readfirstlane_b32 s10, v0
	v_readfirstlane_b32 s11, v1
	s_and_b64 s[10:11], s[10:11], s[6:7]
	s_mul_i32 s11, s11, 24
	s_mul_hi_u32 s16, s10, 24
	s_mul_i32 s10, s10, 24
	s_add_i32 s16, s16, s11
	v_add_co_u32 v4, vcc_lo, v4, s10
	v_add_co_ci_u32_e32 v5, vcc_lo, s16, v5, vcc_lo
	s_mov_b32 s10, exec_lo
	global_store_dwordx2 v[4:5], v[12:13], off
	s_waitcnt_vscnt null, 0x0
	global_atomic_cmpswap_x2 v[2:3], v6, v[10:13], s[40:41] offset:32 glc
	s_waitcnt vmcnt(0)
	v_cmpx_ne_u64_e64 v[2:3], v[12:13]
	s_cbranch_execz .LBB11_240
; %bb.238:
	s_mov_b32 s11, 0
.LBB11_239:                             ; =>This Inner Loop Header: Depth=1
	v_mov_b32_e32 v0, s6
	v_mov_b32_e32 v1, s7
	s_sleep 1
	global_store_dwordx2 v[4:5], v[2:3], off
	s_waitcnt_vscnt null, 0x0
	global_atomic_cmpswap_x2 v[0:1], v6, v[0:3], s[40:41] offset:32 glc
	s_waitcnt vmcnt(0)
	v_cmp_eq_u64_e32 vcc_lo, v[0:1], v[2:3]
	v_mov_b32_e32 v3, v1
	v_mov_b32_e32 v2, v0
	s_or_b32 s11, vcc_lo, s11
	s_andn2_b32 exec_lo, exec_lo, s11
	s_cbranch_execnz .LBB11_239
.LBB11_240:
	s_or_b32 exec_lo, exec_lo, s10
	v_mov_b32_e32 v3, 0
	s_mov_b32 s11, exec_lo
	s_mov_b32 s10, exec_lo
	v_mbcnt_lo_u32_b32 v2, s11, 0
	global_load_dwordx2 v[0:1], v3, s[40:41] offset:16
	v_cmpx_eq_u32_e32 0, v2
	s_cbranch_execz .LBB11_242
; %bb.241:
	s_bcnt1_i32_b32 s11, s11
	v_mov_b32_e32 v2, s11
	s_waitcnt vmcnt(0)
	global_atomic_add_x2 v[0:1], v[2:3], off offset:8
.LBB11_242:
	s_or_b32 exec_lo, exec_lo, s10
	s_waitcnt vmcnt(0)
	global_load_dwordx2 v[2:3], v[0:1], off offset:16
	s_waitcnt vmcnt(0)
	v_cmp_eq_u64_e32 vcc_lo, 0, v[2:3]
	s_cbranch_vccnz .LBB11_244
; %bb.243:
	global_load_dword v0, v[0:1], off offset:24
	v_mov_b32_e32 v1, 0
	s_waitcnt vmcnt(0)
	v_and_b32_e32 v4, 0x7fffff, v0
	s_waitcnt_vscnt null, 0x0
	global_store_dwordx2 v[2:3], v[0:1], off
	v_readfirstlane_b32 m0, v4
	s_sendmsg sendmsg(MSG_INTERRUPT)
.LBB11_244:
	s_or_b32 exec_lo, exec_lo, s5
	s_branch .LBB11_248
	.p2align	6
.LBB11_245:                             ;   in Loop: Header=BB11_248 Depth=1
	s_or_b32 exec_lo, exec_lo, s5
	v_readfirstlane_b32 s5, v0
	s_cmp_eq_u32 s5, 0
	s_cbranch_scc1 .LBB11_247
; %bb.246:                              ;   in Loop: Header=BB11_248 Depth=1
	s_sleep 1
	s_cbranch_execnz .LBB11_248
	s_branch .LBB11_250
	.p2align	6
.LBB11_247:
	s_branch .LBB11_250
.LBB11_248:                             ; =>This Inner Loop Header: Depth=1
	v_mov_b32_e32 v0, 1
	s_and_saveexec_b32 s5, s4
	s_cbranch_execz .LBB11_245
; %bb.249:                              ;   in Loop: Header=BB11_248 Depth=1
	global_load_dword v0, v[8:9], off offset:20 glc dlc
	s_waitcnt vmcnt(0)
	buffer_gl1_inv
	buffer_gl0_inv
	v_and_b32_e32 v0, 1, v0
	s_branch .LBB11_245
.LBB11_250:
	s_and_saveexec_b32 s5, s4
	s_cbranch_execz .LBB11_254
; %bb.251:
	v_mov_b32_e32 v6, 0
	s_clause 0x2
	global_load_dwordx2 v[2:3], v6, s[40:41] offset:40
	global_load_dwordx2 v[7:8], v6, s[40:41] offset:24 glc dlc
	global_load_dwordx2 v[4:5], v6, s[40:41]
	s_waitcnt vmcnt(2)
	v_add_co_u32 v9, vcc_lo, v2, 1
	v_add_co_ci_u32_e32 v10, vcc_lo, 0, v3, vcc_lo
	v_add_co_u32 v0, vcc_lo, v9, s6
	v_add_co_ci_u32_e32 v1, vcc_lo, s7, v10, vcc_lo
	v_cmp_eq_u64_e32 vcc_lo, 0, v[0:1]
	v_cndmask_b32_e32 v1, v1, v10, vcc_lo
	v_cndmask_b32_e32 v0, v0, v9, vcc_lo
	v_and_b32_e32 v3, v1, v3
	v_and_b32_e32 v2, v0, v2
	v_mul_lo_u32 v3, v3, 24
	v_mul_hi_u32 v9, v2, 24
	v_mul_lo_u32 v2, v2, 24
	v_add_nc_u32_e32 v3, v9, v3
	s_waitcnt vmcnt(0)
	v_add_co_u32 v4, vcc_lo, v4, v2
	v_mov_b32_e32 v2, v7
	v_add_co_ci_u32_e32 v5, vcc_lo, v5, v3, vcc_lo
	v_mov_b32_e32 v3, v8
	global_store_dwordx2 v[4:5], v[7:8], off
	s_waitcnt_vscnt null, 0x0
	global_atomic_cmpswap_x2 v[2:3], v6, v[0:3], s[40:41] offset:24 glc
	s_waitcnt vmcnt(0)
	v_cmp_ne_u64_e32 vcc_lo, v[2:3], v[7:8]
	s_and_b32 exec_lo, exec_lo, vcc_lo
	s_cbranch_execz .LBB11_254
; %bb.252:
	s_mov_b32 s4, 0
.LBB11_253:                             ; =>This Inner Loop Header: Depth=1
	s_sleep 1
	global_store_dwordx2 v[4:5], v[2:3], off
	s_waitcnt_vscnt null, 0x0
	global_atomic_cmpswap_x2 v[7:8], v6, v[0:3], s[40:41] offset:24 glc
	s_waitcnt vmcnt(0)
	v_cmp_eq_u64_e32 vcc_lo, v[7:8], v[2:3]
	v_mov_b32_e32 v2, v7
	v_mov_b32_e32 v3, v8
	s_or_b32 s4, vcc_lo, s4
	s_andn2_b32 exec_lo, exec_lo, s4
	s_cbranch_execnz .LBB11_253
.LBB11_254:
	s_or_b32 exec_lo, exec_lo, s5
.LBB11_255:
	v_readfirstlane_b32 s4, v69
	s_waitcnt vmcnt(0)
	v_mov_b32_e32 v6, 0
	v_mov_b32_e32 v7, 0
	v_cmp_eq_u32_e64 s4, s4, v69
	s_and_saveexec_b32 s5, s4
	s_cbranch_execz .LBB11_261
; %bb.256:
	v_mov_b32_e32 v0, 0
	s_mov_b32 s6, exec_lo
	global_load_dwordx2 v[3:4], v0, s[40:41] offset:24 glc dlc
	s_waitcnt vmcnt(0)
	buffer_gl1_inv
	buffer_gl0_inv
	s_clause 0x1
	global_load_dwordx2 v[1:2], v0, s[40:41] offset:40
	global_load_dwordx2 v[5:6], v0, s[40:41]
	s_waitcnt vmcnt(1)
	v_and_b32_e32 v2, v2, v4
	v_and_b32_e32 v1, v1, v3
	v_mul_lo_u32 v2, v2, 24
	v_mul_hi_u32 v7, v1, 24
	v_mul_lo_u32 v1, v1, 24
	v_add_nc_u32_e32 v2, v7, v2
	s_waitcnt vmcnt(0)
	v_add_co_u32 v1, vcc_lo, v5, v1
	v_add_co_ci_u32_e32 v2, vcc_lo, v6, v2, vcc_lo
	global_load_dwordx2 v[1:2], v[1:2], off glc dlc
	s_waitcnt vmcnt(0)
	global_atomic_cmpswap_x2 v[6:7], v0, v[1:4], s[40:41] offset:24 glc
	s_waitcnt vmcnt(0)
	buffer_gl1_inv
	buffer_gl0_inv
	v_cmpx_ne_u64_e64 v[6:7], v[3:4]
	s_cbranch_execz .LBB11_260
; %bb.257:
	s_mov_b32 s7, 0
	.p2align	6
.LBB11_258:                             ; =>This Inner Loop Header: Depth=1
	s_sleep 1
	s_clause 0x1
	global_load_dwordx2 v[1:2], v0, s[40:41] offset:40
	global_load_dwordx2 v[8:9], v0, s[40:41]
	v_mov_b32_e32 v3, v6
	v_mov_b32_e32 v4, v7
	s_waitcnt vmcnt(1)
	v_and_b32_e32 v1, v1, v3
	v_and_b32_e32 v2, v2, v4
	s_waitcnt vmcnt(0)
	v_mad_u64_u32 v[5:6], null, v1, 24, v[8:9]
	v_mov_b32_e32 v1, v6
	v_mad_u64_u32 v[1:2], null, v2, 24, v[1:2]
	v_mov_b32_e32 v6, v1
	global_load_dwordx2 v[1:2], v[5:6], off glc dlc
	s_waitcnt vmcnt(0)
	global_atomic_cmpswap_x2 v[6:7], v0, v[1:4], s[40:41] offset:24 glc
	s_waitcnt vmcnt(0)
	buffer_gl1_inv
	buffer_gl0_inv
	v_cmp_eq_u64_e32 vcc_lo, v[6:7], v[3:4]
	s_or_b32 s7, vcc_lo, s7
	s_andn2_b32 exec_lo, exec_lo, s7
	s_cbranch_execnz .LBB11_258
; %bb.259:
	s_or_b32 exec_lo, exec_lo, s7
.LBB11_260:
	s_or_b32 exec_lo, exec_lo, s6
.LBB11_261:
	s_or_b32 exec_lo, exec_lo, s5
	v_mov_b32_e32 v5, 0
	v_readfirstlane_b32 s6, v6
	v_readfirstlane_b32 s7, v7
	s_mov_b32 s5, exec_lo
	s_clause 0x1
	global_load_dwordx2 v[8:9], v5, s[40:41] offset:40
	global_load_dwordx4 v[0:3], v5, s[40:41]
	s_waitcnt vmcnt(1)
	v_readfirstlane_b32 s10, v8
	v_readfirstlane_b32 s11, v9
	s_and_b64 s[10:11], s[6:7], s[10:11]
	s_mul_i32 s16, s11, 24
	s_mul_hi_u32 s17, s10, 24
	s_mul_i32 s18, s10, 24
	s_add_i32 s17, s17, s16
	s_waitcnt vmcnt(0)
	v_add_co_u32 v8, vcc_lo, v0, s18
	v_add_co_ci_u32_e32 v9, vcc_lo, s17, v1, vcc_lo
	s_and_saveexec_b32 s16, s4
	s_cbranch_execz .LBB11_263
; %bb.262:
	v_mov_b32_e32 v4, s5
	v_mov_b32_e32 v6, 2
	;; [unrolled: 1-line block ×3, first 2 shown]
	global_store_dwordx4 v[8:9], v[4:7], off offset:8
.LBB11_263:
	s_or_b32 exec_lo, exec_lo, s16
	s_lshl_b64 s[10:11], s[10:11], 12
	s_mov_b32 s16, 0
	v_add_co_u32 v2, vcc_lo, v2, s10
	v_add_co_ci_u32_e32 v3, vcc_lo, s11, v3, vcc_lo
	s_mov_b32 s17, s16
	v_add_co_u32 v10, vcc_lo, v2, v68
	s_mov_b32 s18, s16
	s_mov_b32 s19, s16
	v_mov_b32_e32 v4, 33
	v_mov_b32_e32 v6, v5
	;; [unrolled: 1-line block ×3, first 2 shown]
	v_readfirstlane_b32 s10, v2
	v_readfirstlane_b32 s11, v3
	v_mov_b32_e32 v12, s16
	v_add_co_ci_u32_e32 v11, vcc_lo, 0, v3, vcc_lo
	v_mov_b32_e32 v13, s17
	v_mov_b32_e32 v14, s18
	;; [unrolled: 1-line block ×3, first 2 shown]
	global_store_dwordx4 v68, v[4:7], s[10:11]
	global_store_dwordx4 v68, v[12:15], s[10:11] offset:16
	global_store_dwordx4 v68, v[12:15], s[10:11] offset:32
	;; [unrolled: 1-line block ×3, first 2 shown]
	s_and_saveexec_b32 s5, s4
	s_cbranch_execz .LBB11_271
; %bb.264:
	v_mov_b32_e32 v6, 0
	v_mov_b32_e32 v12, s6
	;; [unrolled: 1-line block ×3, first 2 shown]
	s_clause 0x1
	global_load_dwordx2 v[14:15], v6, s[40:41] offset:32 glc dlc
	global_load_dwordx2 v[2:3], v6, s[40:41] offset:40
	s_waitcnt vmcnt(0)
	v_readfirstlane_b32 s10, v2
	v_readfirstlane_b32 s11, v3
	s_and_b64 s[10:11], s[10:11], s[6:7]
	s_mul_i32 s11, s11, 24
	s_mul_hi_u32 s16, s10, 24
	s_mul_i32 s10, s10, 24
	s_add_i32 s16, s16, s11
	v_add_co_u32 v4, vcc_lo, v0, s10
	v_add_co_ci_u32_e32 v5, vcc_lo, s16, v1, vcc_lo
	s_mov_b32 s10, exec_lo
	global_store_dwordx2 v[4:5], v[14:15], off
	s_waitcnt_vscnt null, 0x0
	global_atomic_cmpswap_x2 v[2:3], v6, v[12:15], s[40:41] offset:32 glc
	s_waitcnt vmcnt(0)
	v_cmpx_ne_u64_e64 v[2:3], v[14:15]
	s_cbranch_execz .LBB11_267
; %bb.265:
	s_mov_b32 s11, 0
.LBB11_266:                             ; =>This Inner Loop Header: Depth=1
	v_mov_b32_e32 v0, s6
	v_mov_b32_e32 v1, s7
	s_sleep 1
	global_store_dwordx2 v[4:5], v[2:3], off
	s_waitcnt_vscnt null, 0x0
	global_atomic_cmpswap_x2 v[0:1], v6, v[0:3], s[40:41] offset:32 glc
	s_waitcnt vmcnt(0)
	v_cmp_eq_u64_e32 vcc_lo, v[0:1], v[2:3]
	v_mov_b32_e32 v3, v1
	v_mov_b32_e32 v2, v0
	s_or_b32 s11, vcc_lo, s11
	s_andn2_b32 exec_lo, exec_lo, s11
	s_cbranch_execnz .LBB11_266
.LBB11_267:
	s_or_b32 exec_lo, exec_lo, s10
	v_mov_b32_e32 v3, 0
	s_mov_b32 s11, exec_lo
	s_mov_b32 s10, exec_lo
	v_mbcnt_lo_u32_b32 v2, s11, 0
	global_load_dwordx2 v[0:1], v3, s[40:41] offset:16
	v_cmpx_eq_u32_e32 0, v2
	s_cbranch_execz .LBB11_269
; %bb.268:
	s_bcnt1_i32_b32 s11, s11
	v_mov_b32_e32 v2, s11
	s_waitcnt vmcnt(0)
	global_atomic_add_x2 v[0:1], v[2:3], off offset:8
.LBB11_269:
	s_or_b32 exec_lo, exec_lo, s10
	s_waitcnt vmcnt(0)
	global_load_dwordx2 v[2:3], v[0:1], off offset:16
	s_waitcnt vmcnt(0)
	v_cmp_eq_u64_e32 vcc_lo, 0, v[2:3]
	s_cbranch_vccnz .LBB11_271
; %bb.270:
	global_load_dword v0, v[0:1], off offset:24
	v_mov_b32_e32 v1, 0
	s_waitcnt vmcnt(0)
	v_and_b32_e32 v4, 0x7fffff, v0
	s_waitcnt_vscnt null, 0x0
	global_store_dwordx2 v[2:3], v[0:1], off
	v_readfirstlane_b32 m0, v4
	s_sendmsg sendmsg(MSG_INTERRUPT)
.LBB11_271:
	s_or_b32 exec_lo, exec_lo, s5
	s_branch .LBB11_275
	.p2align	6
.LBB11_272:                             ;   in Loop: Header=BB11_275 Depth=1
	s_or_b32 exec_lo, exec_lo, s5
	v_readfirstlane_b32 s5, v0
	s_cmp_eq_u32 s5, 0
	s_cbranch_scc1 .LBB11_274
; %bb.273:                              ;   in Loop: Header=BB11_275 Depth=1
	s_sleep 1
	s_cbranch_execnz .LBB11_275
	s_branch .LBB11_277
	.p2align	6
.LBB11_274:
	s_branch .LBB11_277
.LBB11_275:                             ; =>This Inner Loop Header: Depth=1
	v_mov_b32_e32 v0, 1
	s_and_saveexec_b32 s5, s4
	s_cbranch_execz .LBB11_272
; %bb.276:                              ;   in Loop: Header=BB11_275 Depth=1
	global_load_dword v0, v[8:9], off offset:20 glc dlc
	s_waitcnt vmcnt(0)
	buffer_gl1_inv
	buffer_gl0_inv
	v_and_b32_e32 v0, 1, v0
	s_branch .LBB11_272
.LBB11_277:
	global_load_dwordx2 v[0:1], v[10:11], off
	s_and_saveexec_b32 s5, s4
	s_cbranch_execz .LBB11_281
; %bb.278:
	v_mov_b32_e32 v8, 0
	s_clause 0x2
	global_load_dwordx2 v[4:5], v8, s[40:41] offset:40
	global_load_dwordx2 v[9:10], v8, s[40:41] offset:24 glc dlc
	global_load_dwordx2 v[6:7], v8, s[40:41]
	s_waitcnt vmcnt(2)
	v_add_co_u32 v11, vcc_lo, v4, 1
	v_add_co_ci_u32_e32 v12, vcc_lo, 0, v5, vcc_lo
	v_add_co_u32 v2, vcc_lo, v11, s6
	v_add_co_ci_u32_e32 v3, vcc_lo, s7, v12, vcc_lo
	v_cmp_eq_u64_e32 vcc_lo, 0, v[2:3]
	v_cndmask_b32_e32 v3, v3, v12, vcc_lo
	v_cndmask_b32_e32 v2, v2, v11, vcc_lo
	v_and_b32_e32 v5, v3, v5
	v_and_b32_e32 v4, v2, v4
	v_mul_lo_u32 v5, v5, 24
	v_mul_hi_u32 v11, v4, 24
	v_mul_lo_u32 v4, v4, 24
	v_add_nc_u32_e32 v5, v11, v5
	s_waitcnt vmcnt(0)
	v_add_co_u32 v6, vcc_lo, v6, v4
	v_mov_b32_e32 v4, v9
	v_add_co_ci_u32_e32 v7, vcc_lo, v7, v5, vcc_lo
	v_mov_b32_e32 v5, v10
	global_store_dwordx2 v[6:7], v[9:10], off
	s_waitcnt_vscnt null, 0x0
	global_atomic_cmpswap_x2 v[4:5], v8, v[2:5], s[40:41] offset:24 glc
	s_waitcnt vmcnt(0)
	v_cmp_ne_u64_e32 vcc_lo, v[4:5], v[9:10]
	s_and_b32 exec_lo, exec_lo, vcc_lo
	s_cbranch_execz .LBB11_281
; %bb.279:
	s_mov_b32 s4, 0
.LBB11_280:                             ; =>This Inner Loop Header: Depth=1
	s_sleep 1
	global_store_dwordx2 v[6:7], v[4:5], off
	s_waitcnt_vscnt null, 0x0
	global_atomic_cmpswap_x2 v[9:10], v8, v[2:5], s[40:41] offset:24 glc
	s_waitcnt vmcnt(0)
	v_cmp_eq_u64_e32 vcc_lo, v[9:10], v[4:5]
	v_mov_b32_e32 v4, v9
	v_mov_b32_e32 v5, v10
	s_or_b32 s4, vcc_lo, s4
	s_andn2_b32 exec_lo, exec_lo, s4
	s_cbranch_execnz .LBB11_280
.LBB11_281:
	s_or_b32 exec_lo, exec_lo, s5
	s_getpc_b64 s[6:7]
	s_add_u32 s6, s6, .str.6@rel32@lo+4
	s_addc_u32 s7, s7, .str.6@rel32@hi+12
	s_cmp_lg_u64 s[6:7], 0
	s_cselect_b32 s44, -1, 0
	s_and_b32 vcc_lo, exec_lo, s44
	s_cbranch_vccz .LBB11_360
; %bb.282:
	s_waitcnt vmcnt(0)
	v_and_b32_e32 v31, 2, v0
	v_mov_b32_e32 v6, 0
	v_and_b32_e32 v2, -3, v0
	v_mov_b32_e32 v3, v1
	v_mov_b32_e32 v7, 2
	;; [unrolled: 1-line block ×3, first 2 shown]
	s_mov_b64 s[10:11], 3
	s_branch .LBB11_284
.LBB11_283:                             ;   in Loop: Header=BB11_284 Depth=1
	s_or_b32 exec_lo, exec_lo, s5
	s_sub_u32 s10, s10, s16
	s_subb_u32 s11, s11, s17
	s_add_u32 s6, s6, s16
	s_addc_u32 s7, s7, s17
	s_cmp_lg_u64 s[10:11], 0
	s_cbranch_scc0 .LBB11_359
.LBB11_284:                             ; =>This Loop Header: Depth=1
                                        ;     Child Loop BB11_293 Depth 2
                                        ;     Child Loop BB11_289 Depth 2
	;; [unrolled: 1-line block ×11, first 2 shown]
	v_cmp_lt_u64_e64 s4, s[10:11], 56
	v_cmp_gt_u64_e64 s5, s[10:11], 7
                                        ; implicit-def: $vgpr11_vgpr12
                                        ; implicit-def: $sgpr22
	s_and_b32 s4, s4, exec_lo
	s_cselect_b32 s17, s11, 0
	s_cselect_b32 s16, s10, 56
	s_and_b32 vcc_lo, exec_lo, s5
	s_mov_b32 s4, -1
	s_cbranch_vccz .LBB11_291
; %bb.285:                              ;   in Loop: Header=BB11_284 Depth=1
	s_andn2_b32 vcc_lo, exec_lo, s4
	s_mov_b64 s[4:5], s[6:7]
	s_cbranch_vccz .LBB11_295
.LBB11_286:                             ;   in Loop: Header=BB11_284 Depth=1
	s_cmp_gt_u32 s22, 7
	s_cbranch_scc1 .LBB11_296
.LBB11_287:                             ;   in Loop: Header=BB11_284 Depth=1
	v_mov_b32_e32 v13, 0
	v_mov_b32_e32 v14, 0
	s_cmp_eq_u32 s22, 0
	s_cbranch_scc1 .LBB11_290
; %bb.288:                              ;   in Loop: Header=BB11_284 Depth=1
	s_mov_b64 s[18:19], 0
	s_mov_b64 s[20:21], 0
.LBB11_289:                             ;   Parent Loop BB11_284 Depth=1
                                        ; =>  This Inner Loop Header: Depth=2
	s_add_u32 s24, s4, s20
	s_addc_u32 s25, s5, s21
	s_add_u32 s20, s20, 1
	global_load_ubyte v4, v6, s[24:25]
	s_addc_u32 s21, s21, 0
	s_waitcnt vmcnt(0)
	v_and_b32_e32 v5, 0xffff, v4
	v_lshlrev_b64 v[4:5], s18, v[5:6]
	s_add_u32 s18, s18, 8
	s_addc_u32 s19, s19, 0
	s_cmp_lg_u32 s22, s20
	v_or_b32_e32 v13, v4, v13
	v_or_b32_e32 v14, v5, v14
	s_cbranch_scc1 .LBB11_289
.LBB11_290:                             ;   in Loop: Header=BB11_284 Depth=1
	s_mov_b32 s23, 0
	s_cbranch_execz .LBB11_297
	s_branch .LBB11_298
.LBB11_291:                             ;   in Loop: Header=BB11_284 Depth=1
	v_mov_b32_e32 v11, 0
	v_mov_b32_e32 v12, 0
	s_cmp_eq_u64 s[10:11], 0
	s_mov_b64 s[4:5], 0
	s_cbranch_scc1 .LBB11_294
; %bb.292:                              ;   in Loop: Header=BB11_284 Depth=1
	v_mov_b32_e32 v11, 0
	v_mov_b32_e32 v12, 0
	s_lshl_b64 s[18:19], s[16:17], 3
	s_mov_b64 s[20:21], s[6:7]
.LBB11_293:                             ;   Parent Loop BB11_284 Depth=1
                                        ; =>  This Inner Loop Header: Depth=2
	global_load_ubyte v4, v6, s[20:21]
	s_waitcnt vmcnt(0)
	v_and_b32_e32 v5, 0xffff, v4
	v_lshlrev_b64 v[4:5], s4, v[5:6]
	s_add_u32 s4, s4, 8
	s_addc_u32 s5, s5, 0
	s_add_u32 s20, s20, 1
	s_addc_u32 s21, s21, 0
	s_cmp_lg_u32 s18, s4
	v_or_b32_e32 v11, v4, v11
	v_or_b32_e32 v12, v5, v12
	s_cbranch_scc1 .LBB11_293
.LBB11_294:                             ;   in Loop: Header=BB11_284 Depth=1
	s_mov_b32 s22, 0
	s_mov_b64 s[4:5], s[6:7]
	s_cbranch_execnz .LBB11_286
.LBB11_295:                             ;   in Loop: Header=BB11_284 Depth=1
	global_load_dwordx2 v[11:12], v6, s[6:7]
	s_add_i32 s22, s16, -8
	s_add_u32 s4, s6, 8
	s_addc_u32 s5, s7, 0
	s_cmp_gt_u32 s22, 7
	s_cbranch_scc0 .LBB11_287
.LBB11_296:                             ;   in Loop: Header=BB11_284 Depth=1
                                        ; implicit-def: $vgpr13_vgpr14
                                        ; implicit-def: $sgpr23
.LBB11_297:                             ;   in Loop: Header=BB11_284 Depth=1
	global_load_dwordx2 v[13:14], v6, s[4:5]
	s_add_i32 s23, s22, -8
	s_add_u32 s4, s4, 8
	s_addc_u32 s5, s5, 0
.LBB11_298:                             ;   in Loop: Header=BB11_284 Depth=1
	s_cmp_gt_u32 s23, 7
	s_cbranch_scc1 .LBB11_303
; %bb.299:                              ;   in Loop: Header=BB11_284 Depth=1
	v_mov_b32_e32 v15, 0
	v_mov_b32_e32 v16, 0
	s_cmp_eq_u32 s23, 0
	s_cbranch_scc1 .LBB11_302
; %bb.300:                              ;   in Loop: Header=BB11_284 Depth=1
	s_mov_b64 s[18:19], 0
	s_mov_b64 s[20:21], 0
.LBB11_301:                             ;   Parent Loop BB11_284 Depth=1
                                        ; =>  This Inner Loop Header: Depth=2
	s_add_u32 s24, s4, s20
	s_addc_u32 s25, s5, s21
	s_add_u32 s20, s20, 1
	global_load_ubyte v4, v6, s[24:25]
	s_addc_u32 s21, s21, 0
	s_waitcnt vmcnt(0)
	v_and_b32_e32 v5, 0xffff, v4
	v_lshlrev_b64 v[4:5], s18, v[5:6]
	s_add_u32 s18, s18, 8
	s_addc_u32 s19, s19, 0
	s_cmp_lg_u32 s23, s20
	v_or_b32_e32 v15, v4, v15
	v_or_b32_e32 v16, v5, v16
	s_cbranch_scc1 .LBB11_301
.LBB11_302:                             ;   in Loop: Header=BB11_284 Depth=1
	s_mov_b32 s22, 0
	s_cbranch_execz .LBB11_304
	s_branch .LBB11_305
.LBB11_303:                             ;   in Loop: Header=BB11_284 Depth=1
                                        ; implicit-def: $sgpr22
.LBB11_304:                             ;   in Loop: Header=BB11_284 Depth=1
	global_load_dwordx2 v[15:16], v6, s[4:5]
	s_add_i32 s22, s23, -8
	s_add_u32 s4, s4, 8
	s_addc_u32 s5, s5, 0
.LBB11_305:                             ;   in Loop: Header=BB11_284 Depth=1
	s_cmp_gt_u32 s22, 7
	s_cbranch_scc1 .LBB11_310
; %bb.306:                              ;   in Loop: Header=BB11_284 Depth=1
	v_mov_b32_e32 v17, 0
	v_mov_b32_e32 v18, 0
	s_cmp_eq_u32 s22, 0
	s_cbranch_scc1 .LBB11_309
; %bb.307:                              ;   in Loop: Header=BB11_284 Depth=1
	s_mov_b64 s[18:19], 0
	s_mov_b64 s[20:21], 0
.LBB11_308:                             ;   Parent Loop BB11_284 Depth=1
                                        ; =>  This Inner Loop Header: Depth=2
	s_add_u32 s24, s4, s20
	s_addc_u32 s25, s5, s21
	s_add_u32 s20, s20, 1
	global_load_ubyte v4, v6, s[24:25]
	s_addc_u32 s21, s21, 0
	s_waitcnt vmcnt(0)
	v_and_b32_e32 v5, 0xffff, v4
	v_lshlrev_b64 v[4:5], s18, v[5:6]
	s_add_u32 s18, s18, 8
	s_addc_u32 s19, s19, 0
	s_cmp_lg_u32 s22, s20
	v_or_b32_e32 v17, v4, v17
	v_or_b32_e32 v18, v5, v18
	s_cbranch_scc1 .LBB11_308
.LBB11_309:                             ;   in Loop: Header=BB11_284 Depth=1
	s_mov_b32 s23, 0
	s_cbranch_execz .LBB11_311
	s_branch .LBB11_312
.LBB11_310:                             ;   in Loop: Header=BB11_284 Depth=1
                                        ; implicit-def: $vgpr17_vgpr18
                                        ; implicit-def: $sgpr23
.LBB11_311:                             ;   in Loop: Header=BB11_284 Depth=1
	global_load_dwordx2 v[17:18], v6, s[4:5]
	s_add_i32 s23, s22, -8
	s_add_u32 s4, s4, 8
	s_addc_u32 s5, s5, 0
.LBB11_312:                             ;   in Loop: Header=BB11_284 Depth=1
	s_cmp_gt_u32 s23, 7
	s_cbranch_scc1 .LBB11_317
; %bb.313:                              ;   in Loop: Header=BB11_284 Depth=1
	v_mov_b32_e32 v19, 0
	v_mov_b32_e32 v20, 0
	s_cmp_eq_u32 s23, 0
	s_cbranch_scc1 .LBB11_316
; %bb.314:                              ;   in Loop: Header=BB11_284 Depth=1
	s_mov_b64 s[18:19], 0
	s_mov_b64 s[20:21], 0
.LBB11_315:                             ;   Parent Loop BB11_284 Depth=1
                                        ; =>  This Inner Loop Header: Depth=2
	s_add_u32 s24, s4, s20
	s_addc_u32 s25, s5, s21
	s_add_u32 s20, s20, 1
	global_load_ubyte v4, v6, s[24:25]
	s_addc_u32 s21, s21, 0
	s_waitcnt vmcnt(0)
	v_and_b32_e32 v5, 0xffff, v4
	v_lshlrev_b64 v[4:5], s18, v[5:6]
	s_add_u32 s18, s18, 8
	s_addc_u32 s19, s19, 0
	s_cmp_lg_u32 s23, s20
	v_or_b32_e32 v19, v4, v19
	v_or_b32_e32 v20, v5, v20
	s_cbranch_scc1 .LBB11_315
.LBB11_316:                             ;   in Loop: Header=BB11_284 Depth=1
	s_mov_b32 s22, 0
	s_cbranch_execz .LBB11_318
	s_branch .LBB11_319
.LBB11_317:                             ;   in Loop: Header=BB11_284 Depth=1
                                        ; implicit-def: $sgpr22
.LBB11_318:                             ;   in Loop: Header=BB11_284 Depth=1
	global_load_dwordx2 v[19:20], v6, s[4:5]
	s_add_i32 s22, s23, -8
	s_add_u32 s4, s4, 8
	s_addc_u32 s5, s5, 0
.LBB11_319:                             ;   in Loop: Header=BB11_284 Depth=1
	s_cmp_gt_u32 s22, 7
	s_cbranch_scc1 .LBB11_324
; %bb.320:                              ;   in Loop: Header=BB11_284 Depth=1
	v_mov_b32_e32 v21, 0
	v_mov_b32_e32 v22, 0
	s_cmp_eq_u32 s22, 0
	s_cbranch_scc1 .LBB11_323
; %bb.321:                              ;   in Loop: Header=BB11_284 Depth=1
	s_mov_b64 s[18:19], 0
	s_mov_b64 s[20:21], 0
.LBB11_322:                             ;   Parent Loop BB11_284 Depth=1
                                        ; =>  This Inner Loop Header: Depth=2
	s_add_u32 s24, s4, s20
	s_addc_u32 s25, s5, s21
	s_add_u32 s20, s20, 1
	global_load_ubyte v4, v6, s[24:25]
	s_addc_u32 s21, s21, 0
	s_waitcnt vmcnt(0)
	v_and_b32_e32 v5, 0xffff, v4
	v_lshlrev_b64 v[4:5], s18, v[5:6]
	s_add_u32 s18, s18, 8
	s_addc_u32 s19, s19, 0
	s_cmp_lg_u32 s22, s20
	v_or_b32_e32 v21, v4, v21
	v_or_b32_e32 v22, v5, v22
	s_cbranch_scc1 .LBB11_322
.LBB11_323:                             ;   in Loop: Header=BB11_284 Depth=1
	s_mov_b32 s23, 0
	s_cbranch_execz .LBB11_325
	s_branch .LBB11_326
.LBB11_324:                             ;   in Loop: Header=BB11_284 Depth=1
                                        ; implicit-def: $vgpr21_vgpr22
                                        ; implicit-def: $sgpr23
.LBB11_325:                             ;   in Loop: Header=BB11_284 Depth=1
	global_load_dwordx2 v[21:22], v6, s[4:5]
	s_add_i32 s23, s22, -8
	s_add_u32 s4, s4, 8
	s_addc_u32 s5, s5, 0
.LBB11_326:                             ;   in Loop: Header=BB11_284 Depth=1
	s_cmp_gt_u32 s23, 7
	s_cbranch_scc1 .LBB11_331
; %bb.327:                              ;   in Loop: Header=BB11_284 Depth=1
	v_mov_b32_e32 v23, 0
	v_mov_b32_e32 v24, 0
	s_cmp_eq_u32 s23, 0
	s_cbranch_scc1 .LBB11_330
; %bb.328:                              ;   in Loop: Header=BB11_284 Depth=1
	s_mov_b64 s[18:19], 0
	s_mov_b64 s[20:21], s[4:5]
.LBB11_329:                             ;   Parent Loop BB11_284 Depth=1
                                        ; =>  This Inner Loop Header: Depth=2
	global_load_ubyte v4, v6, s[20:21]
	s_add_i32 s23, s23, -1
	s_waitcnt vmcnt(0)
	v_and_b32_e32 v5, 0xffff, v4
	v_lshlrev_b64 v[4:5], s18, v[5:6]
	s_add_u32 s18, s18, 8
	s_addc_u32 s19, s19, 0
	s_add_u32 s20, s20, 1
	s_addc_u32 s21, s21, 0
	s_cmp_lg_u32 s23, 0
	v_or_b32_e32 v23, v4, v23
	v_or_b32_e32 v24, v5, v24
	s_cbranch_scc1 .LBB11_329
.LBB11_330:                             ;   in Loop: Header=BB11_284 Depth=1
	s_cbranch_execz .LBB11_332
	s_branch .LBB11_333
.LBB11_331:                             ;   in Loop: Header=BB11_284 Depth=1
.LBB11_332:                             ;   in Loop: Header=BB11_284 Depth=1
	global_load_dwordx2 v[23:24], v6, s[4:5]
.LBB11_333:                             ;   in Loop: Header=BB11_284 Depth=1
	v_readfirstlane_b32 s4, v69
	s_waitcnt vmcnt(0)
	v_mov_b32_e32 v4, 0
	v_mov_b32_e32 v5, 0
	v_cmp_eq_u32_e64 s4, s4, v69
	s_and_saveexec_b32 s5, s4
	s_cbranch_execz .LBB11_339
; %bb.334:                              ;   in Loop: Header=BB11_284 Depth=1
	global_load_dwordx2 v[27:28], v6, s[40:41] offset:24 glc dlc
	s_waitcnt vmcnt(0)
	buffer_gl1_inv
	buffer_gl0_inv
	s_clause 0x1
	global_load_dwordx2 v[4:5], v6, s[40:41] offset:40
	global_load_dwordx2 v[9:10], v6, s[40:41]
	s_mov_b32 s18, exec_lo
	s_waitcnt vmcnt(1)
	v_and_b32_e32 v5, v5, v28
	v_and_b32_e32 v4, v4, v27
	v_mul_lo_u32 v5, v5, 24
	v_mul_hi_u32 v25, v4, 24
	v_mul_lo_u32 v4, v4, 24
	v_add_nc_u32_e32 v5, v25, v5
	s_waitcnt vmcnt(0)
	v_add_co_u32 v4, vcc_lo, v9, v4
	v_add_co_ci_u32_e32 v5, vcc_lo, v10, v5, vcc_lo
	global_load_dwordx2 v[25:26], v[4:5], off glc dlc
	s_waitcnt vmcnt(0)
	global_atomic_cmpswap_x2 v[4:5], v6, v[25:28], s[40:41] offset:24 glc
	s_waitcnt vmcnt(0)
	buffer_gl1_inv
	buffer_gl0_inv
	v_cmpx_ne_u64_e64 v[4:5], v[27:28]
	s_cbranch_execz .LBB11_338
; %bb.335:                              ;   in Loop: Header=BB11_284 Depth=1
	s_mov_b32 s19, 0
	.p2align	6
.LBB11_336:                             ;   Parent Loop BB11_284 Depth=1
                                        ; =>  This Inner Loop Header: Depth=2
	s_sleep 1
	s_clause 0x1
	global_load_dwordx2 v[9:10], v6, s[40:41] offset:40
	global_load_dwordx2 v[25:26], v6, s[40:41]
	v_mov_b32_e32 v28, v5
	v_mov_b32_e32 v27, v4
	s_waitcnt vmcnt(1)
	v_and_b32_e32 v4, v9, v27
	v_and_b32_e32 v9, v10, v28
	s_waitcnt vmcnt(0)
	v_mad_u64_u32 v[4:5], null, v4, 24, v[25:26]
	v_mad_u64_u32 v[9:10], null, v9, 24, v[5:6]
	v_mov_b32_e32 v5, v9
	global_load_dwordx2 v[25:26], v[4:5], off glc dlc
	s_waitcnt vmcnt(0)
	global_atomic_cmpswap_x2 v[4:5], v6, v[25:28], s[40:41] offset:24 glc
	s_waitcnt vmcnt(0)
	buffer_gl1_inv
	buffer_gl0_inv
	v_cmp_eq_u64_e32 vcc_lo, v[4:5], v[27:28]
	s_or_b32 s19, vcc_lo, s19
	s_andn2_b32 exec_lo, exec_lo, s19
	s_cbranch_execnz .LBB11_336
; %bb.337:                              ;   in Loop: Header=BB11_284 Depth=1
	s_or_b32 exec_lo, exec_lo, s19
.LBB11_338:                             ;   in Loop: Header=BB11_284 Depth=1
	s_or_b32 exec_lo, exec_lo, s18
.LBB11_339:                             ;   in Loop: Header=BB11_284 Depth=1
	s_or_b32 exec_lo, exec_lo, s5
	s_clause 0x1
	global_load_dwordx2 v[9:10], v6, s[40:41] offset:40
	global_load_dwordx4 v[25:28], v6, s[40:41]
	v_readfirstlane_b32 s18, v4
	v_readfirstlane_b32 s19, v5
	s_mov_b32 s5, exec_lo
	s_waitcnt vmcnt(1)
	v_readfirstlane_b32 s20, v9
	v_readfirstlane_b32 s21, v10
	s_and_b64 s[20:21], s[18:19], s[20:21]
	s_mul_i32 s22, s21, 24
	s_mul_hi_u32 s23, s20, 24
	s_mul_i32 s24, s20, 24
	s_add_i32 s23, s23, s22
	s_waitcnt vmcnt(0)
	v_add_co_u32 v29, vcc_lo, v25, s24
	v_add_co_ci_u32_e32 v30, vcc_lo, s23, v26, vcc_lo
	s_and_saveexec_b32 s22, s4
	s_cbranch_execz .LBB11_341
; %bb.340:                              ;   in Loop: Header=BB11_284 Depth=1
	v_mov_b32_e32 v5, s5
	global_store_dwordx4 v[29:30], v[5:8], off offset:8
.LBB11_341:                             ;   in Loop: Header=BB11_284 Depth=1
	s_or_b32 exec_lo, exec_lo, s22
	s_lshl_b64 s[20:21], s[20:21], 12
	v_cmp_gt_u64_e64 vcc_lo, s[10:11], 56
	v_or_b32_e32 v5, v2, v31
	v_add_co_u32 v27, s5, v27, s20
	v_add_co_ci_u32_e64 v28, s5, s21, v28, s5
	s_lshl_b32 s5, s16, 2
	v_or_b32_e32 v4, 0, v3
	v_cndmask_b32_e32 v2, v5, v2, vcc_lo
	s_add_i32 s5, s5, 28
	v_readfirstlane_b32 s20, v27
	s_and_b32 s5, s5, 0x1e0
	v_cndmask_b32_e32 v10, v4, v3, vcc_lo
	v_readfirstlane_b32 s21, v28
	v_and_or_b32 v9, 0xffffff1f, v2, s5
	global_store_dwordx4 v68, v[9:12], s[20:21]
	global_store_dwordx4 v68, v[13:16], s[20:21] offset:16
	global_store_dwordx4 v68, v[17:20], s[20:21] offset:32
	;; [unrolled: 1-line block ×3, first 2 shown]
	s_and_saveexec_b32 s5, s4
	s_cbranch_execz .LBB11_349
; %bb.342:                              ;   in Loop: Header=BB11_284 Depth=1
	s_clause 0x1
	global_load_dwordx2 v[13:14], v6, s[40:41] offset:32 glc dlc
	global_load_dwordx2 v[2:3], v6, s[40:41] offset:40
	v_mov_b32_e32 v11, s18
	v_mov_b32_e32 v12, s19
	s_waitcnt vmcnt(0)
	v_readfirstlane_b32 s20, v2
	v_readfirstlane_b32 s21, v3
	s_and_b64 s[20:21], s[20:21], s[18:19]
	s_mul_i32 s21, s21, 24
	s_mul_hi_u32 s22, s20, 24
	s_mul_i32 s20, s20, 24
	s_add_i32 s22, s22, s21
	v_add_co_u32 v9, vcc_lo, v25, s20
	v_add_co_ci_u32_e32 v10, vcc_lo, s22, v26, vcc_lo
	s_mov_b32 s20, exec_lo
	global_store_dwordx2 v[9:10], v[13:14], off
	s_waitcnt_vscnt null, 0x0
	global_atomic_cmpswap_x2 v[4:5], v6, v[11:14], s[40:41] offset:32 glc
	s_waitcnt vmcnt(0)
	v_cmpx_ne_u64_e64 v[4:5], v[13:14]
	s_cbranch_execz .LBB11_345
; %bb.343:                              ;   in Loop: Header=BB11_284 Depth=1
	s_mov_b32 s21, 0
.LBB11_344:                             ;   Parent Loop BB11_284 Depth=1
                                        ; =>  This Inner Loop Header: Depth=2
	v_mov_b32_e32 v2, s18
	v_mov_b32_e32 v3, s19
	s_sleep 1
	global_store_dwordx2 v[9:10], v[4:5], off
	s_waitcnt_vscnt null, 0x0
	global_atomic_cmpswap_x2 v[2:3], v6, v[2:5], s[40:41] offset:32 glc
	s_waitcnt vmcnt(0)
	v_cmp_eq_u64_e32 vcc_lo, v[2:3], v[4:5]
	v_mov_b32_e32 v5, v3
	v_mov_b32_e32 v4, v2
	s_or_b32 s21, vcc_lo, s21
	s_andn2_b32 exec_lo, exec_lo, s21
	s_cbranch_execnz .LBB11_344
.LBB11_345:                             ;   in Loop: Header=BB11_284 Depth=1
	s_or_b32 exec_lo, exec_lo, s20
	global_load_dwordx2 v[2:3], v6, s[40:41] offset:16
	s_mov_b32 s21, exec_lo
	s_mov_b32 s20, exec_lo
	v_mbcnt_lo_u32_b32 v4, s21, 0
	v_cmpx_eq_u32_e32 0, v4
	s_cbranch_execz .LBB11_347
; %bb.346:                              ;   in Loop: Header=BB11_284 Depth=1
	s_bcnt1_i32_b32 s21, s21
	v_mov_b32_e32 v5, s21
	s_waitcnt vmcnt(0)
	global_atomic_add_x2 v[2:3], v[5:6], off offset:8
.LBB11_347:                             ;   in Loop: Header=BB11_284 Depth=1
	s_or_b32 exec_lo, exec_lo, s20
	s_waitcnt vmcnt(0)
	global_load_dwordx2 v[9:10], v[2:3], off offset:16
	s_waitcnt vmcnt(0)
	v_cmp_eq_u64_e32 vcc_lo, 0, v[9:10]
	s_cbranch_vccnz .LBB11_349
; %bb.348:                              ;   in Loop: Header=BB11_284 Depth=1
	global_load_dword v5, v[2:3], off offset:24
	s_waitcnt vmcnt(0)
	v_and_b32_e32 v2, 0x7fffff, v5
	s_waitcnt_vscnt null, 0x0
	global_store_dwordx2 v[9:10], v[5:6], off
	v_readfirstlane_b32 m0, v2
	s_sendmsg sendmsg(MSG_INTERRUPT)
.LBB11_349:                             ;   in Loop: Header=BB11_284 Depth=1
	s_or_b32 exec_lo, exec_lo, s5
	v_add_co_u32 v2, vcc_lo, v27, v68
	v_add_co_ci_u32_e32 v3, vcc_lo, 0, v28, vcc_lo
	s_branch .LBB11_353
	.p2align	6
.LBB11_350:                             ;   in Loop: Header=BB11_353 Depth=2
	s_or_b32 exec_lo, exec_lo, s5
	v_readfirstlane_b32 s5, v4
	s_cmp_eq_u32 s5, 0
	s_cbranch_scc1 .LBB11_352
; %bb.351:                              ;   in Loop: Header=BB11_353 Depth=2
	s_sleep 1
	s_cbranch_execnz .LBB11_353
	s_branch .LBB11_355
	.p2align	6
.LBB11_352:                             ;   in Loop: Header=BB11_284 Depth=1
	s_branch .LBB11_355
.LBB11_353:                             ;   Parent Loop BB11_284 Depth=1
                                        ; =>  This Inner Loop Header: Depth=2
	v_mov_b32_e32 v4, 1
	s_and_saveexec_b32 s5, s4
	s_cbranch_execz .LBB11_350
; %bb.354:                              ;   in Loop: Header=BB11_353 Depth=2
	global_load_dword v4, v[29:30], off offset:20 glc dlc
	s_waitcnt vmcnt(0)
	buffer_gl1_inv
	buffer_gl0_inv
	v_and_b32_e32 v4, 1, v4
	s_branch .LBB11_350
.LBB11_355:                             ;   in Loop: Header=BB11_284 Depth=1
	global_load_dwordx4 v[2:5], v[2:3], off
	s_and_saveexec_b32 s5, s4
	s_cbranch_execz .LBB11_283
; %bb.356:                              ;   in Loop: Header=BB11_284 Depth=1
	s_clause 0x2
	global_load_dwordx2 v[4:5], v6, s[40:41] offset:40
	global_load_dwordx2 v[13:14], v6, s[40:41] offset:24 glc dlc
	global_load_dwordx2 v[11:12], v6, s[40:41]
	s_waitcnt vmcnt(2)
	v_add_co_u32 v15, vcc_lo, v4, 1
	v_add_co_ci_u32_e32 v16, vcc_lo, 0, v5, vcc_lo
	v_add_co_u32 v9, vcc_lo, v15, s18
	v_add_co_ci_u32_e32 v10, vcc_lo, s19, v16, vcc_lo
	v_cmp_eq_u64_e32 vcc_lo, 0, v[9:10]
	v_cndmask_b32_e32 v10, v10, v16, vcc_lo
	v_cndmask_b32_e32 v9, v9, v15, vcc_lo
	v_and_b32_e32 v5, v10, v5
	v_and_b32_e32 v4, v9, v4
	v_mul_lo_u32 v5, v5, 24
	v_mul_hi_u32 v15, v4, 24
	v_mul_lo_u32 v4, v4, 24
	v_add_nc_u32_e32 v5, v15, v5
	s_waitcnt vmcnt(0)
	v_add_co_u32 v4, vcc_lo, v11, v4
	v_mov_b32_e32 v11, v13
	v_add_co_ci_u32_e32 v5, vcc_lo, v12, v5, vcc_lo
	v_mov_b32_e32 v12, v14
	global_store_dwordx2 v[4:5], v[13:14], off
	s_waitcnt_vscnt null, 0x0
	global_atomic_cmpswap_x2 v[11:12], v6, v[9:12], s[40:41] offset:24 glc
	s_waitcnt vmcnt(0)
	v_cmp_ne_u64_e32 vcc_lo, v[11:12], v[13:14]
	s_and_b32 exec_lo, exec_lo, vcc_lo
	s_cbranch_execz .LBB11_283
; %bb.357:                              ;   in Loop: Header=BB11_284 Depth=1
	s_mov_b32 s4, 0
.LBB11_358:                             ;   Parent Loop BB11_284 Depth=1
                                        ; =>  This Inner Loop Header: Depth=2
	s_sleep 1
	global_store_dwordx2 v[4:5], v[11:12], off
	s_waitcnt_vscnt null, 0x0
	global_atomic_cmpswap_x2 v[13:14], v6, v[9:12], s[40:41] offset:24 glc
	s_waitcnt vmcnt(0)
	v_cmp_eq_u64_e32 vcc_lo, v[13:14], v[11:12]
	v_mov_b32_e32 v11, v13
	v_mov_b32_e32 v12, v14
	s_or_b32 s4, vcc_lo, s4
	s_andn2_b32 exec_lo, exec_lo, s4
	s_cbranch_execnz .LBB11_358
	s_branch .LBB11_283
.LBB11_359:
	s_branch .LBB11_388
.LBB11_360:
                                        ; implicit-def: $vgpr2_vgpr3
	s_cbranch_execz .LBB11_388
; %bb.361:
	v_readfirstlane_b32 s4, v69
	v_mov_b32_e32 v8, 0
	v_mov_b32_e32 v9, 0
	v_cmp_eq_u32_e64 s4, s4, v69
	s_and_saveexec_b32 s5, s4
	s_cbranch_execz .LBB11_367
; %bb.362:
	s_waitcnt vmcnt(0)
	v_mov_b32_e32 v2, 0
	s_mov_b32 s6, exec_lo
	global_load_dwordx2 v[5:6], v2, s[40:41] offset:24 glc dlc
	s_waitcnt vmcnt(0)
	buffer_gl1_inv
	buffer_gl0_inv
	s_clause 0x1
	global_load_dwordx2 v[3:4], v2, s[40:41] offset:40
	global_load_dwordx2 v[7:8], v2, s[40:41]
	s_waitcnt vmcnt(1)
	v_and_b32_e32 v4, v4, v6
	v_and_b32_e32 v3, v3, v5
	v_mul_lo_u32 v4, v4, 24
	v_mul_hi_u32 v9, v3, 24
	v_mul_lo_u32 v3, v3, 24
	v_add_nc_u32_e32 v4, v9, v4
	s_waitcnt vmcnt(0)
	v_add_co_u32 v3, vcc_lo, v7, v3
	v_add_co_ci_u32_e32 v4, vcc_lo, v8, v4, vcc_lo
	global_load_dwordx2 v[3:4], v[3:4], off glc dlc
	s_waitcnt vmcnt(0)
	global_atomic_cmpswap_x2 v[8:9], v2, v[3:6], s[40:41] offset:24 glc
	s_waitcnt vmcnt(0)
	buffer_gl1_inv
	buffer_gl0_inv
	v_cmpx_ne_u64_e64 v[8:9], v[5:6]
	s_cbranch_execz .LBB11_366
; %bb.363:
	s_mov_b32 s7, 0
	.p2align	6
.LBB11_364:                             ; =>This Inner Loop Header: Depth=1
	s_sleep 1
	s_clause 0x1
	global_load_dwordx2 v[3:4], v2, s[40:41] offset:40
	global_load_dwordx2 v[10:11], v2, s[40:41]
	v_mov_b32_e32 v5, v8
	v_mov_b32_e32 v6, v9
	s_waitcnt vmcnt(1)
	v_and_b32_e32 v3, v3, v5
	v_and_b32_e32 v4, v4, v6
	s_waitcnt vmcnt(0)
	v_mad_u64_u32 v[7:8], null, v3, 24, v[10:11]
	v_mov_b32_e32 v3, v8
	v_mad_u64_u32 v[3:4], null, v4, 24, v[3:4]
	v_mov_b32_e32 v8, v3
	global_load_dwordx2 v[3:4], v[7:8], off glc dlc
	s_waitcnt vmcnt(0)
	global_atomic_cmpswap_x2 v[8:9], v2, v[3:6], s[40:41] offset:24 glc
	s_waitcnt vmcnt(0)
	buffer_gl1_inv
	buffer_gl0_inv
	v_cmp_eq_u64_e32 vcc_lo, v[8:9], v[5:6]
	s_or_b32 s7, vcc_lo, s7
	s_andn2_b32 exec_lo, exec_lo, s7
	s_cbranch_execnz .LBB11_364
; %bb.365:
	s_or_b32 exec_lo, exec_lo, s7
.LBB11_366:
	s_or_b32 exec_lo, exec_lo, s6
.LBB11_367:
	s_or_b32 exec_lo, exec_lo, s5
	s_waitcnt vmcnt(0)
	v_mov_b32_e32 v2, 0
	v_readfirstlane_b32 s6, v8
	v_readfirstlane_b32 s7, v9
	s_mov_b32 s5, exec_lo
	s_clause 0x1
	global_load_dwordx2 v[10:11], v2, s[40:41] offset:40
	global_load_dwordx4 v[4:7], v2, s[40:41]
	s_waitcnt vmcnt(1)
	v_readfirstlane_b32 s10, v10
	v_readfirstlane_b32 s11, v11
	s_and_b64 s[10:11], s[6:7], s[10:11]
	s_mul_i32 s16, s11, 24
	s_mul_hi_u32 s17, s10, 24
	s_mul_i32 s18, s10, 24
	s_add_i32 s17, s17, s16
	s_waitcnt vmcnt(0)
	v_add_co_u32 v8, vcc_lo, v4, s18
	v_add_co_ci_u32_e32 v9, vcc_lo, s17, v5, vcc_lo
	s_and_saveexec_b32 s16, s4
	s_cbranch_execz .LBB11_369
; %bb.368:
	v_mov_b32_e32 v10, s5
	v_mov_b32_e32 v11, v2
	;; [unrolled: 1-line block ×4, first 2 shown]
	global_store_dwordx4 v[8:9], v[10:13], off offset:8
.LBB11_369:
	s_or_b32 exec_lo, exec_lo, s16
	s_lshl_b64 s[10:11], s[10:11], 12
	s_mov_b32 s16, 0
	v_add_co_u32 v6, vcc_lo, v6, s10
	v_add_co_ci_u32_e32 v7, vcc_lo, s11, v7, vcc_lo
	s_mov_b32 s17, s16
	v_readfirstlane_b32 s10, v6
	v_add_co_u32 v6, vcc_lo, v6, v68
	s_mov_b32 s18, s16
	s_mov_b32 s19, s16
	v_and_or_b32 v0, 0xffffff1f, v0, 32
	v_mov_b32_e32 v3, v2
	v_readfirstlane_b32 s11, v7
	v_mov_b32_e32 v10, s16
	v_add_co_ci_u32_e32 v7, vcc_lo, 0, v7, vcc_lo
	v_mov_b32_e32 v11, s17
	v_mov_b32_e32 v12, s18
	;; [unrolled: 1-line block ×3, first 2 shown]
	global_store_dwordx4 v68, v[0:3], s[10:11]
	global_store_dwordx4 v68, v[10:13], s[10:11] offset:16
	global_store_dwordx4 v68, v[10:13], s[10:11] offset:32
	global_store_dwordx4 v68, v[10:13], s[10:11] offset:48
	s_and_saveexec_b32 s5, s4
	s_cbranch_execz .LBB11_377
; %bb.370:
	v_mov_b32_e32 v10, 0
	v_mov_b32_e32 v11, s6
	;; [unrolled: 1-line block ×3, first 2 shown]
	s_clause 0x1
	global_load_dwordx2 v[13:14], v10, s[40:41] offset:32 glc dlc
	global_load_dwordx2 v[0:1], v10, s[40:41] offset:40
	s_waitcnt vmcnt(0)
	v_readfirstlane_b32 s10, v0
	v_readfirstlane_b32 s11, v1
	s_and_b64 s[10:11], s[10:11], s[6:7]
	s_mul_i32 s11, s11, 24
	s_mul_hi_u32 s16, s10, 24
	s_mul_i32 s10, s10, 24
	s_add_i32 s16, s16, s11
	v_add_co_u32 v4, vcc_lo, v4, s10
	v_add_co_ci_u32_e32 v5, vcc_lo, s16, v5, vcc_lo
	s_mov_b32 s10, exec_lo
	global_store_dwordx2 v[4:5], v[13:14], off
	s_waitcnt_vscnt null, 0x0
	global_atomic_cmpswap_x2 v[2:3], v10, v[11:14], s[40:41] offset:32 glc
	s_waitcnt vmcnt(0)
	v_cmpx_ne_u64_e64 v[2:3], v[13:14]
	s_cbranch_execz .LBB11_373
; %bb.371:
	s_mov_b32 s11, 0
.LBB11_372:                             ; =>This Inner Loop Header: Depth=1
	v_mov_b32_e32 v0, s6
	v_mov_b32_e32 v1, s7
	s_sleep 1
	global_store_dwordx2 v[4:5], v[2:3], off
	s_waitcnt_vscnt null, 0x0
	global_atomic_cmpswap_x2 v[0:1], v10, v[0:3], s[40:41] offset:32 glc
	s_waitcnt vmcnt(0)
	v_cmp_eq_u64_e32 vcc_lo, v[0:1], v[2:3]
	v_mov_b32_e32 v3, v1
	v_mov_b32_e32 v2, v0
	s_or_b32 s11, vcc_lo, s11
	s_andn2_b32 exec_lo, exec_lo, s11
	s_cbranch_execnz .LBB11_372
.LBB11_373:
	s_or_b32 exec_lo, exec_lo, s10
	v_mov_b32_e32 v3, 0
	s_mov_b32 s11, exec_lo
	s_mov_b32 s10, exec_lo
	v_mbcnt_lo_u32_b32 v2, s11, 0
	global_load_dwordx2 v[0:1], v3, s[40:41] offset:16
	v_cmpx_eq_u32_e32 0, v2
	s_cbranch_execz .LBB11_375
; %bb.374:
	s_bcnt1_i32_b32 s11, s11
	v_mov_b32_e32 v2, s11
	s_waitcnt vmcnt(0)
	global_atomic_add_x2 v[0:1], v[2:3], off offset:8
.LBB11_375:
	s_or_b32 exec_lo, exec_lo, s10
	s_waitcnt vmcnt(0)
	global_load_dwordx2 v[2:3], v[0:1], off offset:16
	s_waitcnt vmcnt(0)
	v_cmp_eq_u64_e32 vcc_lo, 0, v[2:3]
	s_cbranch_vccnz .LBB11_377
; %bb.376:
	global_load_dword v0, v[0:1], off offset:24
	v_mov_b32_e32 v1, 0
	s_waitcnt vmcnt(0)
	v_and_b32_e32 v4, 0x7fffff, v0
	s_waitcnt_vscnt null, 0x0
	global_store_dwordx2 v[2:3], v[0:1], off
	v_readfirstlane_b32 m0, v4
	s_sendmsg sendmsg(MSG_INTERRUPT)
.LBB11_377:
	s_or_b32 exec_lo, exec_lo, s5
	s_branch .LBB11_381
	.p2align	6
.LBB11_378:                             ;   in Loop: Header=BB11_381 Depth=1
	s_or_b32 exec_lo, exec_lo, s5
	v_readfirstlane_b32 s5, v0
	s_cmp_eq_u32 s5, 0
	s_cbranch_scc1 .LBB11_380
; %bb.379:                              ;   in Loop: Header=BB11_381 Depth=1
	s_sleep 1
	s_cbranch_execnz .LBB11_381
	s_branch .LBB11_383
	.p2align	6
.LBB11_380:
	s_branch .LBB11_383
.LBB11_381:                             ; =>This Inner Loop Header: Depth=1
	v_mov_b32_e32 v0, 1
	s_and_saveexec_b32 s5, s4
	s_cbranch_execz .LBB11_378
; %bb.382:                              ;   in Loop: Header=BB11_381 Depth=1
	global_load_dword v0, v[8:9], off offset:20 glc dlc
	s_waitcnt vmcnt(0)
	buffer_gl1_inv
	buffer_gl0_inv
	v_and_b32_e32 v0, 1, v0
	s_branch .LBB11_378
.LBB11_383:
	global_load_dwordx2 v[2:3], v[6:7], off
	s_and_saveexec_b32 s5, s4
	s_cbranch_execz .LBB11_387
; %bb.384:
	v_mov_b32_e32 v8, 0
	s_clause 0x2
	global_load_dwordx2 v[0:1], v8, s[40:41] offset:40
	global_load_dwordx2 v[9:10], v8, s[40:41] offset:24 glc dlc
	global_load_dwordx2 v[6:7], v8, s[40:41]
	s_waitcnt vmcnt(2)
	v_add_co_u32 v11, vcc_lo, v0, 1
	v_add_co_ci_u32_e32 v12, vcc_lo, 0, v1, vcc_lo
	v_add_co_u32 v4, vcc_lo, v11, s6
	v_add_co_ci_u32_e32 v5, vcc_lo, s7, v12, vcc_lo
	v_cmp_eq_u64_e32 vcc_lo, 0, v[4:5]
	v_cndmask_b32_e32 v5, v5, v12, vcc_lo
	v_cndmask_b32_e32 v4, v4, v11, vcc_lo
	v_and_b32_e32 v1, v5, v1
	v_and_b32_e32 v0, v4, v0
	v_mul_lo_u32 v1, v1, 24
	v_mul_hi_u32 v11, v0, 24
	v_mul_lo_u32 v0, v0, 24
	v_add_nc_u32_e32 v1, v11, v1
	s_waitcnt vmcnt(0)
	v_add_co_u32 v0, vcc_lo, v6, v0
	v_mov_b32_e32 v6, v9
	v_add_co_ci_u32_e32 v1, vcc_lo, v7, v1, vcc_lo
	v_mov_b32_e32 v7, v10
	global_store_dwordx2 v[0:1], v[9:10], off
	s_waitcnt_vscnt null, 0x0
	global_atomic_cmpswap_x2 v[6:7], v8, v[4:7], s[40:41] offset:24 glc
	s_waitcnt vmcnt(0)
	v_cmp_ne_u64_e32 vcc_lo, v[6:7], v[9:10]
	s_and_b32 exec_lo, exec_lo, vcc_lo
	s_cbranch_execz .LBB11_387
; %bb.385:
	s_mov_b32 s4, 0
.LBB11_386:                             ; =>This Inner Loop Header: Depth=1
	s_sleep 1
	global_store_dwordx2 v[0:1], v[6:7], off
	s_waitcnt_vscnt null, 0x0
	global_atomic_cmpswap_x2 v[9:10], v8, v[4:7], s[40:41] offset:24 glc
	s_waitcnt vmcnt(0)
	v_cmp_eq_u64_e32 vcc_lo, v[9:10], v[6:7]
	v_mov_b32_e32 v6, v9
	v_mov_b32_e32 v7, v10
	s_or_b32 s4, vcc_lo, s4
	s_andn2_b32 exec_lo, exec_lo, s4
	s_cbranch_execnz .LBB11_386
.LBB11_387:
	s_or_b32 exec_lo, exec_lo, s5
.LBB11_388:
	v_readfirstlane_b32 s4, v69
	s_waitcnt vmcnt(0)
	v_mov_b32_e32 v0, 0
	v_mov_b32_e32 v1, 0
	v_cmp_eq_u32_e64 s4, s4, v69
	s_and_saveexec_b32 s5, s4
	s_cbranch_execz .LBB11_394
; %bb.389:
	v_mov_b32_e32 v4, 0
	s_mov_b32 s6, exec_lo
	global_load_dwordx2 v[7:8], v4, s[40:41] offset:24 glc dlc
	s_waitcnt vmcnt(0)
	buffer_gl1_inv
	buffer_gl0_inv
	s_clause 0x1
	global_load_dwordx2 v[0:1], v4, s[40:41] offset:40
	global_load_dwordx2 v[5:6], v4, s[40:41]
	s_waitcnt vmcnt(1)
	v_and_b32_e32 v1, v1, v8
	v_and_b32_e32 v0, v0, v7
	v_mul_lo_u32 v1, v1, 24
	v_mul_hi_u32 v9, v0, 24
	v_mul_lo_u32 v0, v0, 24
	v_add_nc_u32_e32 v1, v9, v1
	s_waitcnt vmcnt(0)
	v_add_co_u32 v0, vcc_lo, v5, v0
	v_add_co_ci_u32_e32 v1, vcc_lo, v6, v1, vcc_lo
	global_load_dwordx2 v[5:6], v[0:1], off glc dlc
	s_waitcnt vmcnt(0)
	global_atomic_cmpswap_x2 v[0:1], v4, v[5:8], s[40:41] offset:24 glc
	s_waitcnt vmcnt(0)
	buffer_gl1_inv
	buffer_gl0_inv
	v_cmpx_ne_u64_e64 v[0:1], v[7:8]
	s_cbranch_execz .LBB11_393
; %bb.390:
	s_mov_b32 s7, 0
	.p2align	6
.LBB11_391:                             ; =>This Inner Loop Header: Depth=1
	s_sleep 1
	s_clause 0x1
	global_load_dwordx2 v[5:6], v4, s[40:41] offset:40
	global_load_dwordx2 v[9:10], v4, s[40:41]
	v_mov_b32_e32 v8, v1
	v_mov_b32_e32 v7, v0
	s_waitcnt vmcnt(1)
	v_and_b32_e32 v0, v5, v7
	v_and_b32_e32 v5, v6, v8
	s_waitcnt vmcnt(0)
	v_mad_u64_u32 v[0:1], null, v0, 24, v[9:10]
	v_mad_u64_u32 v[5:6], null, v5, 24, v[1:2]
	v_mov_b32_e32 v1, v5
	global_load_dwordx2 v[5:6], v[0:1], off glc dlc
	s_waitcnt vmcnt(0)
	global_atomic_cmpswap_x2 v[0:1], v4, v[5:8], s[40:41] offset:24 glc
	s_waitcnt vmcnt(0)
	buffer_gl1_inv
	buffer_gl0_inv
	v_cmp_eq_u64_e32 vcc_lo, v[0:1], v[7:8]
	s_or_b32 s7, vcc_lo, s7
	s_andn2_b32 exec_lo, exec_lo, s7
	s_cbranch_execnz .LBB11_391
; %bb.392:
	s_or_b32 exec_lo, exec_lo, s7
.LBB11_393:
	s_or_b32 exec_lo, exec_lo, s6
.LBB11_394:
	s_or_b32 exec_lo, exec_lo, s5
	v_mov_b32_e32 v5, 0
	v_readfirstlane_b32 s6, v0
	v_readfirstlane_b32 s7, v1
	s_mov_b32 s5, exec_lo
	s_clause 0x1
	global_load_dwordx2 v[10:11], v5, s[40:41] offset:40
	global_load_dwordx4 v[6:9], v5, s[40:41]
	s_waitcnt vmcnt(1)
	v_readfirstlane_b32 s10, v10
	v_readfirstlane_b32 s11, v11
	s_and_b64 s[10:11], s[6:7], s[10:11]
	s_mul_i32 s16, s11, 24
	s_mul_hi_u32 s17, s10, 24
	s_mul_i32 s18, s10, 24
	s_add_i32 s17, s17, s16
	s_waitcnt vmcnt(0)
	v_add_co_u32 v10, vcc_lo, v6, s18
	v_add_co_ci_u32_e32 v11, vcc_lo, s17, v7, vcc_lo
	s_and_saveexec_b32 s16, s4
	s_cbranch_execz .LBB11_396
; %bb.395:
	v_mov_b32_e32 v4, s5
	v_mov_b32_e32 v13, v5
	;; [unrolled: 1-line block ×5, first 2 shown]
	global_store_dwordx4 v[10:11], v[12:15], off offset:8
.LBB11_396:
	s_or_b32 exec_lo, exec_lo, s16
	s_lshl_b64 s[10:11], s[10:11], 12
	s_mov_b32 s16, 0
	v_add_co_u32 v0, vcc_lo, v8, s10
	v_add_co_ci_u32_e32 v1, vcc_lo, s11, v9, vcc_lo
	s_mov_b32 s17, s16
	s_mov_b32 s18, s16
	;; [unrolled: 1-line block ×3, first 2 shown]
	v_and_or_b32 v2, 0xffffff1d, v2, 34
	v_mov_b32_e32 v4, 10
	v_readfirstlane_b32 s10, v0
	v_readfirstlane_b32 s11, v1
	v_mov_b32_e32 v12, s16
	v_mov_b32_e32 v13, s17
	;; [unrolled: 1-line block ×4, first 2 shown]
	global_store_dwordx4 v68, v[2:5], s[10:11]
	global_store_dwordx4 v68, v[12:15], s[10:11] offset:16
	global_store_dwordx4 v68, v[12:15], s[10:11] offset:32
	;; [unrolled: 1-line block ×3, first 2 shown]
	s_and_saveexec_b32 s5, s4
	s_cbranch_execz .LBB11_404
; %bb.397:
	v_mov_b32_e32 v8, 0
	v_mov_b32_e32 v12, s6
	;; [unrolled: 1-line block ×3, first 2 shown]
	s_clause 0x1
	global_load_dwordx2 v[14:15], v8, s[40:41] offset:32 glc dlc
	global_load_dwordx2 v[0:1], v8, s[40:41] offset:40
	s_waitcnt vmcnt(0)
	v_readfirstlane_b32 s10, v0
	v_readfirstlane_b32 s11, v1
	s_and_b64 s[10:11], s[10:11], s[6:7]
	s_mul_i32 s11, s11, 24
	s_mul_hi_u32 s16, s10, 24
	s_mul_i32 s10, s10, 24
	s_add_i32 s16, s16, s11
	v_add_co_u32 v4, vcc_lo, v6, s10
	v_add_co_ci_u32_e32 v5, vcc_lo, s16, v7, vcc_lo
	s_mov_b32 s10, exec_lo
	global_store_dwordx2 v[4:5], v[14:15], off
	s_waitcnt_vscnt null, 0x0
	global_atomic_cmpswap_x2 v[2:3], v8, v[12:15], s[40:41] offset:32 glc
	s_waitcnt vmcnt(0)
	v_cmpx_ne_u64_e64 v[2:3], v[14:15]
	s_cbranch_execz .LBB11_400
; %bb.398:
	s_mov_b32 s11, 0
.LBB11_399:                             ; =>This Inner Loop Header: Depth=1
	v_mov_b32_e32 v0, s6
	v_mov_b32_e32 v1, s7
	s_sleep 1
	global_store_dwordx2 v[4:5], v[2:3], off
	s_waitcnt_vscnt null, 0x0
	global_atomic_cmpswap_x2 v[0:1], v8, v[0:3], s[40:41] offset:32 glc
	s_waitcnt vmcnt(0)
	v_cmp_eq_u64_e32 vcc_lo, v[0:1], v[2:3]
	v_mov_b32_e32 v3, v1
	v_mov_b32_e32 v2, v0
	s_or_b32 s11, vcc_lo, s11
	s_andn2_b32 exec_lo, exec_lo, s11
	s_cbranch_execnz .LBB11_399
.LBB11_400:
	s_or_b32 exec_lo, exec_lo, s10
	v_mov_b32_e32 v3, 0
	s_mov_b32 s11, exec_lo
	s_mov_b32 s10, exec_lo
	v_mbcnt_lo_u32_b32 v2, s11, 0
	global_load_dwordx2 v[0:1], v3, s[40:41] offset:16
	v_cmpx_eq_u32_e32 0, v2
	s_cbranch_execz .LBB11_402
; %bb.401:
	s_bcnt1_i32_b32 s11, s11
	v_mov_b32_e32 v2, s11
	s_waitcnt vmcnt(0)
	global_atomic_add_x2 v[0:1], v[2:3], off offset:8
.LBB11_402:
	s_or_b32 exec_lo, exec_lo, s10
	s_waitcnt vmcnt(0)
	global_load_dwordx2 v[2:3], v[0:1], off offset:16
	s_waitcnt vmcnt(0)
	v_cmp_eq_u64_e32 vcc_lo, 0, v[2:3]
	s_cbranch_vccnz .LBB11_404
; %bb.403:
	global_load_dword v0, v[0:1], off offset:24
	v_mov_b32_e32 v1, 0
	s_waitcnt vmcnt(0)
	v_and_b32_e32 v4, 0x7fffff, v0
	s_waitcnt_vscnt null, 0x0
	global_store_dwordx2 v[2:3], v[0:1], off
	v_readfirstlane_b32 m0, v4
	s_sendmsg sendmsg(MSG_INTERRUPT)
.LBB11_404:
	s_or_b32 exec_lo, exec_lo, s5
	s_branch .LBB11_408
	.p2align	6
.LBB11_405:                             ;   in Loop: Header=BB11_408 Depth=1
	s_or_b32 exec_lo, exec_lo, s5
	v_readfirstlane_b32 s5, v0
	s_cmp_eq_u32 s5, 0
	s_cbranch_scc1 .LBB11_407
; %bb.406:                              ;   in Loop: Header=BB11_408 Depth=1
	s_sleep 1
	s_cbranch_execnz .LBB11_408
	s_branch .LBB11_410
	.p2align	6
.LBB11_407:
	s_branch .LBB11_410
.LBB11_408:                             ; =>This Inner Loop Header: Depth=1
	v_mov_b32_e32 v0, 1
	s_and_saveexec_b32 s5, s4
	s_cbranch_execz .LBB11_405
; %bb.409:                              ;   in Loop: Header=BB11_408 Depth=1
	global_load_dword v0, v[10:11], off offset:20 glc dlc
	s_waitcnt vmcnt(0)
	buffer_gl1_inv
	buffer_gl0_inv
	v_and_b32_e32 v0, 1, v0
	s_branch .LBB11_405
.LBB11_410:
	s_and_saveexec_b32 s5, s4
	s_cbranch_execz .LBB11_414
; %bb.411:
	v_mov_b32_e32 v6, 0
	s_clause 0x2
	global_load_dwordx2 v[2:3], v6, s[40:41] offset:40
	global_load_dwordx2 v[7:8], v6, s[40:41] offset:24 glc dlc
	global_load_dwordx2 v[4:5], v6, s[40:41]
	s_waitcnt vmcnt(2)
	v_add_co_u32 v9, vcc_lo, v2, 1
	v_add_co_ci_u32_e32 v10, vcc_lo, 0, v3, vcc_lo
	v_add_co_u32 v0, vcc_lo, v9, s6
	v_add_co_ci_u32_e32 v1, vcc_lo, s7, v10, vcc_lo
	v_cmp_eq_u64_e32 vcc_lo, 0, v[0:1]
	v_cndmask_b32_e32 v1, v1, v10, vcc_lo
	v_cndmask_b32_e32 v0, v0, v9, vcc_lo
	v_and_b32_e32 v3, v1, v3
	v_and_b32_e32 v2, v0, v2
	v_mul_lo_u32 v3, v3, 24
	v_mul_hi_u32 v9, v2, 24
	v_mul_lo_u32 v2, v2, 24
	v_add_nc_u32_e32 v3, v9, v3
	s_waitcnt vmcnt(0)
	v_add_co_u32 v4, vcc_lo, v4, v2
	v_mov_b32_e32 v2, v7
	v_add_co_ci_u32_e32 v5, vcc_lo, v5, v3, vcc_lo
	v_mov_b32_e32 v3, v8
	global_store_dwordx2 v[4:5], v[7:8], off
	s_waitcnt_vscnt null, 0x0
	global_atomic_cmpswap_x2 v[2:3], v6, v[0:3], s[40:41] offset:24 glc
	s_waitcnt vmcnt(0)
	v_cmp_ne_u64_e32 vcc_lo, v[2:3], v[7:8]
	s_and_b32 exec_lo, exec_lo, vcc_lo
	s_cbranch_execz .LBB11_414
; %bb.412:
	s_mov_b32 s4, 0
.LBB11_413:                             ; =>This Inner Loop Header: Depth=1
	s_sleep 1
	global_store_dwordx2 v[4:5], v[2:3], off
	s_waitcnt_vscnt null, 0x0
	global_atomic_cmpswap_x2 v[7:8], v6, v[0:3], s[40:41] offset:24 glc
	s_waitcnt vmcnt(0)
	v_cmp_eq_u64_e32 vcc_lo, v[7:8], v[2:3]
	v_mov_b32_e32 v2, v7
	v_mov_b32_e32 v3, v8
	s_or_b32 s4, vcc_lo, s4
	s_andn2_b32 exec_lo, exec_lo, s4
	s_cbranch_execnz .LBB11_413
.LBB11_414:
	s_or_b32 exec_lo, exec_lo, s5
	v_readfirstlane_b32 s4, v69
	v_mov_b32_e32 v6, 0
	v_mov_b32_e32 v7, 0
	v_cmp_eq_u32_e64 s4, s4, v69
	s_and_saveexec_b32 s5, s4
	s_cbranch_execz .LBB11_420
; %bb.415:
	v_mov_b32_e32 v0, 0
	s_mov_b32 s6, exec_lo
	global_load_dwordx2 v[3:4], v0, s[40:41] offset:24 glc dlc
	s_waitcnt vmcnt(0)
	buffer_gl1_inv
	buffer_gl0_inv
	s_clause 0x1
	global_load_dwordx2 v[1:2], v0, s[40:41] offset:40
	global_load_dwordx2 v[5:6], v0, s[40:41]
	s_waitcnt vmcnt(1)
	v_and_b32_e32 v2, v2, v4
	v_and_b32_e32 v1, v1, v3
	v_mul_lo_u32 v2, v2, 24
	v_mul_hi_u32 v7, v1, 24
	v_mul_lo_u32 v1, v1, 24
	v_add_nc_u32_e32 v2, v7, v2
	s_waitcnt vmcnt(0)
	v_add_co_u32 v1, vcc_lo, v5, v1
	v_add_co_ci_u32_e32 v2, vcc_lo, v6, v2, vcc_lo
	global_load_dwordx2 v[1:2], v[1:2], off glc dlc
	s_waitcnt vmcnt(0)
	global_atomic_cmpswap_x2 v[6:7], v0, v[1:4], s[40:41] offset:24 glc
	s_waitcnt vmcnt(0)
	buffer_gl1_inv
	buffer_gl0_inv
	v_cmpx_ne_u64_e64 v[6:7], v[3:4]
	s_cbranch_execz .LBB11_419
; %bb.416:
	s_mov_b32 s7, 0
	.p2align	6
.LBB11_417:                             ; =>This Inner Loop Header: Depth=1
	s_sleep 1
	s_clause 0x1
	global_load_dwordx2 v[1:2], v0, s[40:41] offset:40
	global_load_dwordx2 v[8:9], v0, s[40:41]
	v_mov_b32_e32 v3, v6
	v_mov_b32_e32 v4, v7
	s_waitcnt vmcnt(1)
	v_and_b32_e32 v1, v1, v3
	v_and_b32_e32 v2, v2, v4
	s_waitcnt vmcnt(0)
	v_mad_u64_u32 v[5:6], null, v1, 24, v[8:9]
	v_mov_b32_e32 v1, v6
	v_mad_u64_u32 v[1:2], null, v2, 24, v[1:2]
	v_mov_b32_e32 v6, v1
	global_load_dwordx2 v[1:2], v[5:6], off glc dlc
	s_waitcnt vmcnt(0)
	global_atomic_cmpswap_x2 v[6:7], v0, v[1:4], s[40:41] offset:24 glc
	s_waitcnt vmcnt(0)
	buffer_gl1_inv
	buffer_gl0_inv
	v_cmp_eq_u64_e32 vcc_lo, v[6:7], v[3:4]
	s_or_b32 s7, vcc_lo, s7
	s_andn2_b32 exec_lo, exec_lo, s7
	s_cbranch_execnz .LBB11_417
; %bb.418:
	s_or_b32 exec_lo, exec_lo, s7
.LBB11_419:
	s_or_b32 exec_lo, exec_lo, s6
.LBB11_420:
	s_or_b32 exec_lo, exec_lo, s5
	v_mov_b32_e32 v5, 0
	v_readfirstlane_b32 s6, v6
	v_readfirstlane_b32 s7, v7
	s_mov_b32 s5, exec_lo
	s_clause 0x1
	global_load_dwordx2 v[8:9], v5, s[40:41] offset:40
	global_load_dwordx4 v[0:3], v5, s[40:41]
	s_waitcnt vmcnt(1)
	v_readfirstlane_b32 s10, v8
	v_readfirstlane_b32 s11, v9
	s_and_b64 s[10:11], s[6:7], s[10:11]
	s_mul_i32 s16, s11, 24
	s_mul_hi_u32 s17, s10, 24
	s_mul_i32 s18, s10, 24
	s_add_i32 s17, s17, s16
	s_waitcnt vmcnt(0)
	v_add_co_u32 v8, vcc_lo, v0, s18
	v_add_co_ci_u32_e32 v9, vcc_lo, s17, v1, vcc_lo
	s_and_saveexec_b32 s16, s4
	s_cbranch_execz .LBB11_422
; %bb.421:
	v_mov_b32_e32 v4, s5
	v_mov_b32_e32 v6, 2
	;; [unrolled: 1-line block ×3, first 2 shown]
	global_store_dwordx4 v[8:9], v[4:7], off offset:8
.LBB11_422:
	s_or_b32 exec_lo, exec_lo, s16
	s_lshl_b64 s[10:11], s[10:11], 12
	s_mov_b32 s16, 0
	v_add_co_u32 v2, vcc_lo, v2, s10
	v_add_co_ci_u32_e32 v3, vcc_lo, s11, v3, vcc_lo
	s_mov_b32 s17, s16
	v_add_co_u32 v10, vcc_lo, v2, v68
	s_mov_b32 s18, s16
	s_mov_b32 s19, s16
	v_mov_b32_e32 v4, 33
	v_mov_b32_e32 v6, v5
	;; [unrolled: 1-line block ×3, first 2 shown]
	v_readfirstlane_b32 s10, v2
	v_readfirstlane_b32 s11, v3
	v_mov_b32_e32 v12, s16
	v_add_co_ci_u32_e32 v11, vcc_lo, 0, v3, vcc_lo
	v_mov_b32_e32 v13, s17
	v_mov_b32_e32 v14, s18
	;; [unrolled: 1-line block ×3, first 2 shown]
	global_store_dwordx4 v68, v[4:7], s[10:11]
	global_store_dwordx4 v68, v[12:15], s[10:11] offset:16
	global_store_dwordx4 v68, v[12:15], s[10:11] offset:32
	;; [unrolled: 1-line block ×3, first 2 shown]
	s_and_saveexec_b32 s5, s4
	s_cbranch_execz .LBB11_430
; %bb.423:
	v_mov_b32_e32 v6, 0
	v_mov_b32_e32 v12, s6
	;; [unrolled: 1-line block ×3, first 2 shown]
	s_clause 0x1
	global_load_dwordx2 v[14:15], v6, s[40:41] offset:32 glc dlc
	global_load_dwordx2 v[2:3], v6, s[40:41] offset:40
	s_waitcnt vmcnt(0)
	v_readfirstlane_b32 s10, v2
	v_readfirstlane_b32 s11, v3
	s_and_b64 s[10:11], s[10:11], s[6:7]
	s_mul_i32 s11, s11, 24
	s_mul_hi_u32 s16, s10, 24
	s_mul_i32 s10, s10, 24
	s_add_i32 s16, s16, s11
	v_add_co_u32 v4, vcc_lo, v0, s10
	v_add_co_ci_u32_e32 v5, vcc_lo, s16, v1, vcc_lo
	s_mov_b32 s10, exec_lo
	global_store_dwordx2 v[4:5], v[14:15], off
	s_waitcnt_vscnt null, 0x0
	global_atomic_cmpswap_x2 v[2:3], v6, v[12:15], s[40:41] offset:32 glc
	s_waitcnt vmcnt(0)
	v_cmpx_ne_u64_e64 v[2:3], v[14:15]
	s_cbranch_execz .LBB11_426
; %bb.424:
	s_mov_b32 s11, 0
.LBB11_425:                             ; =>This Inner Loop Header: Depth=1
	v_mov_b32_e32 v0, s6
	v_mov_b32_e32 v1, s7
	s_sleep 1
	global_store_dwordx2 v[4:5], v[2:3], off
	s_waitcnt_vscnt null, 0x0
	global_atomic_cmpswap_x2 v[0:1], v6, v[0:3], s[40:41] offset:32 glc
	s_waitcnt vmcnt(0)
	v_cmp_eq_u64_e32 vcc_lo, v[0:1], v[2:3]
	v_mov_b32_e32 v3, v1
	v_mov_b32_e32 v2, v0
	s_or_b32 s11, vcc_lo, s11
	s_andn2_b32 exec_lo, exec_lo, s11
	s_cbranch_execnz .LBB11_425
.LBB11_426:
	s_or_b32 exec_lo, exec_lo, s10
	v_mov_b32_e32 v3, 0
	s_mov_b32 s11, exec_lo
	s_mov_b32 s10, exec_lo
	v_mbcnt_lo_u32_b32 v2, s11, 0
	global_load_dwordx2 v[0:1], v3, s[40:41] offset:16
	v_cmpx_eq_u32_e32 0, v2
	s_cbranch_execz .LBB11_428
; %bb.427:
	s_bcnt1_i32_b32 s11, s11
	v_mov_b32_e32 v2, s11
	s_waitcnt vmcnt(0)
	global_atomic_add_x2 v[0:1], v[2:3], off offset:8
.LBB11_428:
	s_or_b32 exec_lo, exec_lo, s10
	s_waitcnt vmcnt(0)
	global_load_dwordx2 v[2:3], v[0:1], off offset:16
	s_waitcnt vmcnt(0)
	v_cmp_eq_u64_e32 vcc_lo, 0, v[2:3]
	s_cbranch_vccnz .LBB11_430
; %bb.429:
	global_load_dword v0, v[0:1], off offset:24
	v_mov_b32_e32 v1, 0
	s_waitcnt vmcnt(0)
	v_and_b32_e32 v4, 0x7fffff, v0
	s_waitcnt_vscnt null, 0x0
	global_store_dwordx2 v[2:3], v[0:1], off
	v_readfirstlane_b32 m0, v4
	s_sendmsg sendmsg(MSG_INTERRUPT)
.LBB11_430:
	s_or_b32 exec_lo, exec_lo, s5
	s_branch .LBB11_434
	.p2align	6
.LBB11_431:                             ;   in Loop: Header=BB11_434 Depth=1
	s_or_b32 exec_lo, exec_lo, s5
	v_readfirstlane_b32 s5, v0
	s_cmp_eq_u32 s5, 0
	s_cbranch_scc1 .LBB11_433
; %bb.432:                              ;   in Loop: Header=BB11_434 Depth=1
	s_sleep 1
	s_cbranch_execnz .LBB11_434
	s_branch .LBB11_436
	.p2align	6
.LBB11_433:
	s_branch .LBB11_436
.LBB11_434:                             ; =>This Inner Loop Header: Depth=1
	v_mov_b32_e32 v0, 1
	s_and_saveexec_b32 s5, s4
	s_cbranch_execz .LBB11_431
; %bb.435:                              ;   in Loop: Header=BB11_434 Depth=1
	global_load_dword v0, v[8:9], off offset:20 glc dlc
	s_waitcnt vmcnt(0)
	buffer_gl1_inv
	buffer_gl0_inv
	v_and_b32_e32 v0, 1, v0
	s_branch .LBB11_431
.LBB11_436:
	global_load_dwordx2 v[4:5], v[10:11], off
	s_and_saveexec_b32 s5, s4
	s_cbranch_execz .LBB11_440
; %bb.437:
	v_mov_b32_e32 v8, 0
	s_clause 0x2
	global_load_dwordx2 v[2:3], v8, s[40:41] offset:40
	global_load_dwordx2 v[9:10], v8, s[40:41] offset:24 glc dlc
	global_load_dwordx2 v[6:7], v8, s[40:41]
	s_waitcnt vmcnt(2)
	v_add_co_u32 v11, vcc_lo, v2, 1
	v_add_co_ci_u32_e32 v12, vcc_lo, 0, v3, vcc_lo
	v_add_co_u32 v0, vcc_lo, v11, s6
	v_add_co_ci_u32_e32 v1, vcc_lo, s7, v12, vcc_lo
	v_cmp_eq_u64_e32 vcc_lo, 0, v[0:1]
	v_cndmask_b32_e32 v1, v1, v12, vcc_lo
	v_cndmask_b32_e32 v0, v0, v11, vcc_lo
	v_and_b32_e32 v3, v1, v3
	v_and_b32_e32 v2, v0, v2
	v_mul_lo_u32 v3, v3, 24
	v_mul_hi_u32 v11, v2, 24
	v_mul_lo_u32 v2, v2, 24
	v_add_nc_u32_e32 v3, v11, v3
	s_waitcnt vmcnt(0)
	v_add_co_u32 v6, vcc_lo, v6, v2
	v_mov_b32_e32 v2, v9
	v_add_co_ci_u32_e32 v7, vcc_lo, v7, v3, vcc_lo
	v_mov_b32_e32 v3, v10
	global_store_dwordx2 v[6:7], v[9:10], off
	s_waitcnt_vscnt null, 0x0
	global_atomic_cmpswap_x2 v[2:3], v8, v[0:3], s[40:41] offset:24 glc
	s_waitcnt vmcnt(0)
	v_cmp_ne_u64_e32 vcc_lo, v[2:3], v[9:10]
	s_and_b32 exec_lo, exec_lo, vcc_lo
	s_cbranch_execz .LBB11_440
; %bb.438:
	s_mov_b32 s4, 0
.LBB11_439:                             ; =>This Inner Loop Header: Depth=1
	s_sleep 1
	global_store_dwordx2 v[6:7], v[2:3], off
	s_waitcnt_vscnt null, 0x0
	global_atomic_cmpswap_x2 v[9:10], v8, v[0:3], s[40:41] offset:24 glc
	s_waitcnt vmcnt(0)
	v_cmp_eq_u64_e32 vcc_lo, v[9:10], v[2:3]
	v_mov_b32_e32 v2, v9
	v_mov_b32_e32 v3, v10
	s_or_b32 s4, vcc_lo, s4
	s_andn2_b32 exec_lo, exec_lo, s4
	s_cbranch_execnz .LBB11_439
.LBB11_440:
	s_or_b32 exec_lo, exec_lo, s5
	s_and_b32 vcc_lo, exec_lo, s15
	s_cbranch_vccz .LBB11_519
; %bb.441:
	s_waitcnt vmcnt(0)
	v_and_b32_e32 v28, 2, v4
	v_mov_b32_e32 v7, 0
	v_and_b32_e32 v0, -3, v4
	v_mov_b32_e32 v1, v5
	v_mov_b32_e32 v8, 2
	;; [unrolled: 1-line block ×3, first 2 shown]
	s_mov_b64 s[10:11], 3
	s_getpc_b64 s[6:7]
	s_add_u32 s6, s6, .str.5@rel32@lo+4
	s_addc_u32 s7, s7, .str.5@rel32@hi+12
	s_branch .LBB11_443
.LBB11_442:                             ;   in Loop: Header=BB11_443 Depth=1
	s_or_b32 exec_lo, exec_lo, s5
	s_sub_u32 s10, s10, s16
	s_subb_u32 s11, s11, s17
	s_add_u32 s6, s6, s16
	s_addc_u32 s7, s7, s17
	s_cmp_lg_u64 s[10:11], 0
	s_cbranch_scc0 .LBB11_518
.LBB11_443:                             ; =>This Loop Header: Depth=1
                                        ;     Child Loop BB11_452 Depth 2
                                        ;     Child Loop BB11_448 Depth 2
	;; [unrolled: 1-line block ×11, first 2 shown]
	v_cmp_lt_u64_e64 s4, s[10:11], 56
	v_cmp_gt_u64_e64 s5, s[10:11], 7
                                        ; implicit-def: $vgpr2_vgpr3
                                        ; implicit-def: $sgpr22
	s_and_b32 s4, s4, exec_lo
	s_cselect_b32 s17, s11, 0
	s_cselect_b32 s16, s10, 56
	s_and_b32 vcc_lo, exec_lo, s5
	s_mov_b32 s4, -1
	s_cbranch_vccz .LBB11_450
; %bb.444:                              ;   in Loop: Header=BB11_443 Depth=1
	s_andn2_b32 vcc_lo, exec_lo, s4
	s_mov_b64 s[4:5], s[6:7]
	s_cbranch_vccz .LBB11_454
.LBB11_445:                             ;   in Loop: Header=BB11_443 Depth=1
	s_cmp_gt_u32 s22, 7
	s_cbranch_scc1 .LBB11_455
.LBB11_446:                             ;   in Loop: Header=BB11_443 Depth=1
	v_mov_b32_e32 v10, 0
	v_mov_b32_e32 v11, 0
	s_cmp_eq_u32 s22, 0
	s_cbranch_scc1 .LBB11_449
; %bb.447:                              ;   in Loop: Header=BB11_443 Depth=1
	s_mov_b64 s[18:19], 0
	s_mov_b64 s[20:21], 0
.LBB11_448:                             ;   Parent Loop BB11_443 Depth=1
                                        ; =>  This Inner Loop Header: Depth=2
	s_add_u32 s24, s4, s20
	s_addc_u32 s25, s5, s21
	s_add_u32 s20, s20, 1
	global_load_ubyte v6, v7, s[24:25]
	s_addc_u32 s21, s21, 0
	s_waitcnt vmcnt(0)
	v_and_b32_e32 v6, 0xffff, v6
	v_lshlrev_b64 v[12:13], s18, v[6:7]
	s_add_u32 s18, s18, 8
	s_addc_u32 s19, s19, 0
	s_cmp_lg_u32 s22, s20
	v_or_b32_e32 v10, v12, v10
	v_or_b32_e32 v11, v13, v11
	s_cbranch_scc1 .LBB11_448
.LBB11_449:                             ;   in Loop: Header=BB11_443 Depth=1
	s_mov_b32 s23, 0
	s_cbranch_execz .LBB11_456
	s_branch .LBB11_457
.LBB11_450:                             ;   in Loop: Header=BB11_443 Depth=1
	s_waitcnt vmcnt(0)
	v_mov_b32_e32 v2, 0
	v_mov_b32_e32 v3, 0
	s_cmp_eq_u64 s[10:11], 0
	s_mov_b64 s[4:5], 0
	s_cbranch_scc1 .LBB11_453
; %bb.451:                              ;   in Loop: Header=BB11_443 Depth=1
	v_mov_b32_e32 v2, 0
	v_mov_b32_e32 v3, 0
	s_lshl_b64 s[18:19], s[16:17], 3
	s_mov_b64 s[20:21], s[6:7]
.LBB11_452:                             ;   Parent Loop BB11_443 Depth=1
                                        ; =>  This Inner Loop Header: Depth=2
	global_load_ubyte v6, v7, s[20:21]
	s_waitcnt vmcnt(0)
	v_and_b32_e32 v6, 0xffff, v6
	v_lshlrev_b64 v[10:11], s4, v[6:7]
	s_add_u32 s4, s4, 8
	s_addc_u32 s5, s5, 0
	s_add_u32 s20, s20, 1
	s_addc_u32 s21, s21, 0
	s_cmp_lg_u32 s18, s4
	v_or_b32_e32 v2, v10, v2
	v_or_b32_e32 v3, v11, v3
	s_cbranch_scc1 .LBB11_452
.LBB11_453:                             ;   in Loop: Header=BB11_443 Depth=1
	s_mov_b32 s22, 0
	s_mov_b64 s[4:5], s[6:7]
	s_cbranch_execnz .LBB11_445
.LBB11_454:                             ;   in Loop: Header=BB11_443 Depth=1
	global_load_dwordx2 v[2:3], v7, s[6:7]
	s_add_i32 s22, s16, -8
	s_add_u32 s4, s6, 8
	s_addc_u32 s5, s7, 0
	s_cmp_gt_u32 s22, 7
	s_cbranch_scc0 .LBB11_446
.LBB11_455:                             ;   in Loop: Header=BB11_443 Depth=1
                                        ; implicit-def: $vgpr10_vgpr11
                                        ; implicit-def: $sgpr23
.LBB11_456:                             ;   in Loop: Header=BB11_443 Depth=1
	global_load_dwordx2 v[10:11], v7, s[4:5]
	s_add_i32 s23, s22, -8
	s_add_u32 s4, s4, 8
	s_addc_u32 s5, s5, 0
.LBB11_457:                             ;   in Loop: Header=BB11_443 Depth=1
	s_cmp_gt_u32 s23, 7
	s_cbranch_scc1 .LBB11_462
; %bb.458:                              ;   in Loop: Header=BB11_443 Depth=1
	v_mov_b32_e32 v12, 0
	v_mov_b32_e32 v13, 0
	s_cmp_eq_u32 s23, 0
	s_cbranch_scc1 .LBB11_461
; %bb.459:                              ;   in Loop: Header=BB11_443 Depth=1
	s_mov_b64 s[18:19], 0
	s_mov_b64 s[20:21], 0
.LBB11_460:                             ;   Parent Loop BB11_443 Depth=1
                                        ; =>  This Inner Loop Header: Depth=2
	s_add_u32 s24, s4, s20
	s_addc_u32 s25, s5, s21
	s_add_u32 s20, s20, 1
	global_load_ubyte v6, v7, s[24:25]
	s_addc_u32 s21, s21, 0
	s_waitcnt vmcnt(0)
	v_and_b32_e32 v6, 0xffff, v6
	v_lshlrev_b64 v[14:15], s18, v[6:7]
	s_add_u32 s18, s18, 8
	s_addc_u32 s19, s19, 0
	s_cmp_lg_u32 s23, s20
	v_or_b32_e32 v12, v14, v12
	v_or_b32_e32 v13, v15, v13
	s_cbranch_scc1 .LBB11_460
.LBB11_461:                             ;   in Loop: Header=BB11_443 Depth=1
	s_mov_b32 s22, 0
	s_cbranch_execz .LBB11_463
	s_branch .LBB11_464
.LBB11_462:                             ;   in Loop: Header=BB11_443 Depth=1
                                        ; implicit-def: $sgpr22
.LBB11_463:                             ;   in Loop: Header=BB11_443 Depth=1
	global_load_dwordx2 v[12:13], v7, s[4:5]
	s_add_i32 s22, s23, -8
	s_add_u32 s4, s4, 8
	s_addc_u32 s5, s5, 0
.LBB11_464:                             ;   in Loop: Header=BB11_443 Depth=1
	s_cmp_gt_u32 s22, 7
	s_cbranch_scc1 .LBB11_469
; %bb.465:                              ;   in Loop: Header=BB11_443 Depth=1
	v_mov_b32_e32 v14, 0
	v_mov_b32_e32 v15, 0
	s_cmp_eq_u32 s22, 0
	s_cbranch_scc1 .LBB11_468
; %bb.466:                              ;   in Loop: Header=BB11_443 Depth=1
	s_mov_b64 s[18:19], 0
	s_mov_b64 s[20:21], 0
.LBB11_467:                             ;   Parent Loop BB11_443 Depth=1
                                        ; =>  This Inner Loop Header: Depth=2
	s_add_u32 s24, s4, s20
	s_addc_u32 s25, s5, s21
	s_add_u32 s20, s20, 1
	global_load_ubyte v6, v7, s[24:25]
	s_addc_u32 s21, s21, 0
	s_waitcnt vmcnt(0)
	v_and_b32_e32 v6, 0xffff, v6
	v_lshlrev_b64 v[16:17], s18, v[6:7]
	s_add_u32 s18, s18, 8
	s_addc_u32 s19, s19, 0
	s_cmp_lg_u32 s22, s20
	v_or_b32_e32 v14, v16, v14
	v_or_b32_e32 v15, v17, v15
	s_cbranch_scc1 .LBB11_467
.LBB11_468:                             ;   in Loop: Header=BB11_443 Depth=1
	s_mov_b32 s23, 0
	s_cbranch_execz .LBB11_470
	s_branch .LBB11_471
.LBB11_469:                             ;   in Loop: Header=BB11_443 Depth=1
                                        ; implicit-def: $vgpr14_vgpr15
                                        ; implicit-def: $sgpr23
.LBB11_470:                             ;   in Loop: Header=BB11_443 Depth=1
	global_load_dwordx2 v[14:15], v7, s[4:5]
	s_add_i32 s23, s22, -8
	s_add_u32 s4, s4, 8
	s_addc_u32 s5, s5, 0
.LBB11_471:                             ;   in Loop: Header=BB11_443 Depth=1
	s_cmp_gt_u32 s23, 7
	s_cbranch_scc1 .LBB11_476
; %bb.472:                              ;   in Loop: Header=BB11_443 Depth=1
	v_mov_b32_e32 v16, 0
	v_mov_b32_e32 v17, 0
	s_cmp_eq_u32 s23, 0
	s_cbranch_scc1 .LBB11_475
; %bb.473:                              ;   in Loop: Header=BB11_443 Depth=1
	s_mov_b64 s[18:19], 0
	s_mov_b64 s[20:21], 0
.LBB11_474:                             ;   Parent Loop BB11_443 Depth=1
                                        ; =>  This Inner Loop Header: Depth=2
	s_add_u32 s24, s4, s20
	s_addc_u32 s25, s5, s21
	s_add_u32 s20, s20, 1
	global_load_ubyte v6, v7, s[24:25]
	s_addc_u32 s21, s21, 0
	s_waitcnt vmcnt(0)
	v_and_b32_e32 v6, 0xffff, v6
	v_lshlrev_b64 v[18:19], s18, v[6:7]
	s_add_u32 s18, s18, 8
	s_addc_u32 s19, s19, 0
	s_cmp_lg_u32 s23, s20
	v_or_b32_e32 v16, v18, v16
	v_or_b32_e32 v17, v19, v17
	s_cbranch_scc1 .LBB11_474
.LBB11_475:                             ;   in Loop: Header=BB11_443 Depth=1
	s_mov_b32 s22, 0
	s_cbranch_execz .LBB11_477
	s_branch .LBB11_478
.LBB11_476:                             ;   in Loop: Header=BB11_443 Depth=1
                                        ; implicit-def: $sgpr22
.LBB11_477:                             ;   in Loop: Header=BB11_443 Depth=1
	global_load_dwordx2 v[16:17], v7, s[4:5]
	s_add_i32 s22, s23, -8
	s_add_u32 s4, s4, 8
	s_addc_u32 s5, s5, 0
.LBB11_478:                             ;   in Loop: Header=BB11_443 Depth=1
	s_cmp_gt_u32 s22, 7
	s_cbranch_scc1 .LBB11_483
; %bb.479:                              ;   in Loop: Header=BB11_443 Depth=1
	v_mov_b32_e32 v18, 0
	v_mov_b32_e32 v19, 0
	s_cmp_eq_u32 s22, 0
	s_cbranch_scc1 .LBB11_482
; %bb.480:                              ;   in Loop: Header=BB11_443 Depth=1
	s_mov_b64 s[18:19], 0
	s_mov_b64 s[20:21], 0
.LBB11_481:                             ;   Parent Loop BB11_443 Depth=1
                                        ; =>  This Inner Loop Header: Depth=2
	s_add_u32 s24, s4, s20
	s_addc_u32 s25, s5, s21
	s_add_u32 s20, s20, 1
	global_load_ubyte v6, v7, s[24:25]
	s_addc_u32 s21, s21, 0
	s_waitcnt vmcnt(0)
	v_and_b32_e32 v6, 0xffff, v6
	v_lshlrev_b64 v[20:21], s18, v[6:7]
	s_add_u32 s18, s18, 8
	s_addc_u32 s19, s19, 0
	s_cmp_lg_u32 s22, s20
	v_or_b32_e32 v18, v20, v18
	v_or_b32_e32 v19, v21, v19
	s_cbranch_scc1 .LBB11_481
.LBB11_482:                             ;   in Loop: Header=BB11_443 Depth=1
	s_mov_b32 s23, 0
	s_cbranch_execz .LBB11_484
	s_branch .LBB11_485
.LBB11_483:                             ;   in Loop: Header=BB11_443 Depth=1
                                        ; implicit-def: $vgpr18_vgpr19
                                        ; implicit-def: $sgpr23
.LBB11_484:                             ;   in Loop: Header=BB11_443 Depth=1
	global_load_dwordx2 v[18:19], v7, s[4:5]
	s_add_i32 s23, s22, -8
	s_add_u32 s4, s4, 8
	s_addc_u32 s5, s5, 0
.LBB11_485:                             ;   in Loop: Header=BB11_443 Depth=1
	s_cmp_gt_u32 s23, 7
	s_cbranch_scc1 .LBB11_490
; %bb.486:                              ;   in Loop: Header=BB11_443 Depth=1
	v_mov_b32_e32 v20, 0
	v_mov_b32_e32 v21, 0
	s_cmp_eq_u32 s23, 0
	s_cbranch_scc1 .LBB11_489
; %bb.487:                              ;   in Loop: Header=BB11_443 Depth=1
	s_mov_b64 s[18:19], 0
	s_mov_b64 s[20:21], s[4:5]
.LBB11_488:                             ;   Parent Loop BB11_443 Depth=1
                                        ; =>  This Inner Loop Header: Depth=2
	global_load_ubyte v6, v7, s[20:21]
	s_add_i32 s23, s23, -1
	s_waitcnt vmcnt(0)
	v_and_b32_e32 v6, 0xffff, v6
	v_lshlrev_b64 v[22:23], s18, v[6:7]
	s_add_u32 s18, s18, 8
	s_addc_u32 s19, s19, 0
	s_add_u32 s20, s20, 1
	s_addc_u32 s21, s21, 0
	s_cmp_lg_u32 s23, 0
	v_or_b32_e32 v20, v22, v20
	v_or_b32_e32 v21, v23, v21
	s_cbranch_scc1 .LBB11_488
.LBB11_489:                             ;   in Loop: Header=BB11_443 Depth=1
	s_cbranch_execz .LBB11_491
	s_branch .LBB11_492
.LBB11_490:                             ;   in Loop: Header=BB11_443 Depth=1
.LBB11_491:                             ;   in Loop: Header=BB11_443 Depth=1
	global_load_dwordx2 v[20:21], v7, s[4:5]
.LBB11_492:                             ;   in Loop: Header=BB11_443 Depth=1
	v_readfirstlane_b32 s4, v69
	v_mov_b32_e32 v26, 0
	v_mov_b32_e32 v27, 0
	v_cmp_eq_u32_e64 s4, s4, v69
	s_and_saveexec_b32 s5, s4
	s_cbranch_execz .LBB11_498
; %bb.493:                              ;   in Loop: Header=BB11_443 Depth=1
	global_load_dwordx2 v[24:25], v7, s[40:41] offset:24 glc dlc
	s_waitcnt vmcnt(0)
	buffer_gl1_inv
	buffer_gl0_inv
	s_clause 0x1
	global_load_dwordx2 v[22:23], v7, s[40:41] offset:40
	global_load_dwordx2 v[26:27], v7, s[40:41]
	s_mov_b32 s18, exec_lo
	s_waitcnt vmcnt(1)
	v_and_b32_e32 v6, v23, v25
	v_and_b32_e32 v22, v22, v24
	v_mul_lo_u32 v6, v6, 24
	v_mul_hi_u32 v23, v22, 24
	v_mul_lo_u32 v22, v22, 24
	v_add_nc_u32_e32 v6, v23, v6
	s_waitcnt vmcnt(0)
	v_add_co_u32 v22, vcc_lo, v26, v22
	v_add_co_ci_u32_e32 v23, vcc_lo, v27, v6, vcc_lo
	global_load_dwordx2 v[22:23], v[22:23], off glc dlc
	s_waitcnt vmcnt(0)
	global_atomic_cmpswap_x2 v[26:27], v7, v[22:25], s[40:41] offset:24 glc
	s_waitcnt vmcnt(0)
	buffer_gl1_inv
	buffer_gl0_inv
	v_cmpx_ne_u64_e64 v[26:27], v[24:25]
	s_cbranch_execz .LBB11_497
; %bb.494:                              ;   in Loop: Header=BB11_443 Depth=1
	s_mov_b32 s19, 0
	.p2align	6
.LBB11_495:                             ;   Parent Loop BB11_443 Depth=1
                                        ; =>  This Inner Loop Header: Depth=2
	s_sleep 1
	s_clause 0x1
	global_load_dwordx2 v[22:23], v7, s[40:41] offset:40
	global_load_dwordx2 v[29:30], v7, s[40:41]
	v_mov_b32_e32 v24, v26
	v_mov_b32_e32 v25, v27
	s_waitcnt vmcnt(1)
	v_and_b32_e32 v6, v22, v24
	v_and_b32_e32 v22, v23, v25
	s_waitcnt vmcnt(0)
	v_mad_u64_u32 v[26:27], null, v6, 24, v[29:30]
	v_mov_b32_e32 v6, v27
	v_mad_u64_u32 v[22:23], null, v22, 24, v[6:7]
	v_mov_b32_e32 v27, v22
	global_load_dwordx2 v[22:23], v[26:27], off glc dlc
	s_waitcnt vmcnt(0)
	global_atomic_cmpswap_x2 v[26:27], v7, v[22:25], s[40:41] offset:24 glc
	s_waitcnt vmcnt(0)
	buffer_gl1_inv
	buffer_gl0_inv
	v_cmp_eq_u64_e32 vcc_lo, v[26:27], v[24:25]
	s_or_b32 s19, vcc_lo, s19
	s_andn2_b32 exec_lo, exec_lo, s19
	s_cbranch_execnz .LBB11_495
; %bb.496:                              ;   in Loop: Header=BB11_443 Depth=1
	s_or_b32 exec_lo, exec_lo, s19
.LBB11_497:                             ;   in Loop: Header=BB11_443 Depth=1
	s_or_b32 exec_lo, exec_lo, s18
.LBB11_498:                             ;   in Loop: Header=BB11_443 Depth=1
	s_or_b32 exec_lo, exec_lo, s5
	s_clause 0x1
	global_load_dwordx2 v[29:30], v7, s[40:41] offset:40
	global_load_dwordx4 v[22:25], v7, s[40:41]
	v_readfirstlane_b32 s18, v26
	v_readfirstlane_b32 s19, v27
	s_mov_b32 s5, exec_lo
	s_waitcnt vmcnt(1)
	v_readfirstlane_b32 s20, v29
	v_readfirstlane_b32 s21, v30
	s_and_b64 s[20:21], s[18:19], s[20:21]
	s_mul_i32 s22, s21, 24
	s_mul_hi_u32 s23, s20, 24
	s_mul_i32 s24, s20, 24
	s_add_i32 s23, s23, s22
	s_waitcnt vmcnt(0)
	v_add_co_u32 v26, vcc_lo, v22, s24
	v_add_co_ci_u32_e32 v27, vcc_lo, s23, v23, vcc_lo
	s_and_saveexec_b32 s22, s4
	s_cbranch_execz .LBB11_500
; %bb.499:                              ;   in Loop: Header=BB11_443 Depth=1
	v_mov_b32_e32 v6, s5
	global_store_dwordx4 v[26:27], v[6:9], off offset:8
.LBB11_500:                             ;   in Loop: Header=BB11_443 Depth=1
	s_or_b32 exec_lo, exec_lo, s22
	s_lshl_b64 s[20:21], s[20:21], 12
	v_cmp_gt_u64_e64 vcc_lo, s[10:11], 56
	v_or_b32_e32 v29, v0, v28
	v_add_co_u32 v24, s5, v24, s20
	v_add_co_ci_u32_e64 v25, s5, s21, v25, s5
	s_lshl_b32 s5, s16, 2
	v_or_b32_e32 v6, 0, v1
	v_cndmask_b32_e32 v0, v29, v0, vcc_lo
	s_add_i32 s5, s5, 28
	v_readfirstlane_b32 s20, v24
	s_and_b32 s5, s5, 0x1e0
	v_cndmask_b32_e32 v1, v6, v1, vcc_lo
	v_readfirstlane_b32 s21, v25
	v_and_or_b32 v0, 0xffffff1f, v0, s5
	global_store_dwordx4 v68, v[0:3], s[20:21]
	global_store_dwordx4 v68, v[10:13], s[20:21] offset:16
	global_store_dwordx4 v68, v[14:17], s[20:21] offset:32
	;; [unrolled: 1-line block ×3, first 2 shown]
	s_and_saveexec_b32 s5, s4
	s_cbranch_execz .LBB11_508
; %bb.501:                              ;   in Loop: Header=BB11_443 Depth=1
	s_clause 0x1
	global_load_dwordx2 v[14:15], v7, s[40:41] offset:32 glc dlc
	global_load_dwordx2 v[0:1], v7, s[40:41] offset:40
	v_mov_b32_e32 v12, s18
	v_mov_b32_e32 v13, s19
	s_waitcnt vmcnt(0)
	v_readfirstlane_b32 s20, v0
	v_readfirstlane_b32 s21, v1
	s_and_b64 s[20:21], s[20:21], s[18:19]
	s_mul_i32 s21, s21, 24
	s_mul_hi_u32 s22, s20, 24
	s_mul_i32 s20, s20, 24
	s_add_i32 s22, s22, s21
	v_add_co_u32 v10, vcc_lo, v22, s20
	v_add_co_ci_u32_e32 v11, vcc_lo, s22, v23, vcc_lo
	s_mov_b32 s20, exec_lo
	global_store_dwordx2 v[10:11], v[14:15], off
	s_waitcnt_vscnt null, 0x0
	global_atomic_cmpswap_x2 v[2:3], v7, v[12:15], s[40:41] offset:32 glc
	s_waitcnt vmcnt(0)
	v_cmpx_ne_u64_e64 v[2:3], v[14:15]
	s_cbranch_execz .LBB11_504
; %bb.502:                              ;   in Loop: Header=BB11_443 Depth=1
	s_mov_b32 s21, 0
.LBB11_503:                             ;   Parent Loop BB11_443 Depth=1
                                        ; =>  This Inner Loop Header: Depth=2
	v_mov_b32_e32 v0, s18
	v_mov_b32_e32 v1, s19
	s_sleep 1
	global_store_dwordx2 v[10:11], v[2:3], off
	s_waitcnt_vscnt null, 0x0
	global_atomic_cmpswap_x2 v[0:1], v7, v[0:3], s[40:41] offset:32 glc
	s_waitcnt vmcnt(0)
	v_cmp_eq_u64_e32 vcc_lo, v[0:1], v[2:3]
	v_mov_b32_e32 v3, v1
	v_mov_b32_e32 v2, v0
	s_or_b32 s21, vcc_lo, s21
	s_andn2_b32 exec_lo, exec_lo, s21
	s_cbranch_execnz .LBB11_503
.LBB11_504:                             ;   in Loop: Header=BB11_443 Depth=1
	s_or_b32 exec_lo, exec_lo, s20
	global_load_dwordx2 v[0:1], v7, s[40:41] offset:16
	s_mov_b32 s21, exec_lo
	s_mov_b32 s20, exec_lo
	v_mbcnt_lo_u32_b32 v2, s21, 0
	v_cmpx_eq_u32_e32 0, v2
	s_cbranch_execz .LBB11_506
; %bb.505:                              ;   in Loop: Header=BB11_443 Depth=1
	s_bcnt1_i32_b32 s21, s21
	v_mov_b32_e32 v6, s21
	s_waitcnt vmcnt(0)
	global_atomic_add_x2 v[0:1], v[6:7], off offset:8
.LBB11_506:                             ;   in Loop: Header=BB11_443 Depth=1
	s_or_b32 exec_lo, exec_lo, s20
	s_waitcnt vmcnt(0)
	global_load_dwordx2 v[2:3], v[0:1], off offset:16
	s_waitcnt vmcnt(0)
	v_cmp_eq_u64_e32 vcc_lo, 0, v[2:3]
	s_cbranch_vccnz .LBB11_508
; %bb.507:                              ;   in Loop: Header=BB11_443 Depth=1
	global_load_dword v6, v[0:1], off offset:24
	s_waitcnt vmcnt(0)
	v_and_b32_e32 v0, 0x7fffff, v6
	s_waitcnt_vscnt null, 0x0
	global_store_dwordx2 v[2:3], v[6:7], off
	v_readfirstlane_b32 m0, v0
	s_sendmsg sendmsg(MSG_INTERRUPT)
.LBB11_508:                             ;   in Loop: Header=BB11_443 Depth=1
	s_or_b32 exec_lo, exec_lo, s5
	v_add_co_u32 v0, vcc_lo, v24, v68
	v_add_co_ci_u32_e32 v1, vcc_lo, 0, v25, vcc_lo
	s_branch .LBB11_512
	.p2align	6
.LBB11_509:                             ;   in Loop: Header=BB11_512 Depth=2
	s_or_b32 exec_lo, exec_lo, s5
	v_readfirstlane_b32 s5, v2
	s_cmp_eq_u32 s5, 0
	s_cbranch_scc1 .LBB11_511
; %bb.510:                              ;   in Loop: Header=BB11_512 Depth=2
	s_sleep 1
	s_cbranch_execnz .LBB11_512
	s_branch .LBB11_514
	.p2align	6
.LBB11_511:                             ;   in Loop: Header=BB11_443 Depth=1
	s_branch .LBB11_514
.LBB11_512:                             ;   Parent Loop BB11_443 Depth=1
                                        ; =>  This Inner Loop Header: Depth=2
	v_mov_b32_e32 v2, 1
	s_and_saveexec_b32 s5, s4
	s_cbranch_execz .LBB11_509
; %bb.513:                              ;   in Loop: Header=BB11_512 Depth=2
	global_load_dword v2, v[26:27], off offset:20 glc dlc
	s_waitcnt vmcnt(0)
	buffer_gl1_inv
	buffer_gl0_inv
	v_and_b32_e32 v2, 1, v2
	s_branch .LBB11_509
.LBB11_514:                             ;   in Loop: Header=BB11_443 Depth=1
	global_load_dwordx4 v[0:3], v[0:1], off
	s_and_saveexec_b32 s5, s4
	s_cbranch_execz .LBB11_442
; %bb.515:                              ;   in Loop: Header=BB11_443 Depth=1
	s_clause 0x2
	global_load_dwordx2 v[2:3], v7, s[40:41] offset:40
	global_load_dwordx2 v[14:15], v7, s[40:41] offset:24 glc dlc
	global_load_dwordx2 v[12:13], v7, s[40:41]
	s_waitcnt vmcnt(2)
	v_add_co_u32 v6, vcc_lo, v2, 1
	v_add_co_ci_u32_e32 v16, vcc_lo, 0, v3, vcc_lo
	v_add_co_u32 v10, vcc_lo, v6, s18
	v_add_co_ci_u32_e32 v11, vcc_lo, s19, v16, vcc_lo
	v_cmp_eq_u64_e32 vcc_lo, 0, v[10:11]
	v_cndmask_b32_e32 v11, v11, v16, vcc_lo
	v_cndmask_b32_e32 v10, v10, v6, vcc_lo
	v_and_b32_e32 v3, v11, v3
	v_and_b32_e32 v2, v10, v2
	v_mul_lo_u32 v3, v3, 24
	v_mul_hi_u32 v6, v2, 24
	v_mul_lo_u32 v2, v2, 24
	v_add_nc_u32_e32 v3, v6, v3
	s_waitcnt vmcnt(0)
	v_add_co_u32 v2, vcc_lo, v12, v2
	v_mov_b32_e32 v12, v14
	v_add_co_ci_u32_e32 v3, vcc_lo, v13, v3, vcc_lo
	v_mov_b32_e32 v13, v15
	global_store_dwordx2 v[2:3], v[14:15], off
	s_waitcnt_vscnt null, 0x0
	global_atomic_cmpswap_x2 v[12:13], v7, v[10:13], s[40:41] offset:24 glc
	s_waitcnt vmcnt(0)
	v_cmp_ne_u64_e32 vcc_lo, v[12:13], v[14:15]
	s_and_b32 exec_lo, exec_lo, vcc_lo
	s_cbranch_execz .LBB11_442
; %bb.516:                              ;   in Loop: Header=BB11_443 Depth=1
	s_mov_b32 s4, 0
.LBB11_517:                             ;   Parent Loop BB11_443 Depth=1
                                        ; =>  This Inner Loop Header: Depth=2
	s_sleep 1
	global_store_dwordx2 v[2:3], v[12:13], off
	s_waitcnt_vscnt null, 0x0
	global_atomic_cmpswap_x2 v[14:15], v7, v[10:13], s[40:41] offset:24 glc
	s_waitcnt vmcnt(0)
	v_cmp_eq_u64_e32 vcc_lo, v[14:15], v[12:13]
	v_mov_b32_e32 v12, v14
	v_mov_b32_e32 v13, v15
	s_or_b32 s4, vcc_lo, s4
	s_andn2_b32 exec_lo, exec_lo, s4
	s_cbranch_execnz .LBB11_517
	s_branch .LBB11_442
.LBB11_518:
	s_branch .LBB11_547
.LBB11_519:
                                        ; implicit-def: $vgpr0_vgpr1
	s_cbranch_execz .LBB11_547
; %bb.520:
	v_readfirstlane_b32 s4, v69
	v_mov_b32_e32 v7, 0
	v_mov_b32_e32 v8, 0
	v_cmp_eq_u32_e64 s4, s4, v69
	s_and_saveexec_b32 s5, s4
	s_cbranch_execz .LBB11_526
; %bb.521:
	s_waitcnt vmcnt(0)
	v_mov_b32_e32 v0, 0
	s_mov_b32 s6, exec_lo
	global_load_dwordx2 v[9:10], v0, s[40:41] offset:24 glc dlc
	s_waitcnt vmcnt(0)
	buffer_gl1_inv
	buffer_gl0_inv
	s_clause 0x1
	global_load_dwordx2 v[1:2], v0, s[40:41] offset:40
	global_load_dwordx2 v[6:7], v0, s[40:41]
	s_waitcnt vmcnt(1)
	v_and_b32_e32 v2, v2, v10
	v_and_b32_e32 v1, v1, v9
	v_mul_lo_u32 v2, v2, 24
	v_mul_hi_u32 v3, v1, 24
	v_mul_lo_u32 v1, v1, 24
	v_add_nc_u32_e32 v2, v3, v2
	s_waitcnt vmcnt(0)
	v_add_co_u32 v1, vcc_lo, v6, v1
	v_add_co_ci_u32_e32 v2, vcc_lo, v7, v2, vcc_lo
	global_load_dwordx2 v[7:8], v[1:2], off glc dlc
	s_waitcnt vmcnt(0)
	global_atomic_cmpswap_x2 v[7:8], v0, v[7:10], s[40:41] offset:24 glc
	s_waitcnt vmcnt(0)
	buffer_gl1_inv
	buffer_gl0_inv
	v_cmpx_ne_u64_e64 v[7:8], v[9:10]
	s_cbranch_execz .LBB11_525
; %bb.522:
	s_mov_b32 s7, 0
	.p2align	6
.LBB11_523:                             ; =>This Inner Loop Header: Depth=1
	s_sleep 1
	s_clause 0x1
	global_load_dwordx2 v[1:2], v0, s[40:41] offset:40
	global_load_dwordx2 v[11:12], v0, s[40:41]
	v_mov_b32_e32 v10, v8
	v_mov_b32_e32 v9, v7
	s_waitcnt vmcnt(1)
	v_and_b32_e32 v1, v1, v9
	v_and_b32_e32 v2, v2, v10
	s_waitcnt vmcnt(0)
	v_mad_u64_u32 v[6:7], null, v1, 24, v[11:12]
	v_mov_b32_e32 v1, v7
	v_mad_u64_u32 v[1:2], null, v2, 24, v[1:2]
	v_mov_b32_e32 v7, v1
	global_load_dwordx2 v[7:8], v[6:7], off glc dlc
	s_waitcnt vmcnt(0)
	global_atomic_cmpswap_x2 v[7:8], v0, v[7:10], s[40:41] offset:24 glc
	s_waitcnt vmcnt(0)
	buffer_gl1_inv
	buffer_gl0_inv
	v_cmp_eq_u64_e32 vcc_lo, v[7:8], v[9:10]
	s_or_b32 s7, vcc_lo, s7
	s_andn2_b32 exec_lo, exec_lo, s7
	s_cbranch_execnz .LBB11_523
; %bb.524:
	s_or_b32 exec_lo, exec_lo, s7
.LBB11_525:
	s_or_b32 exec_lo, exec_lo, s6
.LBB11_526:
	s_or_b32 exec_lo, exec_lo, s5
	v_mov_b32_e32 v6, 0
	v_readfirstlane_b32 s6, v7
	v_readfirstlane_b32 s7, v8
	s_mov_b32 s5, exec_lo
	s_clause 0x1
	global_load_dwordx2 v[9:10], v6, s[40:41] offset:40
	global_load_dwordx4 v[0:3], v6, s[40:41]
	s_waitcnt vmcnt(1)
	v_readfirstlane_b32 s10, v9
	v_readfirstlane_b32 s11, v10
	s_and_b64 s[10:11], s[6:7], s[10:11]
	s_mul_i32 s16, s11, 24
	s_mul_hi_u32 s17, s10, 24
	s_mul_i32 s18, s10, 24
	s_add_i32 s17, s17, s16
	s_waitcnt vmcnt(0)
	v_add_co_u32 v8, vcc_lo, v0, s18
	v_add_co_ci_u32_e32 v9, vcc_lo, s17, v1, vcc_lo
	s_and_saveexec_b32 s16, s4
	s_cbranch_execz .LBB11_528
; %bb.527:
	v_mov_b32_e32 v10, s5
	v_mov_b32_e32 v11, v6
	;; [unrolled: 1-line block ×4, first 2 shown]
	global_store_dwordx4 v[8:9], v[10:13], off offset:8
.LBB11_528:
	s_or_b32 exec_lo, exec_lo, s16
	s_lshl_b64 s[10:11], s[10:11], 12
	s_mov_b32 s16, 0
	v_add_co_u32 v2, vcc_lo, v2, s10
	v_add_co_ci_u32_e32 v3, vcc_lo, s11, v3, vcc_lo
	s_mov_b32 s17, s16
	v_add_co_u32 v10, vcc_lo, v2, v68
	s_mov_b32 s18, s16
	s_mov_b32 s19, s16
	v_and_or_b32 v4, 0xffffff1f, v4, 32
	v_mov_b32_e32 v7, v6
	v_readfirstlane_b32 s10, v2
	v_readfirstlane_b32 s11, v3
	v_mov_b32_e32 v12, s16
	v_add_co_ci_u32_e32 v11, vcc_lo, 0, v3, vcc_lo
	v_mov_b32_e32 v13, s17
	v_mov_b32_e32 v14, s18
	;; [unrolled: 1-line block ×3, first 2 shown]
	global_store_dwordx4 v68, v[4:7], s[10:11]
	global_store_dwordx4 v68, v[12:15], s[10:11] offset:16
	global_store_dwordx4 v68, v[12:15], s[10:11] offset:32
	;; [unrolled: 1-line block ×3, first 2 shown]
	s_and_saveexec_b32 s5, s4
	s_cbranch_execz .LBB11_536
; %bb.529:
	v_mov_b32_e32 v6, 0
	v_mov_b32_e32 v12, s6
	;; [unrolled: 1-line block ×3, first 2 shown]
	s_clause 0x1
	global_load_dwordx2 v[14:15], v6, s[40:41] offset:32 glc dlc
	global_load_dwordx2 v[2:3], v6, s[40:41] offset:40
	s_waitcnt vmcnt(0)
	v_readfirstlane_b32 s10, v2
	v_readfirstlane_b32 s11, v3
	s_and_b64 s[10:11], s[10:11], s[6:7]
	s_mul_i32 s11, s11, 24
	s_mul_hi_u32 s16, s10, 24
	s_mul_i32 s10, s10, 24
	s_add_i32 s16, s16, s11
	v_add_co_u32 v4, vcc_lo, v0, s10
	v_add_co_ci_u32_e32 v5, vcc_lo, s16, v1, vcc_lo
	s_mov_b32 s10, exec_lo
	global_store_dwordx2 v[4:5], v[14:15], off
	s_waitcnt_vscnt null, 0x0
	global_atomic_cmpswap_x2 v[2:3], v6, v[12:15], s[40:41] offset:32 glc
	s_waitcnt vmcnt(0)
	v_cmpx_ne_u64_e64 v[2:3], v[14:15]
	s_cbranch_execz .LBB11_532
; %bb.530:
	s_mov_b32 s11, 0
.LBB11_531:                             ; =>This Inner Loop Header: Depth=1
	v_mov_b32_e32 v0, s6
	v_mov_b32_e32 v1, s7
	s_sleep 1
	global_store_dwordx2 v[4:5], v[2:3], off
	s_waitcnt_vscnt null, 0x0
	global_atomic_cmpswap_x2 v[0:1], v6, v[0:3], s[40:41] offset:32 glc
	s_waitcnt vmcnt(0)
	v_cmp_eq_u64_e32 vcc_lo, v[0:1], v[2:3]
	v_mov_b32_e32 v3, v1
	v_mov_b32_e32 v2, v0
	s_or_b32 s11, vcc_lo, s11
	s_andn2_b32 exec_lo, exec_lo, s11
	s_cbranch_execnz .LBB11_531
.LBB11_532:
	s_or_b32 exec_lo, exec_lo, s10
	v_mov_b32_e32 v3, 0
	s_mov_b32 s11, exec_lo
	s_mov_b32 s10, exec_lo
	v_mbcnt_lo_u32_b32 v2, s11, 0
	global_load_dwordx2 v[0:1], v3, s[40:41] offset:16
	v_cmpx_eq_u32_e32 0, v2
	s_cbranch_execz .LBB11_534
; %bb.533:
	s_bcnt1_i32_b32 s11, s11
	v_mov_b32_e32 v2, s11
	s_waitcnt vmcnt(0)
	global_atomic_add_x2 v[0:1], v[2:3], off offset:8
.LBB11_534:
	s_or_b32 exec_lo, exec_lo, s10
	s_waitcnt vmcnt(0)
	global_load_dwordx2 v[2:3], v[0:1], off offset:16
	s_waitcnt vmcnt(0)
	v_cmp_eq_u64_e32 vcc_lo, 0, v[2:3]
	s_cbranch_vccnz .LBB11_536
; %bb.535:
	global_load_dword v0, v[0:1], off offset:24
	v_mov_b32_e32 v1, 0
	s_waitcnt vmcnt(0)
	v_and_b32_e32 v4, 0x7fffff, v0
	s_waitcnt_vscnt null, 0x0
	global_store_dwordx2 v[2:3], v[0:1], off
	v_readfirstlane_b32 m0, v4
	s_sendmsg sendmsg(MSG_INTERRUPT)
.LBB11_536:
	s_or_b32 exec_lo, exec_lo, s5
	s_branch .LBB11_540
	.p2align	6
.LBB11_537:                             ;   in Loop: Header=BB11_540 Depth=1
	s_or_b32 exec_lo, exec_lo, s5
	v_readfirstlane_b32 s5, v0
	s_cmp_eq_u32 s5, 0
	s_cbranch_scc1 .LBB11_539
; %bb.538:                              ;   in Loop: Header=BB11_540 Depth=1
	s_sleep 1
	s_cbranch_execnz .LBB11_540
	s_branch .LBB11_542
	.p2align	6
.LBB11_539:
	s_branch .LBB11_542
.LBB11_540:                             ; =>This Inner Loop Header: Depth=1
	v_mov_b32_e32 v0, 1
	s_and_saveexec_b32 s5, s4
	s_cbranch_execz .LBB11_537
; %bb.541:                              ;   in Loop: Header=BB11_540 Depth=1
	global_load_dword v0, v[8:9], off offset:20 glc dlc
	s_waitcnt vmcnt(0)
	buffer_gl1_inv
	buffer_gl0_inv
	v_and_b32_e32 v0, 1, v0
	s_branch .LBB11_537
.LBB11_542:
	global_load_dwordx2 v[0:1], v[10:11], off
	s_and_saveexec_b32 s5, s4
	s_cbranch_execz .LBB11_546
; %bb.543:
	v_mov_b32_e32 v8, 0
	s_clause 0x2
	global_load_dwordx2 v[4:5], v8, s[40:41] offset:40
	global_load_dwordx2 v[9:10], v8, s[40:41] offset:24 glc dlc
	global_load_dwordx2 v[6:7], v8, s[40:41]
	s_waitcnt vmcnt(2)
	v_add_co_u32 v11, vcc_lo, v4, 1
	v_add_co_ci_u32_e32 v12, vcc_lo, 0, v5, vcc_lo
	v_add_co_u32 v2, vcc_lo, v11, s6
	v_add_co_ci_u32_e32 v3, vcc_lo, s7, v12, vcc_lo
	v_cmp_eq_u64_e32 vcc_lo, 0, v[2:3]
	v_cndmask_b32_e32 v3, v3, v12, vcc_lo
	v_cndmask_b32_e32 v2, v2, v11, vcc_lo
	v_and_b32_e32 v5, v3, v5
	v_and_b32_e32 v4, v2, v4
	v_mul_lo_u32 v5, v5, 24
	v_mul_hi_u32 v11, v4, 24
	v_mul_lo_u32 v4, v4, 24
	v_add_nc_u32_e32 v5, v11, v5
	s_waitcnt vmcnt(0)
	v_add_co_u32 v6, vcc_lo, v6, v4
	v_mov_b32_e32 v4, v9
	v_add_co_ci_u32_e32 v7, vcc_lo, v7, v5, vcc_lo
	v_mov_b32_e32 v5, v10
	global_store_dwordx2 v[6:7], v[9:10], off
	s_waitcnt_vscnt null, 0x0
	global_atomic_cmpswap_x2 v[4:5], v8, v[2:5], s[40:41] offset:24 glc
	s_waitcnt vmcnt(0)
	v_cmp_ne_u64_e32 vcc_lo, v[4:5], v[9:10]
	s_and_b32 exec_lo, exec_lo, vcc_lo
	s_cbranch_execz .LBB11_546
; %bb.544:
	s_mov_b32 s4, 0
.LBB11_545:                             ; =>This Inner Loop Header: Depth=1
	s_sleep 1
	global_store_dwordx2 v[6:7], v[4:5], off
	s_waitcnt_vscnt null, 0x0
	global_atomic_cmpswap_x2 v[9:10], v8, v[2:5], s[40:41] offset:24 glc
	s_waitcnt vmcnt(0)
	v_cmp_eq_u64_e32 vcc_lo, v[9:10], v[4:5]
	v_mov_b32_e32 v4, v9
	v_mov_b32_e32 v5, v10
	s_or_b32 s4, vcc_lo, s4
	s_andn2_b32 exec_lo, exec_lo, s4
	s_cbranch_execnz .LBB11_545
.LBB11_546:
	s_or_b32 exec_lo, exec_lo, s5
.LBB11_547:
	s_getpc_b64 s[6:7]
	s_add_u32 s6, s6, .str.1@rel32@lo+4
	s_addc_u32 s7, s7, .str.1@rel32@hi+12
	s_cmp_lg_u64 s[6:7], 0
	s_cbranch_scc0 .LBB11_626
; %bb.548:
	s_waitcnt vmcnt(0)
	v_and_b32_e32 v6, -3, v0
	v_mov_b32_e32 v7, v1
	v_mov_b32_e32 v3, 0
	;; [unrolled: 1-line block ×4, first 2 shown]
	s_mov_b64 s[10:11], 0x53
	s_branch .LBB11_550
.LBB11_549:                             ;   in Loop: Header=BB11_550 Depth=1
	s_or_b32 exec_lo, exec_lo, s5
	s_sub_u32 s10, s10, s16
	s_subb_u32 s11, s11, s17
	s_add_u32 s6, s6, s16
	s_addc_u32 s7, s7, s17
	s_cmp_lg_u64 s[10:11], 0
	s_cbranch_scc0 .LBB11_625
.LBB11_550:                             ; =>This Loop Header: Depth=1
                                        ;     Child Loop BB11_559 Depth 2
                                        ;     Child Loop BB11_555 Depth 2
                                        ;     Child Loop BB11_567 Depth 2
                                        ;     Child Loop BB11_574 Depth 2
                                        ;     Child Loop BB11_581 Depth 2
                                        ;     Child Loop BB11_588 Depth 2
                                        ;     Child Loop BB11_595 Depth 2
                                        ;     Child Loop BB11_602 Depth 2
                                        ;     Child Loop BB11_610 Depth 2
                                        ;     Child Loop BB11_619 Depth 2
                                        ;     Child Loop BB11_624 Depth 2
	v_cmp_lt_u64_e64 s4, s[10:11], 56
	v_cmp_gt_u64_e64 s5, s[10:11], 7
                                        ; implicit-def: $sgpr22
	s_and_b32 s4, s4, exec_lo
	s_cselect_b32 s17, s11, 0
	s_cselect_b32 s16, s10, 56
	s_and_b32 vcc_lo, exec_lo, s5
	s_mov_b32 s4, -1
	s_cbranch_vccz .LBB11_557
; %bb.551:                              ;   in Loop: Header=BB11_550 Depth=1
	s_andn2_b32 vcc_lo, exec_lo, s4
	s_mov_b64 s[4:5], s[6:7]
	s_cbranch_vccz .LBB11_561
.LBB11_552:                             ;   in Loop: Header=BB11_550 Depth=1
	s_cmp_gt_u32 s22, 7
	s_cbranch_scc1 .LBB11_562
.LBB11_553:                             ;   in Loop: Header=BB11_550 Depth=1
	v_mov_b32_e32 v10, 0
	v_mov_b32_e32 v11, 0
	s_cmp_eq_u32 s22, 0
	s_cbranch_scc1 .LBB11_556
; %bb.554:                              ;   in Loop: Header=BB11_550 Depth=1
	s_mov_b64 s[18:19], 0
	s_mov_b64 s[20:21], 0
.LBB11_555:                             ;   Parent Loop BB11_550 Depth=1
                                        ; =>  This Inner Loop Header: Depth=2
	s_add_u32 s24, s4, s20
	s_addc_u32 s25, s5, s21
	s_add_u32 s20, s20, 1
	global_load_ubyte v2, v3, s[24:25]
	s_addc_u32 s21, s21, 0
	s_waitcnt vmcnt(0)
	v_and_b32_e32 v2, 0xffff, v2
	v_lshlrev_b64 v[12:13], s18, v[2:3]
	s_add_u32 s18, s18, 8
	s_addc_u32 s19, s19, 0
	s_cmp_lg_u32 s22, s20
	v_or_b32_e32 v10, v12, v10
	v_or_b32_e32 v11, v13, v11
	s_cbranch_scc1 .LBB11_555
.LBB11_556:                             ;   in Loop: Header=BB11_550 Depth=1
	s_mov_b32 s23, 0
	s_cbranch_execz .LBB11_563
	s_branch .LBB11_564
.LBB11_557:                             ;   in Loop: Header=BB11_550 Depth=1
	s_waitcnt vmcnt(0)
	v_mov_b32_e32 v8, 0
	v_mov_b32_e32 v9, 0
	s_cmp_eq_u64 s[10:11], 0
	s_mov_b64 s[4:5], 0
	s_cbranch_scc1 .LBB11_560
; %bb.558:                              ;   in Loop: Header=BB11_550 Depth=1
	v_mov_b32_e32 v8, 0
	v_mov_b32_e32 v9, 0
	s_lshl_b64 s[18:19], s[16:17], 3
	s_mov_b64 s[20:21], s[6:7]
.LBB11_559:                             ;   Parent Loop BB11_550 Depth=1
                                        ; =>  This Inner Loop Header: Depth=2
	global_load_ubyte v2, v3, s[20:21]
	s_waitcnt vmcnt(0)
	v_and_b32_e32 v2, 0xffff, v2
	v_lshlrev_b64 v[10:11], s4, v[2:3]
	s_add_u32 s4, s4, 8
	s_addc_u32 s5, s5, 0
	s_add_u32 s20, s20, 1
	s_addc_u32 s21, s21, 0
	s_cmp_lg_u32 s18, s4
	v_or_b32_e32 v8, v10, v8
	v_or_b32_e32 v9, v11, v9
	s_cbranch_scc1 .LBB11_559
.LBB11_560:                             ;   in Loop: Header=BB11_550 Depth=1
	s_mov_b32 s22, 0
	s_mov_b64 s[4:5], s[6:7]
	s_cbranch_execnz .LBB11_552
.LBB11_561:                             ;   in Loop: Header=BB11_550 Depth=1
	global_load_dwordx2 v[8:9], v3, s[6:7]
	s_add_i32 s22, s16, -8
	s_add_u32 s4, s6, 8
	s_addc_u32 s5, s7, 0
	s_cmp_gt_u32 s22, 7
	s_cbranch_scc0 .LBB11_553
.LBB11_562:                             ;   in Loop: Header=BB11_550 Depth=1
                                        ; implicit-def: $vgpr10_vgpr11
                                        ; implicit-def: $sgpr23
.LBB11_563:                             ;   in Loop: Header=BB11_550 Depth=1
	global_load_dwordx2 v[10:11], v3, s[4:5]
	s_add_i32 s23, s22, -8
	s_add_u32 s4, s4, 8
	s_addc_u32 s5, s5, 0
.LBB11_564:                             ;   in Loop: Header=BB11_550 Depth=1
	s_cmp_gt_u32 s23, 7
	s_cbranch_scc1 .LBB11_569
; %bb.565:                              ;   in Loop: Header=BB11_550 Depth=1
	v_mov_b32_e32 v12, 0
	v_mov_b32_e32 v13, 0
	s_cmp_eq_u32 s23, 0
	s_cbranch_scc1 .LBB11_568
; %bb.566:                              ;   in Loop: Header=BB11_550 Depth=1
	s_mov_b64 s[18:19], 0
	s_mov_b64 s[20:21], 0
.LBB11_567:                             ;   Parent Loop BB11_550 Depth=1
                                        ; =>  This Inner Loop Header: Depth=2
	s_add_u32 s24, s4, s20
	s_addc_u32 s25, s5, s21
	s_add_u32 s20, s20, 1
	global_load_ubyte v2, v3, s[24:25]
	s_addc_u32 s21, s21, 0
	s_waitcnt vmcnt(0)
	v_and_b32_e32 v2, 0xffff, v2
	v_lshlrev_b64 v[14:15], s18, v[2:3]
	s_add_u32 s18, s18, 8
	s_addc_u32 s19, s19, 0
	s_cmp_lg_u32 s23, s20
	v_or_b32_e32 v12, v14, v12
	v_or_b32_e32 v13, v15, v13
	s_cbranch_scc1 .LBB11_567
.LBB11_568:                             ;   in Loop: Header=BB11_550 Depth=1
	s_mov_b32 s22, 0
	s_cbranch_execz .LBB11_570
	s_branch .LBB11_571
.LBB11_569:                             ;   in Loop: Header=BB11_550 Depth=1
                                        ; implicit-def: $sgpr22
.LBB11_570:                             ;   in Loop: Header=BB11_550 Depth=1
	global_load_dwordx2 v[12:13], v3, s[4:5]
	s_add_i32 s22, s23, -8
	s_add_u32 s4, s4, 8
	s_addc_u32 s5, s5, 0
.LBB11_571:                             ;   in Loop: Header=BB11_550 Depth=1
	s_cmp_gt_u32 s22, 7
	s_cbranch_scc1 .LBB11_576
; %bb.572:                              ;   in Loop: Header=BB11_550 Depth=1
	v_mov_b32_e32 v14, 0
	v_mov_b32_e32 v15, 0
	s_cmp_eq_u32 s22, 0
	s_cbranch_scc1 .LBB11_575
; %bb.573:                              ;   in Loop: Header=BB11_550 Depth=1
	s_mov_b64 s[18:19], 0
	s_mov_b64 s[20:21], 0
.LBB11_574:                             ;   Parent Loop BB11_550 Depth=1
                                        ; =>  This Inner Loop Header: Depth=2
	s_add_u32 s24, s4, s20
	s_addc_u32 s25, s5, s21
	s_add_u32 s20, s20, 1
	global_load_ubyte v2, v3, s[24:25]
	s_addc_u32 s21, s21, 0
	s_waitcnt vmcnt(0)
	v_and_b32_e32 v2, 0xffff, v2
	v_lshlrev_b64 v[16:17], s18, v[2:3]
	s_add_u32 s18, s18, 8
	s_addc_u32 s19, s19, 0
	s_cmp_lg_u32 s22, s20
	v_or_b32_e32 v14, v16, v14
	v_or_b32_e32 v15, v17, v15
	s_cbranch_scc1 .LBB11_574
.LBB11_575:                             ;   in Loop: Header=BB11_550 Depth=1
	s_mov_b32 s23, 0
	s_cbranch_execz .LBB11_577
	s_branch .LBB11_578
.LBB11_576:                             ;   in Loop: Header=BB11_550 Depth=1
                                        ; implicit-def: $vgpr14_vgpr15
                                        ; implicit-def: $sgpr23
.LBB11_577:                             ;   in Loop: Header=BB11_550 Depth=1
	global_load_dwordx2 v[14:15], v3, s[4:5]
	s_add_i32 s23, s22, -8
	s_add_u32 s4, s4, 8
	s_addc_u32 s5, s5, 0
.LBB11_578:                             ;   in Loop: Header=BB11_550 Depth=1
	s_cmp_gt_u32 s23, 7
	s_cbranch_scc1 .LBB11_583
; %bb.579:                              ;   in Loop: Header=BB11_550 Depth=1
	v_mov_b32_e32 v16, 0
	v_mov_b32_e32 v17, 0
	s_cmp_eq_u32 s23, 0
	s_cbranch_scc1 .LBB11_582
; %bb.580:                              ;   in Loop: Header=BB11_550 Depth=1
	s_mov_b64 s[18:19], 0
	s_mov_b64 s[20:21], 0
.LBB11_581:                             ;   Parent Loop BB11_550 Depth=1
                                        ; =>  This Inner Loop Header: Depth=2
	s_add_u32 s24, s4, s20
	s_addc_u32 s25, s5, s21
	s_add_u32 s20, s20, 1
	global_load_ubyte v2, v3, s[24:25]
	s_addc_u32 s21, s21, 0
	s_waitcnt vmcnt(0)
	v_and_b32_e32 v2, 0xffff, v2
	v_lshlrev_b64 v[18:19], s18, v[2:3]
	s_add_u32 s18, s18, 8
	s_addc_u32 s19, s19, 0
	s_cmp_lg_u32 s23, s20
	v_or_b32_e32 v16, v18, v16
	v_or_b32_e32 v17, v19, v17
	s_cbranch_scc1 .LBB11_581
.LBB11_582:                             ;   in Loop: Header=BB11_550 Depth=1
	s_mov_b32 s22, 0
	s_cbranch_execz .LBB11_584
	s_branch .LBB11_585
.LBB11_583:                             ;   in Loop: Header=BB11_550 Depth=1
                                        ; implicit-def: $sgpr22
.LBB11_584:                             ;   in Loop: Header=BB11_550 Depth=1
	global_load_dwordx2 v[16:17], v3, s[4:5]
	s_add_i32 s22, s23, -8
	s_add_u32 s4, s4, 8
	s_addc_u32 s5, s5, 0
.LBB11_585:                             ;   in Loop: Header=BB11_550 Depth=1
	s_cmp_gt_u32 s22, 7
	s_cbranch_scc1 .LBB11_590
; %bb.586:                              ;   in Loop: Header=BB11_550 Depth=1
	v_mov_b32_e32 v18, 0
	v_mov_b32_e32 v19, 0
	s_cmp_eq_u32 s22, 0
	s_cbranch_scc1 .LBB11_589
; %bb.587:                              ;   in Loop: Header=BB11_550 Depth=1
	s_mov_b64 s[18:19], 0
	s_mov_b64 s[20:21], 0
.LBB11_588:                             ;   Parent Loop BB11_550 Depth=1
                                        ; =>  This Inner Loop Header: Depth=2
	s_add_u32 s24, s4, s20
	s_addc_u32 s25, s5, s21
	s_add_u32 s20, s20, 1
	global_load_ubyte v2, v3, s[24:25]
	s_addc_u32 s21, s21, 0
	s_waitcnt vmcnt(0)
	v_and_b32_e32 v2, 0xffff, v2
	v_lshlrev_b64 v[20:21], s18, v[2:3]
	s_add_u32 s18, s18, 8
	s_addc_u32 s19, s19, 0
	s_cmp_lg_u32 s22, s20
	v_or_b32_e32 v18, v20, v18
	v_or_b32_e32 v19, v21, v19
	s_cbranch_scc1 .LBB11_588
.LBB11_589:                             ;   in Loop: Header=BB11_550 Depth=1
	s_mov_b32 s23, 0
	s_cbranch_execz .LBB11_591
	s_branch .LBB11_592
.LBB11_590:                             ;   in Loop: Header=BB11_550 Depth=1
                                        ; implicit-def: $vgpr18_vgpr19
                                        ; implicit-def: $sgpr23
.LBB11_591:                             ;   in Loop: Header=BB11_550 Depth=1
	global_load_dwordx2 v[18:19], v3, s[4:5]
	s_add_i32 s23, s22, -8
	s_add_u32 s4, s4, 8
	s_addc_u32 s5, s5, 0
.LBB11_592:                             ;   in Loop: Header=BB11_550 Depth=1
	s_cmp_gt_u32 s23, 7
	s_cbranch_scc1 .LBB11_597
; %bb.593:                              ;   in Loop: Header=BB11_550 Depth=1
	v_mov_b32_e32 v20, 0
	v_mov_b32_e32 v21, 0
	s_cmp_eq_u32 s23, 0
	s_cbranch_scc1 .LBB11_596
; %bb.594:                              ;   in Loop: Header=BB11_550 Depth=1
	s_mov_b64 s[18:19], 0
	s_mov_b64 s[20:21], s[4:5]
.LBB11_595:                             ;   Parent Loop BB11_550 Depth=1
                                        ; =>  This Inner Loop Header: Depth=2
	global_load_ubyte v2, v3, s[20:21]
	s_add_i32 s23, s23, -1
	s_waitcnt vmcnt(0)
	v_and_b32_e32 v2, 0xffff, v2
	v_lshlrev_b64 v[22:23], s18, v[2:3]
	s_add_u32 s18, s18, 8
	s_addc_u32 s19, s19, 0
	s_add_u32 s20, s20, 1
	s_addc_u32 s21, s21, 0
	s_cmp_lg_u32 s23, 0
	v_or_b32_e32 v20, v22, v20
	v_or_b32_e32 v21, v23, v21
	s_cbranch_scc1 .LBB11_595
.LBB11_596:                             ;   in Loop: Header=BB11_550 Depth=1
	s_cbranch_execz .LBB11_598
	s_branch .LBB11_599
.LBB11_597:                             ;   in Loop: Header=BB11_550 Depth=1
.LBB11_598:                             ;   in Loop: Header=BB11_550 Depth=1
	global_load_dwordx2 v[20:21], v3, s[4:5]
.LBB11_599:                             ;   in Loop: Header=BB11_550 Depth=1
	v_readfirstlane_b32 s4, v69
	v_mov_b32_e32 v26, 0
	v_mov_b32_e32 v27, 0
	v_cmp_eq_u32_e64 s4, s4, v69
	s_and_saveexec_b32 s5, s4
	s_cbranch_execz .LBB11_605
; %bb.600:                              ;   in Loop: Header=BB11_550 Depth=1
	global_load_dwordx2 v[24:25], v3, s[40:41] offset:24 glc dlc
	s_waitcnt vmcnt(0)
	buffer_gl1_inv
	buffer_gl0_inv
	s_clause 0x1
	global_load_dwordx2 v[22:23], v3, s[40:41] offset:40
	global_load_dwordx2 v[26:27], v3, s[40:41]
	s_mov_b32 s18, exec_lo
	s_waitcnt vmcnt(1)
	v_and_b32_e32 v2, v23, v25
	v_and_b32_e32 v22, v22, v24
	v_mul_lo_u32 v2, v2, 24
	v_mul_hi_u32 v23, v22, 24
	v_mul_lo_u32 v22, v22, 24
	v_add_nc_u32_e32 v2, v23, v2
	s_waitcnt vmcnt(0)
	v_add_co_u32 v22, vcc_lo, v26, v22
	v_add_co_ci_u32_e32 v23, vcc_lo, v27, v2, vcc_lo
	global_load_dwordx2 v[22:23], v[22:23], off glc dlc
	s_waitcnt vmcnt(0)
	global_atomic_cmpswap_x2 v[26:27], v3, v[22:25], s[40:41] offset:24 glc
	s_waitcnt vmcnt(0)
	buffer_gl1_inv
	buffer_gl0_inv
	v_cmpx_ne_u64_e64 v[26:27], v[24:25]
	s_cbranch_execz .LBB11_604
; %bb.601:                              ;   in Loop: Header=BB11_550 Depth=1
	s_mov_b32 s19, 0
	.p2align	6
.LBB11_602:                             ;   Parent Loop BB11_550 Depth=1
                                        ; =>  This Inner Loop Header: Depth=2
	s_sleep 1
	s_clause 0x1
	global_load_dwordx2 v[22:23], v3, s[40:41] offset:40
	global_load_dwordx2 v[28:29], v3, s[40:41]
	v_mov_b32_e32 v24, v26
	v_mov_b32_e32 v25, v27
	s_waitcnt vmcnt(1)
	v_and_b32_e32 v2, v22, v24
	v_and_b32_e32 v22, v23, v25
	s_waitcnt vmcnt(0)
	v_mad_u64_u32 v[26:27], null, v2, 24, v[28:29]
	v_mov_b32_e32 v2, v27
	v_mad_u64_u32 v[22:23], null, v22, 24, v[2:3]
	v_mov_b32_e32 v27, v22
	global_load_dwordx2 v[22:23], v[26:27], off glc dlc
	s_waitcnt vmcnt(0)
	global_atomic_cmpswap_x2 v[26:27], v3, v[22:25], s[40:41] offset:24 glc
	s_waitcnt vmcnt(0)
	buffer_gl1_inv
	buffer_gl0_inv
	v_cmp_eq_u64_e32 vcc_lo, v[26:27], v[24:25]
	s_or_b32 s19, vcc_lo, s19
	s_andn2_b32 exec_lo, exec_lo, s19
	s_cbranch_execnz .LBB11_602
; %bb.603:                              ;   in Loop: Header=BB11_550 Depth=1
	s_or_b32 exec_lo, exec_lo, s19
.LBB11_604:                             ;   in Loop: Header=BB11_550 Depth=1
	s_or_b32 exec_lo, exec_lo, s18
.LBB11_605:                             ;   in Loop: Header=BB11_550 Depth=1
	s_or_b32 exec_lo, exec_lo, s5
	s_clause 0x1
	global_load_dwordx2 v[28:29], v3, s[40:41] offset:40
	global_load_dwordx4 v[22:25], v3, s[40:41]
	v_readfirstlane_b32 s18, v26
	v_readfirstlane_b32 s19, v27
	s_mov_b32 s5, exec_lo
	s_waitcnt vmcnt(1)
	v_readfirstlane_b32 s20, v28
	v_readfirstlane_b32 s21, v29
	s_and_b64 s[20:21], s[18:19], s[20:21]
	s_mul_i32 s22, s21, 24
	s_mul_hi_u32 s23, s20, 24
	s_mul_i32 s24, s20, 24
	s_add_i32 s23, s23, s22
	s_waitcnt vmcnt(0)
	v_add_co_u32 v26, vcc_lo, v22, s24
	v_add_co_ci_u32_e32 v27, vcc_lo, s23, v23, vcc_lo
	s_and_saveexec_b32 s22, s4
	s_cbranch_execz .LBB11_607
; %bb.606:                              ;   in Loop: Header=BB11_550 Depth=1
	v_mov_b32_e32 v2, s5
	global_store_dwordx4 v[26:27], v[2:5], off offset:8
.LBB11_607:                             ;   in Loop: Header=BB11_550 Depth=1
	s_or_b32 exec_lo, exec_lo, s22
	s_lshl_b64 s[20:21], s[20:21], 12
	v_or_b32_e32 v2, 2, v6
	v_add_co_u32 v24, vcc_lo, v24, s20
	v_add_co_ci_u32_e32 v25, vcc_lo, s21, v25, vcc_lo
	v_cmp_gt_u64_e64 vcc_lo, s[10:11], 56
	s_lshl_b32 s5, s16, 2
	v_readfirstlane_b32 s20, v24
	s_add_i32 s5, s5, 28
	v_readfirstlane_b32 s21, v25
	s_and_b32 s5, s5, 0x1e0
	v_cndmask_b32_e32 v2, v2, v6, vcc_lo
	v_and_or_b32 v6, 0xffffff1f, v2, s5
	global_store_dwordx4 v68, v[10:13], s[20:21] offset:16
	global_store_dwordx4 v68, v[6:9], s[20:21]
	global_store_dwordx4 v68, v[14:17], s[20:21] offset:32
	global_store_dwordx4 v68, v[18:21], s[20:21] offset:48
	s_and_saveexec_b32 s5, s4
	s_cbranch_execz .LBB11_615
; %bb.608:                              ;   in Loop: Header=BB11_550 Depth=1
	s_clause 0x1
	global_load_dwordx2 v[14:15], v3, s[40:41] offset:32 glc dlc
	global_load_dwordx2 v[6:7], v3, s[40:41] offset:40
	v_mov_b32_e32 v12, s18
	v_mov_b32_e32 v13, s19
	s_waitcnt vmcnt(0)
	v_readfirstlane_b32 s20, v6
	v_readfirstlane_b32 s21, v7
	s_and_b64 s[20:21], s[20:21], s[18:19]
	s_mul_i32 s21, s21, 24
	s_mul_hi_u32 s22, s20, 24
	s_mul_i32 s20, s20, 24
	s_add_i32 s22, s22, s21
	v_add_co_u32 v10, vcc_lo, v22, s20
	v_add_co_ci_u32_e32 v11, vcc_lo, s22, v23, vcc_lo
	s_mov_b32 s20, exec_lo
	global_store_dwordx2 v[10:11], v[14:15], off
	s_waitcnt_vscnt null, 0x0
	global_atomic_cmpswap_x2 v[8:9], v3, v[12:15], s[40:41] offset:32 glc
	s_waitcnt vmcnt(0)
	v_cmpx_ne_u64_e64 v[8:9], v[14:15]
	s_cbranch_execz .LBB11_611
; %bb.609:                              ;   in Loop: Header=BB11_550 Depth=1
	s_mov_b32 s21, 0
.LBB11_610:                             ;   Parent Loop BB11_550 Depth=1
                                        ; =>  This Inner Loop Header: Depth=2
	v_mov_b32_e32 v6, s18
	v_mov_b32_e32 v7, s19
	s_sleep 1
	global_store_dwordx2 v[10:11], v[8:9], off
	s_waitcnt_vscnt null, 0x0
	global_atomic_cmpswap_x2 v[6:7], v3, v[6:9], s[40:41] offset:32 glc
	s_waitcnt vmcnt(0)
	v_cmp_eq_u64_e32 vcc_lo, v[6:7], v[8:9]
	v_mov_b32_e32 v9, v7
	v_mov_b32_e32 v8, v6
	s_or_b32 s21, vcc_lo, s21
	s_andn2_b32 exec_lo, exec_lo, s21
	s_cbranch_execnz .LBB11_610
.LBB11_611:                             ;   in Loop: Header=BB11_550 Depth=1
	s_or_b32 exec_lo, exec_lo, s20
	global_load_dwordx2 v[6:7], v3, s[40:41] offset:16
	s_mov_b32 s21, exec_lo
	s_mov_b32 s20, exec_lo
	v_mbcnt_lo_u32_b32 v2, s21, 0
	v_cmpx_eq_u32_e32 0, v2
	s_cbranch_execz .LBB11_613
; %bb.612:                              ;   in Loop: Header=BB11_550 Depth=1
	s_bcnt1_i32_b32 s21, s21
	v_mov_b32_e32 v2, s21
	s_waitcnt vmcnt(0)
	global_atomic_add_x2 v[6:7], v[2:3], off offset:8
.LBB11_613:                             ;   in Loop: Header=BB11_550 Depth=1
	s_or_b32 exec_lo, exec_lo, s20
	s_waitcnt vmcnt(0)
	global_load_dwordx2 v[8:9], v[6:7], off offset:16
	s_waitcnt vmcnt(0)
	v_cmp_eq_u64_e32 vcc_lo, 0, v[8:9]
	s_cbranch_vccnz .LBB11_615
; %bb.614:                              ;   in Loop: Header=BB11_550 Depth=1
	global_load_dword v2, v[6:7], off offset:24
	s_waitcnt vmcnt(0)
	v_and_b32_e32 v6, 0x7fffff, v2
	s_waitcnt_vscnt null, 0x0
	global_store_dwordx2 v[8:9], v[2:3], off
	v_readfirstlane_b32 m0, v6
	s_sendmsg sendmsg(MSG_INTERRUPT)
.LBB11_615:                             ;   in Loop: Header=BB11_550 Depth=1
	s_or_b32 exec_lo, exec_lo, s5
	v_add_co_u32 v6, vcc_lo, v24, v68
	v_add_co_ci_u32_e32 v7, vcc_lo, 0, v25, vcc_lo
	s_branch .LBB11_619
	.p2align	6
.LBB11_616:                             ;   in Loop: Header=BB11_619 Depth=2
	s_or_b32 exec_lo, exec_lo, s5
	v_readfirstlane_b32 s5, v2
	s_cmp_eq_u32 s5, 0
	s_cbranch_scc1 .LBB11_618
; %bb.617:                              ;   in Loop: Header=BB11_619 Depth=2
	s_sleep 1
	s_cbranch_execnz .LBB11_619
	s_branch .LBB11_621
	.p2align	6
.LBB11_618:                             ;   in Loop: Header=BB11_550 Depth=1
	s_branch .LBB11_621
.LBB11_619:                             ;   Parent Loop BB11_550 Depth=1
                                        ; =>  This Inner Loop Header: Depth=2
	v_mov_b32_e32 v2, 1
	s_and_saveexec_b32 s5, s4
	s_cbranch_execz .LBB11_616
; %bb.620:                              ;   in Loop: Header=BB11_619 Depth=2
	global_load_dword v2, v[26:27], off offset:20 glc dlc
	s_waitcnt vmcnt(0)
	buffer_gl1_inv
	buffer_gl0_inv
	v_and_b32_e32 v2, 1, v2
	s_branch .LBB11_616
.LBB11_621:                             ;   in Loop: Header=BB11_550 Depth=1
	global_load_dwordx4 v[6:9], v[6:7], off
	s_and_saveexec_b32 s5, s4
	s_cbranch_execz .LBB11_549
; %bb.622:                              ;   in Loop: Header=BB11_550 Depth=1
	s_clause 0x2
	global_load_dwordx2 v[10:11], v3, s[40:41] offset:40
	global_load_dwordx2 v[14:15], v3, s[40:41] offset:24 glc dlc
	global_load_dwordx2 v[12:13], v3, s[40:41]
	s_waitcnt vmcnt(2)
	v_add_co_u32 v2, vcc_lo, v10, 1
	v_add_co_ci_u32_e32 v16, vcc_lo, 0, v11, vcc_lo
	v_add_co_u32 v8, vcc_lo, v2, s18
	v_add_co_ci_u32_e32 v9, vcc_lo, s19, v16, vcc_lo
	v_cmp_eq_u64_e32 vcc_lo, 0, v[8:9]
	v_cndmask_b32_e32 v9, v9, v16, vcc_lo
	v_cndmask_b32_e32 v8, v8, v2, vcc_lo
	v_and_b32_e32 v2, v9, v11
	v_and_b32_e32 v10, v8, v10
	v_mul_lo_u32 v2, v2, 24
	v_mul_hi_u32 v11, v10, 24
	v_mul_lo_u32 v10, v10, 24
	v_add_nc_u32_e32 v2, v11, v2
	s_waitcnt vmcnt(0)
	v_add_co_u32 v12, vcc_lo, v12, v10
	v_mov_b32_e32 v10, v14
	v_mov_b32_e32 v11, v15
	v_add_co_ci_u32_e32 v13, vcc_lo, v13, v2, vcc_lo
	global_store_dwordx2 v[12:13], v[14:15], off
	s_waitcnt_vscnt null, 0x0
	global_atomic_cmpswap_x2 v[10:11], v3, v[8:11], s[40:41] offset:24 glc
	s_waitcnt vmcnt(0)
	v_cmp_ne_u64_e32 vcc_lo, v[10:11], v[14:15]
	s_and_b32 exec_lo, exec_lo, vcc_lo
	s_cbranch_execz .LBB11_549
; %bb.623:                              ;   in Loop: Header=BB11_550 Depth=1
	s_mov_b32 s4, 0
.LBB11_624:                             ;   Parent Loop BB11_550 Depth=1
                                        ; =>  This Inner Loop Header: Depth=2
	s_sleep 1
	global_store_dwordx2 v[12:13], v[10:11], off
	s_waitcnt_vscnt null, 0x0
	global_atomic_cmpswap_x2 v[14:15], v3, v[8:11], s[40:41] offset:24 glc
	s_waitcnt vmcnt(0)
	v_cmp_eq_u64_e32 vcc_lo, v[14:15], v[10:11]
	v_mov_b32_e32 v10, v14
	v_mov_b32_e32 v11, v15
	s_or_b32 s4, vcc_lo, s4
	s_andn2_b32 exec_lo, exec_lo, s4
	s_cbranch_execnz .LBB11_624
	s_branch .LBB11_549
.LBB11_625:
	s_branch .LBB11_654
.LBB11_626:
	s_cbranch_execz .LBB11_654
; %bb.627:
	v_readfirstlane_b32 s4, v69
	s_waitcnt vmcnt(0)
	v_mov_b32_e32 v8, 0
	v_mov_b32_e32 v9, 0
	v_cmp_eq_u32_e64 s4, s4, v69
	s_and_saveexec_b32 s5, s4
	s_cbranch_execz .LBB11_633
; %bb.628:
	v_mov_b32_e32 v2, 0
	s_mov_b32 s6, exec_lo
	global_load_dwordx2 v[5:6], v2, s[40:41] offset:24 glc dlc
	s_waitcnt vmcnt(0)
	buffer_gl1_inv
	buffer_gl0_inv
	s_clause 0x1
	global_load_dwordx2 v[3:4], v2, s[40:41] offset:40
	global_load_dwordx2 v[7:8], v2, s[40:41]
	s_waitcnt vmcnt(1)
	v_and_b32_e32 v4, v4, v6
	v_and_b32_e32 v3, v3, v5
	v_mul_lo_u32 v4, v4, 24
	v_mul_hi_u32 v9, v3, 24
	v_mul_lo_u32 v3, v3, 24
	v_add_nc_u32_e32 v4, v9, v4
	s_waitcnt vmcnt(0)
	v_add_co_u32 v3, vcc_lo, v7, v3
	v_add_co_ci_u32_e32 v4, vcc_lo, v8, v4, vcc_lo
	global_load_dwordx2 v[3:4], v[3:4], off glc dlc
	s_waitcnt vmcnt(0)
	global_atomic_cmpswap_x2 v[8:9], v2, v[3:6], s[40:41] offset:24 glc
	s_waitcnt vmcnt(0)
	buffer_gl1_inv
	buffer_gl0_inv
	v_cmpx_ne_u64_e64 v[8:9], v[5:6]
	s_cbranch_execz .LBB11_632
; %bb.629:
	s_mov_b32 s7, 0
	.p2align	6
.LBB11_630:                             ; =>This Inner Loop Header: Depth=1
	s_sleep 1
	s_clause 0x1
	global_load_dwordx2 v[3:4], v2, s[40:41] offset:40
	global_load_dwordx2 v[10:11], v2, s[40:41]
	v_mov_b32_e32 v5, v8
	v_mov_b32_e32 v6, v9
	s_waitcnt vmcnt(1)
	v_and_b32_e32 v3, v3, v5
	v_and_b32_e32 v4, v4, v6
	s_waitcnt vmcnt(0)
	v_mad_u64_u32 v[7:8], null, v3, 24, v[10:11]
	v_mov_b32_e32 v3, v8
	v_mad_u64_u32 v[3:4], null, v4, 24, v[3:4]
	v_mov_b32_e32 v8, v3
	global_load_dwordx2 v[3:4], v[7:8], off glc dlc
	s_waitcnt vmcnt(0)
	global_atomic_cmpswap_x2 v[8:9], v2, v[3:6], s[40:41] offset:24 glc
	s_waitcnt vmcnt(0)
	buffer_gl1_inv
	buffer_gl0_inv
	v_cmp_eq_u64_e32 vcc_lo, v[8:9], v[5:6]
	s_or_b32 s7, vcc_lo, s7
	s_andn2_b32 exec_lo, exec_lo, s7
	s_cbranch_execnz .LBB11_630
; %bb.631:
	s_or_b32 exec_lo, exec_lo, s7
.LBB11_632:
	s_or_b32 exec_lo, exec_lo, s6
.LBB11_633:
	s_or_b32 exec_lo, exec_lo, s5
	v_mov_b32_e32 v2, 0
	v_readfirstlane_b32 s6, v8
	v_readfirstlane_b32 s7, v9
	s_mov_b32 s5, exec_lo
	s_clause 0x1
	global_load_dwordx2 v[10:11], v2, s[40:41] offset:40
	global_load_dwordx4 v[4:7], v2, s[40:41]
	s_waitcnt vmcnt(1)
	v_readfirstlane_b32 s10, v10
	v_readfirstlane_b32 s11, v11
	s_and_b64 s[10:11], s[6:7], s[10:11]
	s_mul_i32 s16, s11, 24
	s_mul_hi_u32 s17, s10, 24
	s_mul_i32 s18, s10, 24
	s_add_i32 s17, s17, s16
	s_waitcnt vmcnt(0)
	v_add_co_u32 v8, vcc_lo, v4, s18
	v_add_co_ci_u32_e32 v9, vcc_lo, s17, v5, vcc_lo
	s_and_saveexec_b32 s16, s4
	s_cbranch_execz .LBB11_635
; %bb.634:
	v_mov_b32_e32 v10, s5
	v_mov_b32_e32 v11, v2
	v_mov_b32_e32 v12, 2
	v_mov_b32_e32 v13, 1
	global_store_dwordx4 v[8:9], v[10:13], off offset:8
.LBB11_635:
	s_or_b32 exec_lo, exec_lo, s16
	s_lshl_b64 s[10:11], s[10:11], 12
	s_mov_b32 s16, 0
	v_add_co_u32 v6, vcc_lo, v6, s10
	v_add_co_ci_u32_e32 v7, vcc_lo, s11, v7, vcc_lo
	s_mov_b32 s17, s16
	s_mov_b32 s18, s16
	;; [unrolled: 1-line block ×3, first 2 shown]
	v_and_or_b32 v0, 0xffffff1d, v0, 34
	v_mov_b32_e32 v3, v2
	v_readfirstlane_b32 s10, v6
	v_readfirstlane_b32 s11, v7
	v_mov_b32_e32 v10, s16
	v_mov_b32_e32 v11, s17
	;; [unrolled: 1-line block ×4, first 2 shown]
	global_store_dwordx4 v68, v[0:3], s[10:11]
	global_store_dwordx4 v68, v[10:13], s[10:11] offset:16
	global_store_dwordx4 v68, v[10:13], s[10:11] offset:32
	global_store_dwordx4 v68, v[10:13], s[10:11] offset:48
	s_and_saveexec_b32 s5, s4
	s_cbranch_execz .LBB11_643
; %bb.636:
	v_mov_b32_e32 v6, 0
	v_mov_b32_e32 v10, s6
	;; [unrolled: 1-line block ×3, first 2 shown]
	s_clause 0x1
	global_load_dwordx2 v[12:13], v6, s[40:41] offset:32 glc dlc
	global_load_dwordx2 v[0:1], v6, s[40:41] offset:40
	s_waitcnt vmcnt(0)
	v_readfirstlane_b32 s10, v0
	v_readfirstlane_b32 s11, v1
	s_and_b64 s[10:11], s[10:11], s[6:7]
	s_mul_i32 s11, s11, 24
	s_mul_hi_u32 s16, s10, 24
	s_mul_i32 s10, s10, 24
	s_add_i32 s16, s16, s11
	v_add_co_u32 v4, vcc_lo, v4, s10
	v_add_co_ci_u32_e32 v5, vcc_lo, s16, v5, vcc_lo
	s_mov_b32 s10, exec_lo
	global_store_dwordx2 v[4:5], v[12:13], off
	s_waitcnt_vscnt null, 0x0
	global_atomic_cmpswap_x2 v[2:3], v6, v[10:13], s[40:41] offset:32 glc
	s_waitcnt vmcnt(0)
	v_cmpx_ne_u64_e64 v[2:3], v[12:13]
	s_cbranch_execz .LBB11_639
; %bb.637:
	s_mov_b32 s11, 0
.LBB11_638:                             ; =>This Inner Loop Header: Depth=1
	v_mov_b32_e32 v0, s6
	v_mov_b32_e32 v1, s7
	s_sleep 1
	global_store_dwordx2 v[4:5], v[2:3], off
	s_waitcnt_vscnt null, 0x0
	global_atomic_cmpswap_x2 v[0:1], v6, v[0:3], s[40:41] offset:32 glc
	s_waitcnt vmcnt(0)
	v_cmp_eq_u64_e32 vcc_lo, v[0:1], v[2:3]
	v_mov_b32_e32 v3, v1
	v_mov_b32_e32 v2, v0
	s_or_b32 s11, vcc_lo, s11
	s_andn2_b32 exec_lo, exec_lo, s11
	s_cbranch_execnz .LBB11_638
.LBB11_639:
	s_or_b32 exec_lo, exec_lo, s10
	v_mov_b32_e32 v3, 0
	s_mov_b32 s11, exec_lo
	s_mov_b32 s10, exec_lo
	v_mbcnt_lo_u32_b32 v2, s11, 0
	global_load_dwordx2 v[0:1], v3, s[40:41] offset:16
	v_cmpx_eq_u32_e32 0, v2
	s_cbranch_execz .LBB11_641
; %bb.640:
	s_bcnt1_i32_b32 s11, s11
	v_mov_b32_e32 v2, s11
	s_waitcnt vmcnt(0)
	global_atomic_add_x2 v[0:1], v[2:3], off offset:8
.LBB11_641:
	s_or_b32 exec_lo, exec_lo, s10
	s_waitcnt vmcnt(0)
	global_load_dwordx2 v[2:3], v[0:1], off offset:16
	s_waitcnt vmcnt(0)
	v_cmp_eq_u64_e32 vcc_lo, 0, v[2:3]
	s_cbranch_vccnz .LBB11_643
; %bb.642:
	global_load_dword v0, v[0:1], off offset:24
	v_mov_b32_e32 v1, 0
	s_waitcnt vmcnt(0)
	v_and_b32_e32 v4, 0x7fffff, v0
	s_waitcnt_vscnt null, 0x0
	global_store_dwordx2 v[2:3], v[0:1], off
	v_readfirstlane_b32 m0, v4
	s_sendmsg sendmsg(MSG_INTERRUPT)
.LBB11_643:
	s_or_b32 exec_lo, exec_lo, s5
	s_branch .LBB11_647
	.p2align	6
.LBB11_644:                             ;   in Loop: Header=BB11_647 Depth=1
	s_or_b32 exec_lo, exec_lo, s5
	v_readfirstlane_b32 s5, v0
	s_cmp_eq_u32 s5, 0
	s_cbranch_scc1 .LBB11_646
; %bb.645:                              ;   in Loop: Header=BB11_647 Depth=1
	s_sleep 1
	s_cbranch_execnz .LBB11_647
	s_branch .LBB11_649
	.p2align	6
.LBB11_646:
	s_branch .LBB11_649
.LBB11_647:                             ; =>This Inner Loop Header: Depth=1
	v_mov_b32_e32 v0, 1
	s_and_saveexec_b32 s5, s4
	s_cbranch_execz .LBB11_644
; %bb.648:                              ;   in Loop: Header=BB11_647 Depth=1
	global_load_dword v0, v[8:9], off offset:20 glc dlc
	s_waitcnt vmcnt(0)
	buffer_gl1_inv
	buffer_gl0_inv
	v_and_b32_e32 v0, 1, v0
	s_branch .LBB11_644
.LBB11_649:
	s_and_saveexec_b32 s5, s4
	s_cbranch_execz .LBB11_653
; %bb.650:
	v_mov_b32_e32 v6, 0
	s_clause 0x2
	global_load_dwordx2 v[2:3], v6, s[40:41] offset:40
	global_load_dwordx2 v[7:8], v6, s[40:41] offset:24 glc dlc
	global_load_dwordx2 v[4:5], v6, s[40:41]
	s_waitcnt vmcnt(2)
	v_add_co_u32 v9, vcc_lo, v2, 1
	v_add_co_ci_u32_e32 v10, vcc_lo, 0, v3, vcc_lo
	v_add_co_u32 v0, vcc_lo, v9, s6
	v_add_co_ci_u32_e32 v1, vcc_lo, s7, v10, vcc_lo
	v_cmp_eq_u64_e32 vcc_lo, 0, v[0:1]
	v_cndmask_b32_e32 v1, v1, v10, vcc_lo
	v_cndmask_b32_e32 v0, v0, v9, vcc_lo
	v_and_b32_e32 v3, v1, v3
	v_and_b32_e32 v2, v0, v2
	v_mul_lo_u32 v3, v3, 24
	v_mul_hi_u32 v9, v2, 24
	v_mul_lo_u32 v2, v2, 24
	v_add_nc_u32_e32 v3, v9, v3
	s_waitcnt vmcnt(0)
	v_add_co_u32 v4, vcc_lo, v4, v2
	v_mov_b32_e32 v2, v7
	v_add_co_ci_u32_e32 v5, vcc_lo, v5, v3, vcc_lo
	v_mov_b32_e32 v3, v8
	global_store_dwordx2 v[4:5], v[7:8], off
	s_waitcnt_vscnt null, 0x0
	global_atomic_cmpswap_x2 v[2:3], v6, v[0:3], s[40:41] offset:24 glc
	s_waitcnt vmcnt(0)
	v_cmp_ne_u64_e32 vcc_lo, v[2:3], v[7:8]
	s_and_b32 exec_lo, exec_lo, vcc_lo
	s_cbranch_execz .LBB11_653
; %bb.651:
	s_mov_b32 s4, 0
.LBB11_652:                             ; =>This Inner Loop Header: Depth=1
	s_sleep 1
	global_store_dwordx2 v[4:5], v[2:3], off
	s_waitcnt_vscnt null, 0x0
	global_atomic_cmpswap_x2 v[7:8], v6, v[0:3], s[40:41] offset:24 glc
	s_waitcnt vmcnt(0)
	v_cmp_eq_u64_e32 vcc_lo, v[7:8], v[2:3]
	v_mov_b32_e32 v2, v7
	v_mov_b32_e32 v3, v8
	s_or_b32 s4, vcc_lo, s4
	s_andn2_b32 exec_lo, exec_lo, s4
	s_cbranch_execnz .LBB11_652
.LBB11_653:
	s_or_b32 exec_lo, exec_lo, s5
.LBB11_654:
	v_readfirstlane_b32 s4, v69
	s_waitcnt vmcnt(0)
	v_mov_b32_e32 v6, 0
	v_mov_b32_e32 v7, 0
	v_cmp_eq_u32_e64 s4, s4, v69
	s_and_saveexec_b32 s5, s4
	s_cbranch_execz .LBB11_660
; %bb.655:
	v_mov_b32_e32 v0, 0
	s_mov_b32 s6, exec_lo
	global_load_dwordx2 v[3:4], v0, s[40:41] offset:24 glc dlc
	s_waitcnt vmcnt(0)
	buffer_gl1_inv
	buffer_gl0_inv
	s_clause 0x1
	global_load_dwordx2 v[1:2], v0, s[40:41] offset:40
	global_load_dwordx2 v[5:6], v0, s[40:41]
	s_waitcnt vmcnt(1)
	v_and_b32_e32 v2, v2, v4
	v_and_b32_e32 v1, v1, v3
	v_mul_lo_u32 v2, v2, 24
	v_mul_hi_u32 v7, v1, 24
	v_mul_lo_u32 v1, v1, 24
	v_add_nc_u32_e32 v2, v7, v2
	s_waitcnt vmcnt(0)
	v_add_co_u32 v1, vcc_lo, v5, v1
	v_add_co_ci_u32_e32 v2, vcc_lo, v6, v2, vcc_lo
	global_load_dwordx2 v[1:2], v[1:2], off glc dlc
	s_waitcnt vmcnt(0)
	global_atomic_cmpswap_x2 v[6:7], v0, v[1:4], s[40:41] offset:24 glc
	s_waitcnt vmcnt(0)
	buffer_gl1_inv
	buffer_gl0_inv
	v_cmpx_ne_u64_e64 v[6:7], v[3:4]
	s_cbranch_execz .LBB11_659
; %bb.656:
	s_mov_b32 s7, 0
	.p2align	6
.LBB11_657:                             ; =>This Inner Loop Header: Depth=1
	s_sleep 1
	s_clause 0x1
	global_load_dwordx2 v[1:2], v0, s[40:41] offset:40
	global_load_dwordx2 v[8:9], v0, s[40:41]
	v_mov_b32_e32 v3, v6
	v_mov_b32_e32 v4, v7
	s_waitcnt vmcnt(1)
	v_and_b32_e32 v1, v1, v3
	v_and_b32_e32 v2, v2, v4
	s_waitcnt vmcnt(0)
	v_mad_u64_u32 v[5:6], null, v1, 24, v[8:9]
	v_mov_b32_e32 v1, v6
	v_mad_u64_u32 v[1:2], null, v2, 24, v[1:2]
	v_mov_b32_e32 v6, v1
	global_load_dwordx2 v[1:2], v[5:6], off glc dlc
	s_waitcnt vmcnt(0)
	global_atomic_cmpswap_x2 v[6:7], v0, v[1:4], s[40:41] offset:24 glc
	s_waitcnt vmcnt(0)
	buffer_gl1_inv
	buffer_gl0_inv
	v_cmp_eq_u64_e32 vcc_lo, v[6:7], v[3:4]
	s_or_b32 s7, vcc_lo, s7
	s_andn2_b32 exec_lo, exec_lo, s7
	s_cbranch_execnz .LBB11_657
; %bb.658:
	s_or_b32 exec_lo, exec_lo, s7
.LBB11_659:
	s_or_b32 exec_lo, exec_lo, s6
.LBB11_660:
	s_or_b32 exec_lo, exec_lo, s5
	v_mov_b32_e32 v5, 0
	v_readfirstlane_b32 s6, v6
	v_readfirstlane_b32 s7, v7
	s_mov_b32 s5, exec_lo
	s_clause 0x1
	global_load_dwordx2 v[8:9], v5, s[40:41] offset:40
	global_load_dwordx4 v[0:3], v5, s[40:41]
	s_waitcnt vmcnt(1)
	v_readfirstlane_b32 s10, v8
	v_readfirstlane_b32 s11, v9
	s_and_b64 s[10:11], s[6:7], s[10:11]
	s_mul_i32 s16, s11, 24
	s_mul_hi_u32 s17, s10, 24
	s_mul_i32 s18, s10, 24
	s_add_i32 s17, s17, s16
	s_waitcnt vmcnt(0)
	v_add_co_u32 v8, vcc_lo, v0, s18
	v_add_co_ci_u32_e32 v9, vcc_lo, s17, v1, vcc_lo
	s_and_saveexec_b32 s16, s4
	s_cbranch_execz .LBB11_662
; %bb.661:
	v_mov_b32_e32 v4, s5
	v_mov_b32_e32 v6, 2
	;; [unrolled: 1-line block ×3, first 2 shown]
	global_store_dwordx4 v[8:9], v[4:7], off offset:8
.LBB11_662:
	s_or_b32 exec_lo, exec_lo, s16
	s_lshl_b64 s[10:11], s[10:11], 12
	s_mov_b32 s16, 0
	v_add_co_u32 v2, vcc_lo, v2, s10
	v_add_co_ci_u32_e32 v3, vcc_lo, s11, v3, vcc_lo
	s_mov_b32 s17, s16
	v_add_co_u32 v10, vcc_lo, v2, v68
	s_mov_b32 s18, s16
	s_mov_b32 s19, s16
	v_mov_b32_e32 v4, 33
	v_mov_b32_e32 v6, v5
	;; [unrolled: 1-line block ×3, first 2 shown]
	v_readfirstlane_b32 s10, v2
	v_readfirstlane_b32 s11, v3
	v_mov_b32_e32 v12, s16
	v_add_co_ci_u32_e32 v11, vcc_lo, 0, v3, vcc_lo
	v_mov_b32_e32 v13, s17
	v_mov_b32_e32 v14, s18
	;; [unrolled: 1-line block ×3, first 2 shown]
	global_store_dwordx4 v68, v[4:7], s[10:11]
	global_store_dwordx4 v68, v[12:15], s[10:11] offset:16
	global_store_dwordx4 v68, v[12:15], s[10:11] offset:32
	;; [unrolled: 1-line block ×3, first 2 shown]
	s_and_saveexec_b32 s5, s4
	s_cbranch_execz .LBB11_670
; %bb.663:
	v_mov_b32_e32 v6, 0
	v_mov_b32_e32 v12, s6
	;; [unrolled: 1-line block ×3, first 2 shown]
	s_clause 0x1
	global_load_dwordx2 v[14:15], v6, s[40:41] offset:32 glc dlc
	global_load_dwordx2 v[2:3], v6, s[40:41] offset:40
	s_waitcnt vmcnt(0)
	v_readfirstlane_b32 s10, v2
	v_readfirstlane_b32 s11, v3
	s_and_b64 s[10:11], s[10:11], s[6:7]
	s_mul_i32 s11, s11, 24
	s_mul_hi_u32 s16, s10, 24
	s_mul_i32 s10, s10, 24
	s_add_i32 s16, s16, s11
	v_add_co_u32 v4, vcc_lo, v0, s10
	v_add_co_ci_u32_e32 v5, vcc_lo, s16, v1, vcc_lo
	s_mov_b32 s10, exec_lo
	global_store_dwordx2 v[4:5], v[14:15], off
	s_waitcnt_vscnt null, 0x0
	global_atomic_cmpswap_x2 v[2:3], v6, v[12:15], s[40:41] offset:32 glc
	s_waitcnt vmcnt(0)
	v_cmpx_ne_u64_e64 v[2:3], v[14:15]
	s_cbranch_execz .LBB11_666
; %bb.664:
	s_mov_b32 s11, 0
.LBB11_665:                             ; =>This Inner Loop Header: Depth=1
	v_mov_b32_e32 v0, s6
	v_mov_b32_e32 v1, s7
	s_sleep 1
	global_store_dwordx2 v[4:5], v[2:3], off
	s_waitcnt_vscnt null, 0x0
	global_atomic_cmpswap_x2 v[0:1], v6, v[0:3], s[40:41] offset:32 glc
	s_waitcnt vmcnt(0)
	v_cmp_eq_u64_e32 vcc_lo, v[0:1], v[2:3]
	v_mov_b32_e32 v3, v1
	v_mov_b32_e32 v2, v0
	s_or_b32 s11, vcc_lo, s11
	s_andn2_b32 exec_lo, exec_lo, s11
	s_cbranch_execnz .LBB11_665
.LBB11_666:
	s_or_b32 exec_lo, exec_lo, s10
	v_mov_b32_e32 v3, 0
	s_mov_b32 s11, exec_lo
	s_mov_b32 s10, exec_lo
	v_mbcnt_lo_u32_b32 v2, s11, 0
	global_load_dwordx2 v[0:1], v3, s[40:41] offset:16
	v_cmpx_eq_u32_e32 0, v2
	s_cbranch_execz .LBB11_668
; %bb.667:
	s_bcnt1_i32_b32 s11, s11
	v_mov_b32_e32 v2, s11
	s_waitcnt vmcnt(0)
	global_atomic_add_x2 v[0:1], v[2:3], off offset:8
.LBB11_668:
	s_or_b32 exec_lo, exec_lo, s10
	s_waitcnt vmcnt(0)
	global_load_dwordx2 v[2:3], v[0:1], off offset:16
	s_waitcnt vmcnt(0)
	v_cmp_eq_u64_e32 vcc_lo, 0, v[2:3]
	s_cbranch_vccnz .LBB11_670
; %bb.669:
	global_load_dword v0, v[0:1], off offset:24
	v_mov_b32_e32 v1, 0
	s_waitcnt vmcnt(0)
	v_and_b32_e32 v4, 0x7fffff, v0
	s_waitcnt_vscnt null, 0x0
	global_store_dwordx2 v[2:3], v[0:1], off
	v_readfirstlane_b32 m0, v4
	s_sendmsg sendmsg(MSG_INTERRUPT)
.LBB11_670:
	s_or_b32 exec_lo, exec_lo, s5
	s_branch .LBB11_674
	.p2align	6
.LBB11_671:                             ;   in Loop: Header=BB11_674 Depth=1
	s_or_b32 exec_lo, exec_lo, s5
	v_readfirstlane_b32 s5, v0
	s_cmp_eq_u32 s5, 0
	s_cbranch_scc1 .LBB11_673
; %bb.672:                              ;   in Loop: Header=BB11_674 Depth=1
	s_sleep 1
	s_cbranch_execnz .LBB11_674
	s_branch .LBB11_676
	.p2align	6
.LBB11_673:
	s_branch .LBB11_676
.LBB11_674:                             ; =>This Inner Loop Header: Depth=1
	v_mov_b32_e32 v0, 1
	s_and_saveexec_b32 s5, s4
	s_cbranch_execz .LBB11_671
; %bb.675:                              ;   in Loop: Header=BB11_674 Depth=1
	global_load_dword v0, v[8:9], off offset:20 glc dlc
	s_waitcnt vmcnt(0)
	buffer_gl1_inv
	buffer_gl0_inv
	v_and_b32_e32 v0, 1, v0
	s_branch .LBB11_671
.LBB11_676:
	global_load_dwordx2 v[0:1], v[10:11], off
	s_and_saveexec_b32 s5, s4
	s_cbranch_execz .LBB11_680
; %bb.677:
	v_mov_b32_e32 v8, 0
	s_clause 0x2
	global_load_dwordx2 v[4:5], v8, s[40:41] offset:40
	global_load_dwordx2 v[9:10], v8, s[40:41] offset:24 glc dlc
	global_load_dwordx2 v[6:7], v8, s[40:41]
	s_waitcnt vmcnt(2)
	v_add_co_u32 v11, vcc_lo, v4, 1
	v_add_co_ci_u32_e32 v12, vcc_lo, 0, v5, vcc_lo
	v_add_co_u32 v2, vcc_lo, v11, s6
	v_add_co_ci_u32_e32 v3, vcc_lo, s7, v12, vcc_lo
	v_cmp_eq_u64_e32 vcc_lo, 0, v[2:3]
	v_cndmask_b32_e32 v3, v3, v12, vcc_lo
	v_cndmask_b32_e32 v2, v2, v11, vcc_lo
	v_and_b32_e32 v5, v3, v5
	v_and_b32_e32 v4, v2, v4
	v_mul_lo_u32 v5, v5, 24
	v_mul_hi_u32 v11, v4, 24
	v_mul_lo_u32 v4, v4, 24
	v_add_nc_u32_e32 v5, v11, v5
	s_waitcnt vmcnt(0)
	v_add_co_u32 v6, vcc_lo, v6, v4
	v_mov_b32_e32 v4, v9
	v_add_co_ci_u32_e32 v7, vcc_lo, v7, v5, vcc_lo
	v_mov_b32_e32 v5, v10
	global_store_dwordx2 v[6:7], v[9:10], off
	s_waitcnt_vscnt null, 0x0
	global_atomic_cmpswap_x2 v[4:5], v8, v[2:5], s[40:41] offset:24 glc
	s_waitcnt vmcnt(0)
	v_cmp_ne_u64_e32 vcc_lo, v[4:5], v[9:10]
	s_and_b32 exec_lo, exec_lo, vcc_lo
	s_cbranch_execz .LBB11_680
; %bb.678:
	s_mov_b32 s4, 0
.LBB11_679:                             ; =>This Inner Loop Header: Depth=1
	s_sleep 1
	global_store_dwordx2 v[6:7], v[4:5], off
	s_waitcnt_vscnt null, 0x0
	global_atomic_cmpswap_x2 v[9:10], v8, v[2:5], s[40:41] offset:24 glc
	s_waitcnt vmcnt(0)
	v_cmp_eq_u64_e32 vcc_lo, v[9:10], v[4:5]
	v_mov_b32_e32 v4, v9
	v_mov_b32_e32 v5, v10
	s_or_b32 s4, vcc_lo, s4
	s_andn2_b32 exec_lo, exec_lo, s4
	s_cbranch_execnz .LBB11_679
.LBB11_680:
	s_or_b32 exec_lo, exec_lo, s5
	s_and_b32 vcc_lo, exec_lo, s44
	s_cbranch_vccz .LBB11_759
; %bb.681:
	s_waitcnt vmcnt(0)
	v_and_b32_e32 v31, 2, v0
	v_mov_b32_e32 v6, 0
	v_and_b32_e32 v2, -3, v0
	v_mov_b32_e32 v3, v1
	v_mov_b32_e32 v7, 2
	;; [unrolled: 1-line block ×3, first 2 shown]
	s_mov_b64 s[10:11], 3
	s_getpc_b64 s[6:7]
	s_add_u32 s6, s6, .str.6@rel32@lo+4
	s_addc_u32 s7, s7, .str.6@rel32@hi+12
	s_branch .LBB11_683
.LBB11_682:                             ;   in Loop: Header=BB11_683 Depth=1
	s_or_b32 exec_lo, exec_lo, s5
	s_sub_u32 s10, s10, s16
	s_subb_u32 s11, s11, s17
	s_add_u32 s6, s6, s16
	s_addc_u32 s7, s7, s17
	s_cmp_lg_u64 s[10:11], 0
	s_cbranch_scc0 .LBB11_758
.LBB11_683:                             ; =>This Loop Header: Depth=1
                                        ;     Child Loop BB11_692 Depth 2
                                        ;     Child Loop BB11_688 Depth 2
	;; [unrolled: 1-line block ×11, first 2 shown]
	v_cmp_lt_u64_e64 s4, s[10:11], 56
	v_cmp_gt_u64_e64 s5, s[10:11], 7
                                        ; implicit-def: $vgpr11_vgpr12
                                        ; implicit-def: $sgpr22
	s_and_b32 s4, s4, exec_lo
	s_cselect_b32 s17, s11, 0
	s_cselect_b32 s16, s10, 56
	s_and_b32 vcc_lo, exec_lo, s5
	s_mov_b32 s4, -1
	s_cbranch_vccz .LBB11_690
; %bb.684:                              ;   in Loop: Header=BB11_683 Depth=1
	s_andn2_b32 vcc_lo, exec_lo, s4
	s_mov_b64 s[4:5], s[6:7]
	s_cbranch_vccz .LBB11_694
.LBB11_685:                             ;   in Loop: Header=BB11_683 Depth=1
	s_cmp_gt_u32 s22, 7
	s_cbranch_scc1 .LBB11_695
.LBB11_686:                             ;   in Loop: Header=BB11_683 Depth=1
	v_mov_b32_e32 v13, 0
	v_mov_b32_e32 v14, 0
	s_cmp_eq_u32 s22, 0
	s_cbranch_scc1 .LBB11_689
; %bb.687:                              ;   in Loop: Header=BB11_683 Depth=1
	s_mov_b64 s[18:19], 0
	s_mov_b64 s[20:21], 0
.LBB11_688:                             ;   Parent Loop BB11_683 Depth=1
                                        ; =>  This Inner Loop Header: Depth=2
	s_add_u32 s24, s4, s20
	s_addc_u32 s25, s5, s21
	s_add_u32 s20, s20, 1
	global_load_ubyte v4, v6, s[24:25]
	s_addc_u32 s21, s21, 0
	s_waitcnt vmcnt(0)
	v_and_b32_e32 v5, 0xffff, v4
	v_lshlrev_b64 v[4:5], s18, v[5:6]
	s_add_u32 s18, s18, 8
	s_addc_u32 s19, s19, 0
	s_cmp_lg_u32 s22, s20
	v_or_b32_e32 v13, v4, v13
	v_or_b32_e32 v14, v5, v14
	s_cbranch_scc1 .LBB11_688
.LBB11_689:                             ;   in Loop: Header=BB11_683 Depth=1
	s_mov_b32 s23, 0
	s_cbranch_execz .LBB11_696
	s_branch .LBB11_697
.LBB11_690:                             ;   in Loop: Header=BB11_683 Depth=1
	v_mov_b32_e32 v11, 0
	v_mov_b32_e32 v12, 0
	s_cmp_eq_u64 s[10:11], 0
	s_mov_b64 s[4:5], 0
	s_cbranch_scc1 .LBB11_693
; %bb.691:                              ;   in Loop: Header=BB11_683 Depth=1
	v_mov_b32_e32 v11, 0
	v_mov_b32_e32 v12, 0
	s_lshl_b64 s[18:19], s[16:17], 3
	s_mov_b64 s[20:21], s[6:7]
.LBB11_692:                             ;   Parent Loop BB11_683 Depth=1
                                        ; =>  This Inner Loop Header: Depth=2
	global_load_ubyte v4, v6, s[20:21]
	s_waitcnt vmcnt(0)
	v_and_b32_e32 v5, 0xffff, v4
	v_lshlrev_b64 v[4:5], s4, v[5:6]
	s_add_u32 s4, s4, 8
	s_addc_u32 s5, s5, 0
	s_add_u32 s20, s20, 1
	s_addc_u32 s21, s21, 0
	s_cmp_lg_u32 s18, s4
	v_or_b32_e32 v11, v4, v11
	v_or_b32_e32 v12, v5, v12
	s_cbranch_scc1 .LBB11_692
.LBB11_693:                             ;   in Loop: Header=BB11_683 Depth=1
	s_mov_b32 s22, 0
	s_mov_b64 s[4:5], s[6:7]
	s_cbranch_execnz .LBB11_685
.LBB11_694:                             ;   in Loop: Header=BB11_683 Depth=1
	global_load_dwordx2 v[11:12], v6, s[6:7]
	s_add_i32 s22, s16, -8
	s_add_u32 s4, s6, 8
	s_addc_u32 s5, s7, 0
	s_cmp_gt_u32 s22, 7
	s_cbranch_scc0 .LBB11_686
.LBB11_695:                             ;   in Loop: Header=BB11_683 Depth=1
                                        ; implicit-def: $vgpr13_vgpr14
                                        ; implicit-def: $sgpr23
.LBB11_696:                             ;   in Loop: Header=BB11_683 Depth=1
	global_load_dwordx2 v[13:14], v6, s[4:5]
	s_add_i32 s23, s22, -8
	s_add_u32 s4, s4, 8
	s_addc_u32 s5, s5, 0
.LBB11_697:                             ;   in Loop: Header=BB11_683 Depth=1
	s_cmp_gt_u32 s23, 7
	s_cbranch_scc1 .LBB11_702
; %bb.698:                              ;   in Loop: Header=BB11_683 Depth=1
	v_mov_b32_e32 v15, 0
	v_mov_b32_e32 v16, 0
	s_cmp_eq_u32 s23, 0
	s_cbranch_scc1 .LBB11_701
; %bb.699:                              ;   in Loop: Header=BB11_683 Depth=1
	s_mov_b64 s[18:19], 0
	s_mov_b64 s[20:21], 0
.LBB11_700:                             ;   Parent Loop BB11_683 Depth=1
                                        ; =>  This Inner Loop Header: Depth=2
	s_add_u32 s24, s4, s20
	s_addc_u32 s25, s5, s21
	s_add_u32 s20, s20, 1
	global_load_ubyte v4, v6, s[24:25]
	s_addc_u32 s21, s21, 0
	s_waitcnt vmcnt(0)
	v_and_b32_e32 v5, 0xffff, v4
	v_lshlrev_b64 v[4:5], s18, v[5:6]
	s_add_u32 s18, s18, 8
	s_addc_u32 s19, s19, 0
	s_cmp_lg_u32 s23, s20
	v_or_b32_e32 v15, v4, v15
	v_or_b32_e32 v16, v5, v16
	s_cbranch_scc1 .LBB11_700
.LBB11_701:                             ;   in Loop: Header=BB11_683 Depth=1
	s_mov_b32 s22, 0
	s_cbranch_execz .LBB11_703
	s_branch .LBB11_704
.LBB11_702:                             ;   in Loop: Header=BB11_683 Depth=1
                                        ; implicit-def: $sgpr22
.LBB11_703:                             ;   in Loop: Header=BB11_683 Depth=1
	global_load_dwordx2 v[15:16], v6, s[4:5]
	s_add_i32 s22, s23, -8
	s_add_u32 s4, s4, 8
	s_addc_u32 s5, s5, 0
.LBB11_704:                             ;   in Loop: Header=BB11_683 Depth=1
	s_cmp_gt_u32 s22, 7
	s_cbranch_scc1 .LBB11_709
; %bb.705:                              ;   in Loop: Header=BB11_683 Depth=1
	v_mov_b32_e32 v17, 0
	v_mov_b32_e32 v18, 0
	s_cmp_eq_u32 s22, 0
	s_cbranch_scc1 .LBB11_708
; %bb.706:                              ;   in Loop: Header=BB11_683 Depth=1
	s_mov_b64 s[18:19], 0
	s_mov_b64 s[20:21], 0
.LBB11_707:                             ;   Parent Loop BB11_683 Depth=1
                                        ; =>  This Inner Loop Header: Depth=2
	s_add_u32 s24, s4, s20
	s_addc_u32 s25, s5, s21
	s_add_u32 s20, s20, 1
	global_load_ubyte v4, v6, s[24:25]
	s_addc_u32 s21, s21, 0
	s_waitcnt vmcnt(0)
	v_and_b32_e32 v5, 0xffff, v4
	v_lshlrev_b64 v[4:5], s18, v[5:6]
	s_add_u32 s18, s18, 8
	s_addc_u32 s19, s19, 0
	s_cmp_lg_u32 s22, s20
	v_or_b32_e32 v17, v4, v17
	v_or_b32_e32 v18, v5, v18
	s_cbranch_scc1 .LBB11_707
.LBB11_708:                             ;   in Loop: Header=BB11_683 Depth=1
	s_mov_b32 s23, 0
	s_cbranch_execz .LBB11_710
	s_branch .LBB11_711
.LBB11_709:                             ;   in Loop: Header=BB11_683 Depth=1
                                        ; implicit-def: $vgpr17_vgpr18
                                        ; implicit-def: $sgpr23
.LBB11_710:                             ;   in Loop: Header=BB11_683 Depth=1
	global_load_dwordx2 v[17:18], v6, s[4:5]
	s_add_i32 s23, s22, -8
	s_add_u32 s4, s4, 8
	s_addc_u32 s5, s5, 0
.LBB11_711:                             ;   in Loop: Header=BB11_683 Depth=1
	s_cmp_gt_u32 s23, 7
	s_cbranch_scc1 .LBB11_716
; %bb.712:                              ;   in Loop: Header=BB11_683 Depth=1
	v_mov_b32_e32 v19, 0
	v_mov_b32_e32 v20, 0
	s_cmp_eq_u32 s23, 0
	s_cbranch_scc1 .LBB11_715
; %bb.713:                              ;   in Loop: Header=BB11_683 Depth=1
	s_mov_b64 s[18:19], 0
	s_mov_b64 s[20:21], 0
.LBB11_714:                             ;   Parent Loop BB11_683 Depth=1
                                        ; =>  This Inner Loop Header: Depth=2
	s_add_u32 s24, s4, s20
	s_addc_u32 s25, s5, s21
	s_add_u32 s20, s20, 1
	global_load_ubyte v4, v6, s[24:25]
	s_addc_u32 s21, s21, 0
	s_waitcnt vmcnt(0)
	v_and_b32_e32 v5, 0xffff, v4
	v_lshlrev_b64 v[4:5], s18, v[5:6]
	s_add_u32 s18, s18, 8
	s_addc_u32 s19, s19, 0
	s_cmp_lg_u32 s23, s20
	v_or_b32_e32 v19, v4, v19
	v_or_b32_e32 v20, v5, v20
	s_cbranch_scc1 .LBB11_714
.LBB11_715:                             ;   in Loop: Header=BB11_683 Depth=1
	s_mov_b32 s22, 0
	s_cbranch_execz .LBB11_717
	s_branch .LBB11_718
.LBB11_716:                             ;   in Loop: Header=BB11_683 Depth=1
                                        ; implicit-def: $sgpr22
.LBB11_717:                             ;   in Loop: Header=BB11_683 Depth=1
	global_load_dwordx2 v[19:20], v6, s[4:5]
	s_add_i32 s22, s23, -8
	s_add_u32 s4, s4, 8
	s_addc_u32 s5, s5, 0
.LBB11_718:                             ;   in Loop: Header=BB11_683 Depth=1
	s_cmp_gt_u32 s22, 7
	s_cbranch_scc1 .LBB11_723
; %bb.719:                              ;   in Loop: Header=BB11_683 Depth=1
	v_mov_b32_e32 v21, 0
	v_mov_b32_e32 v22, 0
	s_cmp_eq_u32 s22, 0
	s_cbranch_scc1 .LBB11_722
; %bb.720:                              ;   in Loop: Header=BB11_683 Depth=1
	s_mov_b64 s[18:19], 0
	s_mov_b64 s[20:21], 0
.LBB11_721:                             ;   Parent Loop BB11_683 Depth=1
                                        ; =>  This Inner Loop Header: Depth=2
	s_add_u32 s24, s4, s20
	s_addc_u32 s25, s5, s21
	s_add_u32 s20, s20, 1
	global_load_ubyte v4, v6, s[24:25]
	s_addc_u32 s21, s21, 0
	s_waitcnt vmcnt(0)
	v_and_b32_e32 v5, 0xffff, v4
	v_lshlrev_b64 v[4:5], s18, v[5:6]
	s_add_u32 s18, s18, 8
	s_addc_u32 s19, s19, 0
	s_cmp_lg_u32 s22, s20
	v_or_b32_e32 v21, v4, v21
	v_or_b32_e32 v22, v5, v22
	s_cbranch_scc1 .LBB11_721
.LBB11_722:                             ;   in Loop: Header=BB11_683 Depth=1
	s_mov_b32 s23, 0
	s_cbranch_execz .LBB11_724
	s_branch .LBB11_725
.LBB11_723:                             ;   in Loop: Header=BB11_683 Depth=1
                                        ; implicit-def: $vgpr21_vgpr22
                                        ; implicit-def: $sgpr23
.LBB11_724:                             ;   in Loop: Header=BB11_683 Depth=1
	global_load_dwordx2 v[21:22], v6, s[4:5]
	s_add_i32 s23, s22, -8
	s_add_u32 s4, s4, 8
	s_addc_u32 s5, s5, 0
.LBB11_725:                             ;   in Loop: Header=BB11_683 Depth=1
	s_cmp_gt_u32 s23, 7
	s_cbranch_scc1 .LBB11_730
; %bb.726:                              ;   in Loop: Header=BB11_683 Depth=1
	v_mov_b32_e32 v23, 0
	v_mov_b32_e32 v24, 0
	s_cmp_eq_u32 s23, 0
	s_cbranch_scc1 .LBB11_729
; %bb.727:                              ;   in Loop: Header=BB11_683 Depth=1
	s_mov_b64 s[18:19], 0
	s_mov_b64 s[20:21], s[4:5]
.LBB11_728:                             ;   Parent Loop BB11_683 Depth=1
                                        ; =>  This Inner Loop Header: Depth=2
	global_load_ubyte v4, v6, s[20:21]
	s_add_i32 s23, s23, -1
	s_waitcnt vmcnt(0)
	v_and_b32_e32 v5, 0xffff, v4
	v_lshlrev_b64 v[4:5], s18, v[5:6]
	s_add_u32 s18, s18, 8
	s_addc_u32 s19, s19, 0
	s_add_u32 s20, s20, 1
	s_addc_u32 s21, s21, 0
	s_cmp_lg_u32 s23, 0
	v_or_b32_e32 v23, v4, v23
	v_or_b32_e32 v24, v5, v24
	s_cbranch_scc1 .LBB11_728
.LBB11_729:                             ;   in Loop: Header=BB11_683 Depth=1
	s_cbranch_execz .LBB11_731
	s_branch .LBB11_732
.LBB11_730:                             ;   in Loop: Header=BB11_683 Depth=1
.LBB11_731:                             ;   in Loop: Header=BB11_683 Depth=1
	global_load_dwordx2 v[23:24], v6, s[4:5]
.LBB11_732:                             ;   in Loop: Header=BB11_683 Depth=1
	v_readfirstlane_b32 s4, v69
	s_waitcnt vmcnt(0)
	v_mov_b32_e32 v4, 0
	v_mov_b32_e32 v5, 0
	v_cmp_eq_u32_e64 s4, s4, v69
	s_and_saveexec_b32 s5, s4
	s_cbranch_execz .LBB11_738
; %bb.733:                              ;   in Loop: Header=BB11_683 Depth=1
	global_load_dwordx2 v[27:28], v6, s[40:41] offset:24 glc dlc
	s_waitcnt vmcnt(0)
	buffer_gl1_inv
	buffer_gl0_inv
	s_clause 0x1
	global_load_dwordx2 v[4:5], v6, s[40:41] offset:40
	global_load_dwordx2 v[9:10], v6, s[40:41]
	s_mov_b32 s18, exec_lo
	s_waitcnt vmcnt(1)
	v_and_b32_e32 v5, v5, v28
	v_and_b32_e32 v4, v4, v27
	v_mul_lo_u32 v5, v5, 24
	v_mul_hi_u32 v25, v4, 24
	v_mul_lo_u32 v4, v4, 24
	v_add_nc_u32_e32 v5, v25, v5
	s_waitcnt vmcnt(0)
	v_add_co_u32 v4, vcc_lo, v9, v4
	v_add_co_ci_u32_e32 v5, vcc_lo, v10, v5, vcc_lo
	global_load_dwordx2 v[25:26], v[4:5], off glc dlc
	s_waitcnt vmcnt(0)
	global_atomic_cmpswap_x2 v[4:5], v6, v[25:28], s[40:41] offset:24 glc
	s_waitcnt vmcnt(0)
	buffer_gl1_inv
	buffer_gl0_inv
	v_cmpx_ne_u64_e64 v[4:5], v[27:28]
	s_cbranch_execz .LBB11_737
; %bb.734:                              ;   in Loop: Header=BB11_683 Depth=1
	s_mov_b32 s19, 0
	.p2align	6
.LBB11_735:                             ;   Parent Loop BB11_683 Depth=1
                                        ; =>  This Inner Loop Header: Depth=2
	s_sleep 1
	s_clause 0x1
	global_load_dwordx2 v[9:10], v6, s[40:41] offset:40
	global_load_dwordx2 v[25:26], v6, s[40:41]
	v_mov_b32_e32 v28, v5
	v_mov_b32_e32 v27, v4
	s_waitcnt vmcnt(1)
	v_and_b32_e32 v4, v9, v27
	v_and_b32_e32 v9, v10, v28
	s_waitcnt vmcnt(0)
	v_mad_u64_u32 v[4:5], null, v4, 24, v[25:26]
	v_mad_u64_u32 v[9:10], null, v9, 24, v[5:6]
	v_mov_b32_e32 v5, v9
	global_load_dwordx2 v[25:26], v[4:5], off glc dlc
	s_waitcnt vmcnt(0)
	global_atomic_cmpswap_x2 v[4:5], v6, v[25:28], s[40:41] offset:24 glc
	s_waitcnt vmcnt(0)
	buffer_gl1_inv
	buffer_gl0_inv
	v_cmp_eq_u64_e32 vcc_lo, v[4:5], v[27:28]
	s_or_b32 s19, vcc_lo, s19
	s_andn2_b32 exec_lo, exec_lo, s19
	s_cbranch_execnz .LBB11_735
; %bb.736:                              ;   in Loop: Header=BB11_683 Depth=1
	s_or_b32 exec_lo, exec_lo, s19
.LBB11_737:                             ;   in Loop: Header=BB11_683 Depth=1
	s_or_b32 exec_lo, exec_lo, s18
.LBB11_738:                             ;   in Loop: Header=BB11_683 Depth=1
	s_or_b32 exec_lo, exec_lo, s5
	s_clause 0x1
	global_load_dwordx2 v[9:10], v6, s[40:41] offset:40
	global_load_dwordx4 v[25:28], v6, s[40:41]
	v_readfirstlane_b32 s18, v4
	v_readfirstlane_b32 s19, v5
	s_mov_b32 s5, exec_lo
	s_waitcnt vmcnt(1)
	v_readfirstlane_b32 s20, v9
	v_readfirstlane_b32 s21, v10
	s_and_b64 s[20:21], s[18:19], s[20:21]
	s_mul_i32 s22, s21, 24
	s_mul_hi_u32 s23, s20, 24
	s_mul_i32 s24, s20, 24
	s_add_i32 s23, s23, s22
	s_waitcnt vmcnt(0)
	v_add_co_u32 v29, vcc_lo, v25, s24
	v_add_co_ci_u32_e32 v30, vcc_lo, s23, v26, vcc_lo
	s_and_saveexec_b32 s22, s4
	s_cbranch_execz .LBB11_740
; %bb.739:                              ;   in Loop: Header=BB11_683 Depth=1
	v_mov_b32_e32 v5, s5
	global_store_dwordx4 v[29:30], v[5:8], off offset:8
.LBB11_740:                             ;   in Loop: Header=BB11_683 Depth=1
	s_or_b32 exec_lo, exec_lo, s22
	s_lshl_b64 s[20:21], s[20:21], 12
	v_cmp_gt_u64_e64 vcc_lo, s[10:11], 56
	v_or_b32_e32 v5, v2, v31
	v_add_co_u32 v27, s5, v27, s20
	v_add_co_ci_u32_e64 v28, s5, s21, v28, s5
	s_lshl_b32 s5, s16, 2
	v_or_b32_e32 v4, 0, v3
	v_cndmask_b32_e32 v2, v5, v2, vcc_lo
	s_add_i32 s5, s5, 28
	v_readfirstlane_b32 s20, v27
	s_and_b32 s5, s5, 0x1e0
	v_cndmask_b32_e32 v10, v4, v3, vcc_lo
	v_readfirstlane_b32 s21, v28
	v_and_or_b32 v9, 0xffffff1f, v2, s5
	global_store_dwordx4 v68, v[9:12], s[20:21]
	global_store_dwordx4 v68, v[13:16], s[20:21] offset:16
	global_store_dwordx4 v68, v[17:20], s[20:21] offset:32
	;; [unrolled: 1-line block ×3, first 2 shown]
	s_and_saveexec_b32 s5, s4
	s_cbranch_execz .LBB11_748
; %bb.741:                              ;   in Loop: Header=BB11_683 Depth=1
	s_clause 0x1
	global_load_dwordx2 v[13:14], v6, s[40:41] offset:32 glc dlc
	global_load_dwordx2 v[2:3], v6, s[40:41] offset:40
	v_mov_b32_e32 v11, s18
	v_mov_b32_e32 v12, s19
	s_waitcnt vmcnt(0)
	v_readfirstlane_b32 s20, v2
	v_readfirstlane_b32 s21, v3
	s_and_b64 s[20:21], s[20:21], s[18:19]
	s_mul_i32 s21, s21, 24
	s_mul_hi_u32 s22, s20, 24
	s_mul_i32 s20, s20, 24
	s_add_i32 s22, s22, s21
	v_add_co_u32 v9, vcc_lo, v25, s20
	v_add_co_ci_u32_e32 v10, vcc_lo, s22, v26, vcc_lo
	s_mov_b32 s20, exec_lo
	global_store_dwordx2 v[9:10], v[13:14], off
	s_waitcnt_vscnt null, 0x0
	global_atomic_cmpswap_x2 v[4:5], v6, v[11:14], s[40:41] offset:32 glc
	s_waitcnt vmcnt(0)
	v_cmpx_ne_u64_e64 v[4:5], v[13:14]
	s_cbranch_execz .LBB11_744
; %bb.742:                              ;   in Loop: Header=BB11_683 Depth=1
	s_mov_b32 s21, 0
.LBB11_743:                             ;   Parent Loop BB11_683 Depth=1
                                        ; =>  This Inner Loop Header: Depth=2
	v_mov_b32_e32 v2, s18
	v_mov_b32_e32 v3, s19
	s_sleep 1
	global_store_dwordx2 v[9:10], v[4:5], off
	s_waitcnt_vscnt null, 0x0
	global_atomic_cmpswap_x2 v[2:3], v6, v[2:5], s[40:41] offset:32 glc
	s_waitcnt vmcnt(0)
	v_cmp_eq_u64_e32 vcc_lo, v[2:3], v[4:5]
	v_mov_b32_e32 v5, v3
	v_mov_b32_e32 v4, v2
	s_or_b32 s21, vcc_lo, s21
	s_andn2_b32 exec_lo, exec_lo, s21
	s_cbranch_execnz .LBB11_743
.LBB11_744:                             ;   in Loop: Header=BB11_683 Depth=1
	s_or_b32 exec_lo, exec_lo, s20
	global_load_dwordx2 v[2:3], v6, s[40:41] offset:16
	s_mov_b32 s21, exec_lo
	s_mov_b32 s20, exec_lo
	v_mbcnt_lo_u32_b32 v4, s21, 0
	v_cmpx_eq_u32_e32 0, v4
	s_cbranch_execz .LBB11_746
; %bb.745:                              ;   in Loop: Header=BB11_683 Depth=1
	s_bcnt1_i32_b32 s21, s21
	v_mov_b32_e32 v5, s21
	s_waitcnt vmcnt(0)
	global_atomic_add_x2 v[2:3], v[5:6], off offset:8
.LBB11_746:                             ;   in Loop: Header=BB11_683 Depth=1
	s_or_b32 exec_lo, exec_lo, s20
	s_waitcnt vmcnt(0)
	global_load_dwordx2 v[9:10], v[2:3], off offset:16
	s_waitcnt vmcnt(0)
	v_cmp_eq_u64_e32 vcc_lo, 0, v[9:10]
	s_cbranch_vccnz .LBB11_748
; %bb.747:                              ;   in Loop: Header=BB11_683 Depth=1
	global_load_dword v5, v[2:3], off offset:24
	s_waitcnt vmcnt(0)
	v_and_b32_e32 v2, 0x7fffff, v5
	s_waitcnt_vscnt null, 0x0
	global_store_dwordx2 v[9:10], v[5:6], off
	v_readfirstlane_b32 m0, v2
	s_sendmsg sendmsg(MSG_INTERRUPT)
.LBB11_748:                             ;   in Loop: Header=BB11_683 Depth=1
	s_or_b32 exec_lo, exec_lo, s5
	v_add_co_u32 v2, vcc_lo, v27, v68
	v_add_co_ci_u32_e32 v3, vcc_lo, 0, v28, vcc_lo
	s_branch .LBB11_752
	.p2align	6
.LBB11_749:                             ;   in Loop: Header=BB11_752 Depth=2
	s_or_b32 exec_lo, exec_lo, s5
	v_readfirstlane_b32 s5, v4
	s_cmp_eq_u32 s5, 0
	s_cbranch_scc1 .LBB11_751
; %bb.750:                              ;   in Loop: Header=BB11_752 Depth=2
	s_sleep 1
	s_cbranch_execnz .LBB11_752
	s_branch .LBB11_754
	.p2align	6
.LBB11_751:                             ;   in Loop: Header=BB11_683 Depth=1
	s_branch .LBB11_754
.LBB11_752:                             ;   Parent Loop BB11_683 Depth=1
                                        ; =>  This Inner Loop Header: Depth=2
	v_mov_b32_e32 v4, 1
	s_and_saveexec_b32 s5, s4
	s_cbranch_execz .LBB11_749
; %bb.753:                              ;   in Loop: Header=BB11_752 Depth=2
	global_load_dword v4, v[29:30], off offset:20 glc dlc
	s_waitcnt vmcnt(0)
	buffer_gl1_inv
	buffer_gl0_inv
	v_and_b32_e32 v4, 1, v4
	s_branch .LBB11_749
.LBB11_754:                             ;   in Loop: Header=BB11_683 Depth=1
	global_load_dwordx4 v[2:5], v[2:3], off
	s_and_saveexec_b32 s5, s4
	s_cbranch_execz .LBB11_682
; %bb.755:                              ;   in Loop: Header=BB11_683 Depth=1
	s_clause 0x2
	global_load_dwordx2 v[4:5], v6, s[40:41] offset:40
	global_load_dwordx2 v[13:14], v6, s[40:41] offset:24 glc dlc
	global_load_dwordx2 v[11:12], v6, s[40:41]
	s_waitcnt vmcnt(2)
	v_add_co_u32 v15, vcc_lo, v4, 1
	v_add_co_ci_u32_e32 v16, vcc_lo, 0, v5, vcc_lo
	v_add_co_u32 v9, vcc_lo, v15, s18
	v_add_co_ci_u32_e32 v10, vcc_lo, s19, v16, vcc_lo
	v_cmp_eq_u64_e32 vcc_lo, 0, v[9:10]
	v_cndmask_b32_e32 v10, v10, v16, vcc_lo
	v_cndmask_b32_e32 v9, v9, v15, vcc_lo
	v_and_b32_e32 v5, v10, v5
	v_and_b32_e32 v4, v9, v4
	v_mul_lo_u32 v5, v5, 24
	v_mul_hi_u32 v15, v4, 24
	v_mul_lo_u32 v4, v4, 24
	v_add_nc_u32_e32 v5, v15, v5
	s_waitcnt vmcnt(0)
	v_add_co_u32 v4, vcc_lo, v11, v4
	v_mov_b32_e32 v11, v13
	v_add_co_ci_u32_e32 v5, vcc_lo, v12, v5, vcc_lo
	v_mov_b32_e32 v12, v14
	global_store_dwordx2 v[4:5], v[13:14], off
	s_waitcnt_vscnt null, 0x0
	global_atomic_cmpswap_x2 v[11:12], v6, v[9:12], s[40:41] offset:24 glc
	s_waitcnt vmcnt(0)
	v_cmp_ne_u64_e32 vcc_lo, v[11:12], v[13:14]
	s_and_b32 exec_lo, exec_lo, vcc_lo
	s_cbranch_execz .LBB11_682
; %bb.756:                              ;   in Loop: Header=BB11_683 Depth=1
	s_mov_b32 s4, 0
.LBB11_757:                             ;   Parent Loop BB11_683 Depth=1
                                        ; =>  This Inner Loop Header: Depth=2
	s_sleep 1
	global_store_dwordx2 v[4:5], v[11:12], off
	s_waitcnt_vscnt null, 0x0
	global_atomic_cmpswap_x2 v[13:14], v6, v[9:12], s[40:41] offset:24 glc
	s_waitcnt vmcnt(0)
	v_cmp_eq_u64_e32 vcc_lo, v[13:14], v[11:12]
	v_mov_b32_e32 v11, v13
	v_mov_b32_e32 v12, v14
	s_or_b32 s4, vcc_lo, s4
	s_andn2_b32 exec_lo, exec_lo, s4
	s_cbranch_execnz .LBB11_757
	s_branch .LBB11_682
.LBB11_758:
	s_branch .LBB11_787
.LBB11_759:
                                        ; implicit-def: $vgpr2_vgpr3
	s_cbranch_execz .LBB11_787
; %bb.760:
	v_readfirstlane_b32 s4, v69
	v_mov_b32_e32 v8, 0
	v_mov_b32_e32 v9, 0
	v_cmp_eq_u32_e64 s4, s4, v69
	s_and_saveexec_b32 s5, s4
	s_cbranch_execz .LBB11_766
; %bb.761:
	s_waitcnt vmcnt(0)
	v_mov_b32_e32 v2, 0
	s_mov_b32 s6, exec_lo
	global_load_dwordx2 v[5:6], v2, s[40:41] offset:24 glc dlc
	s_waitcnt vmcnt(0)
	buffer_gl1_inv
	buffer_gl0_inv
	s_clause 0x1
	global_load_dwordx2 v[3:4], v2, s[40:41] offset:40
	global_load_dwordx2 v[7:8], v2, s[40:41]
	s_waitcnt vmcnt(1)
	v_and_b32_e32 v4, v4, v6
	v_and_b32_e32 v3, v3, v5
	v_mul_lo_u32 v4, v4, 24
	v_mul_hi_u32 v9, v3, 24
	v_mul_lo_u32 v3, v3, 24
	v_add_nc_u32_e32 v4, v9, v4
	s_waitcnt vmcnt(0)
	v_add_co_u32 v3, vcc_lo, v7, v3
	v_add_co_ci_u32_e32 v4, vcc_lo, v8, v4, vcc_lo
	global_load_dwordx2 v[3:4], v[3:4], off glc dlc
	s_waitcnt vmcnt(0)
	global_atomic_cmpswap_x2 v[8:9], v2, v[3:6], s[40:41] offset:24 glc
	s_waitcnt vmcnt(0)
	buffer_gl1_inv
	buffer_gl0_inv
	v_cmpx_ne_u64_e64 v[8:9], v[5:6]
	s_cbranch_execz .LBB11_765
; %bb.762:
	s_mov_b32 s7, 0
	.p2align	6
.LBB11_763:                             ; =>This Inner Loop Header: Depth=1
	s_sleep 1
	s_clause 0x1
	global_load_dwordx2 v[3:4], v2, s[40:41] offset:40
	global_load_dwordx2 v[10:11], v2, s[40:41]
	v_mov_b32_e32 v5, v8
	v_mov_b32_e32 v6, v9
	s_waitcnt vmcnt(1)
	v_and_b32_e32 v3, v3, v5
	v_and_b32_e32 v4, v4, v6
	s_waitcnt vmcnt(0)
	v_mad_u64_u32 v[7:8], null, v3, 24, v[10:11]
	v_mov_b32_e32 v3, v8
	v_mad_u64_u32 v[3:4], null, v4, 24, v[3:4]
	v_mov_b32_e32 v8, v3
	global_load_dwordx2 v[3:4], v[7:8], off glc dlc
	s_waitcnt vmcnt(0)
	global_atomic_cmpswap_x2 v[8:9], v2, v[3:6], s[40:41] offset:24 glc
	s_waitcnt vmcnt(0)
	buffer_gl1_inv
	buffer_gl0_inv
	v_cmp_eq_u64_e32 vcc_lo, v[8:9], v[5:6]
	s_or_b32 s7, vcc_lo, s7
	s_andn2_b32 exec_lo, exec_lo, s7
	s_cbranch_execnz .LBB11_763
; %bb.764:
	s_or_b32 exec_lo, exec_lo, s7
.LBB11_765:
	s_or_b32 exec_lo, exec_lo, s6
.LBB11_766:
	s_or_b32 exec_lo, exec_lo, s5
	s_waitcnt vmcnt(0)
	v_mov_b32_e32 v2, 0
	v_readfirstlane_b32 s6, v8
	v_readfirstlane_b32 s7, v9
	s_mov_b32 s5, exec_lo
	s_clause 0x1
	global_load_dwordx2 v[10:11], v2, s[40:41] offset:40
	global_load_dwordx4 v[4:7], v2, s[40:41]
	s_waitcnt vmcnt(1)
	v_readfirstlane_b32 s10, v10
	v_readfirstlane_b32 s11, v11
	s_and_b64 s[10:11], s[6:7], s[10:11]
	s_mul_i32 s16, s11, 24
	s_mul_hi_u32 s17, s10, 24
	s_mul_i32 s18, s10, 24
	s_add_i32 s17, s17, s16
	s_waitcnt vmcnt(0)
	v_add_co_u32 v8, vcc_lo, v4, s18
	v_add_co_ci_u32_e32 v9, vcc_lo, s17, v5, vcc_lo
	s_and_saveexec_b32 s16, s4
	s_cbranch_execz .LBB11_768
; %bb.767:
	v_mov_b32_e32 v10, s5
	v_mov_b32_e32 v11, v2
	;; [unrolled: 1-line block ×4, first 2 shown]
	global_store_dwordx4 v[8:9], v[10:13], off offset:8
.LBB11_768:
	s_or_b32 exec_lo, exec_lo, s16
	s_lshl_b64 s[10:11], s[10:11], 12
	s_mov_b32 s16, 0
	v_add_co_u32 v6, vcc_lo, v6, s10
	v_add_co_ci_u32_e32 v7, vcc_lo, s11, v7, vcc_lo
	s_mov_b32 s17, s16
	v_readfirstlane_b32 s10, v6
	v_add_co_u32 v6, vcc_lo, v6, v68
	s_mov_b32 s18, s16
	s_mov_b32 s19, s16
	v_and_or_b32 v0, 0xffffff1f, v0, 32
	v_mov_b32_e32 v3, v2
	v_readfirstlane_b32 s11, v7
	v_mov_b32_e32 v10, s16
	v_add_co_ci_u32_e32 v7, vcc_lo, 0, v7, vcc_lo
	v_mov_b32_e32 v11, s17
	v_mov_b32_e32 v12, s18
	;; [unrolled: 1-line block ×3, first 2 shown]
	global_store_dwordx4 v68, v[0:3], s[10:11]
	global_store_dwordx4 v68, v[10:13], s[10:11] offset:16
	global_store_dwordx4 v68, v[10:13], s[10:11] offset:32
	;; [unrolled: 1-line block ×3, first 2 shown]
	s_and_saveexec_b32 s5, s4
	s_cbranch_execz .LBB11_776
; %bb.769:
	v_mov_b32_e32 v10, 0
	v_mov_b32_e32 v11, s6
	;; [unrolled: 1-line block ×3, first 2 shown]
	s_clause 0x1
	global_load_dwordx2 v[13:14], v10, s[40:41] offset:32 glc dlc
	global_load_dwordx2 v[0:1], v10, s[40:41] offset:40
	s_waitcnt vmcnt(0)
	v_readfirstlane_b32 s10, v0
	v_readfirstlane_b32 s11, v1
	s_and_b64 s[10:11], s[10:11], s[6:7]
	s_mul_i32 s11, s11, 24
	s_mul_hi_u32 s16, s10, 24
	s_mul_i32 s10, s10, 24
	s_add_i32 s16, s16, s11
	v_add_co_u32 v4, vcc_lo, v4, s10
	v_add_co_ci_u32_e32 v5, vcc_lo, s16, v5, vcc_lo
	s_mov_b32 s10, exec_lo
	global_store_dwordx2 v[4:5], v[13:14], off
	s_waitcnt_vscnt null, 0x0
	global_atomic_cmpswap_x2 v[2:3], v10, v[11:14], s[40:41] offset:32 glc
	s_waitcnt vmcnt(0)
	v_cmpx_ne_u64_e64 v[2:3], v[13:14]
	s_cbranch_execz .LBB11_772
; %bb.770:
	s_mov_b32 s11, 0
.LBB11_771:                             ; =>This Inner Loop Header: Depth=1
	v_mov_b32_e32 v0, s6
	v_mov_b32_e32 v1, s7
	s_sleep 1
	global_store_dwordx2 v[4:5], v[2:3], off
	s_waitcnt_vscnt null, 0x0
	global_atomic_cmpswap_x2 v[0:1], v10, v[0:3], s[40:41] offset:32 glc
	s_waitcnt vmcnt(0)
	v_cmp_eq_u64_e32 vcc_lo, v[0:1], v[2:3]
	v_mov_b32_e32 v3, v1
	v_mov_b32_e32 v2, v0
	s_or_b32 s11, vcc_lo, s11
	s_andn2_b32 exec_lo, exec_lo, s11
	s_cbranch_execnz .LBB11_771
.LBB11_772:
	s_or_b32 exec_lo, exec_lo, s10
	v_mov_b32_e32 v3, 0
	s_mov_b32 s11, exec_lo
	s_mov_b32 s10, exec_lo
	v_mbcnt_lo_u32_b32 v2, s11, 0
	global_load_dwordx2 v[0:1], v3, s[40:41] offset:16
	v_cmpx_eq_u32_e32 0, v2
	s_cbranch_execz .LBB11_774
; %bb.773:
	s_bcnt1_i32_b32 s11, s11
	v_mov_b32_e32 v2, s11
	s_waitcnt vmcnt(0)
	global_atomic_add_x2 v[0:1], v[2:3], off offset:8
.LBB11_774:
	s_or_b32 exec_lo, exec_lo, s10
	s_waitcnt vmcnt(0)
	global_load_dwordx2 v[2:3], v[0:1], off offset:16
	s_waitcnt vmcnt(0)
	v_cmp_eq_u64_e32 vcc_lo, 0, v[2:3]
	s_cbranch_vccnz .LBB11_776
; %bb.775:
	global_load_dword v0, v[0:1], off offset:24
	v_mov_b32_e32 v1, 0
	s_waitcnt vmcnt(0)
	v_and_b32_e32 v4, 0x7fffff, v0
	s_waitcnt_vscnt null, 0x0
	global_store_dwordx2 v[2:3], v[0:1], off
	v_readfirstlane_b32 m0, v4
	s_sendmsg sendmsg(MSG_INTERRUPT)
.LBB11_776:
	s_or_b32 exec_lo, exec_lo, s5
	s_branch .LBB11_780
	.p2align	6
.LBB11_777:                             ;   in Loop: Header=BB11_780 Depth=1
	s_or_b32 exec_lo, exec_lo, s5
	v_readfirstlane_b32 s5, v0
	s_cmp_eq_u32 s5, 0
	s_cbranch_scc1 .LBB11_779
; %bb.778:                              ;   in Loop: Header=BB11_780 Depth=1
	s_sleep 1
	s_cbranch_execnz .LBB11_780
	s_branch .LBB11_782
	.p2align	6
.LBB11_779:
	s_branch .LBB11_782
.LBB11_780:                             ; =>This Inner Loop Header: Depth=1
	v_mov_b32_e32 v0, 1
	s_and_saveexec_b32 s5, s4
	s_cbranch_execz .LBB11_777
; %bb.781:                              ;   in Loop: Header=BB11_780 Depth=1
	global_load_dword v0, v[8:9], off offset:20 glc dlc
	s_waitcnt vmcnt(0)
	buffer_gl1_inv
	buffer_gl0_inv
	v_and_b32_e32 v0, 1, v0
	s_branch .LBB11_777
.LBB11_782:
	global_load_dwordx2 v[2:3], v[6:7], off
	s_and_saveexec_b32 s5, s4
	s_cbranch_execz .LBB11_786
; %bb.783:
	v_mov_b32_e32 v8, 0
	s_clause 0x2
	global_load_dwordx2 v[0:1], v8, s[40:41] offset:40
	global_load_dwordx2 v[9:10], v8, s[40:41] offset:24 glc dlc
	global_load_dwordx2 v[6:7], v8, s[40:41]
	s_waitcnt vmcnt(2)
	v_add_co_u32 v11, vcc_lo, v0, 1
	v_add_co_ci_u32_e32 v12, vcc_lo, 0, v1, vcc_lo
	v_add_co_u32 v4, vcc_lo, v11, s6
	v_add_co_ci_u32_e32 v5, vcc_lo, s7, v12, vcc_lo
	v_cmp_eq_u64_e32 vcc_lo, 0, v[4:5]
	v_cndmask_b32_e32 v5, v5, v12, vcc_lo
	v_cndmask_b32_e32 v4, v4, v11, vcc_lo
	v_and_b32_e32 v1, v5, v1
	v_and_b32_e32 v0, v4, v0
	v_mul_lo_u32 v1, v1, 24
	v_mul_hi_u32 v11, v0, 24
	v_mul_lo_u32 v0, v0, 24
	v_add_nc_u32_e32 v1, v11, v1
	s_waitcnt vmcnt(0)
	v_add_co_u32 v0, vcc_lo, v6, v0
	v_mov_b32_e32 v6, v9
	v_add_co_ci_u32_e32 v1, vcc_lo, v7, v1, vcc_lo
	v_mov_b32_e32 v7, v10
	global_store_dwordx2 v[0:1], v[9:10], off
	s_waitcnt_vscnt null, 0x0
	global_atomic_cmpswap_x2 v[6:7], v8, v[4:7], s[40:41] offset:24 glc
	s_waitcnt vmcnt(0)
	v_cmp_ne_u64_e32 vcc_lo, v[6:7], v[9:10]
	s_and_b32 exec_lo, exec_lo, vcc_lo
	s_cbranch_execz .LBB11_786
; %bb.784:
	s_mov_b32 s4, 0
.LBB11_785:                             ; =>This Inner Loop Header: Depth=1
	s_sleep 1
	global_store_dwordx2 v[0:1], v[6:7], off
	s_waitcnt_vscnt null, 0x0
	global_atomic_cmpswap_x2 v[9:10], v8, v[4:7], s[40:41] offset:24 glc
	s_waitcnt vmcnt(0)
	v_cmp_eq_u64_e32 vcc_lo, v[9:10], v[6:7]
	v_mov_b32_e32 v6, v9
	v_mov_b32_e32 v7, v10
	s_or_b32 s4, vcc_lo, s4
	s_andn2_b32 exec_lo, exec_lo, s4
	s_cbranch_execnz .LBB11_785
.LBB11_786:
	s_or_b32 exec_lo, exec_lo, s5
.LBB11_787:
	v_readfirstlane_b32 s4, v69
	s_waitcnt vmcnt(0)
	v_mov_b32_e32 v0, 0
	v_mov_b32_e32 v1, 0
	v_cmp_eq_u32_e64 s4, s4, v69
	s_and_saveexec_b32 s5, s4
	s_cbranch_execz .LBB11_793
; %bb.788:
	v_mov_b32_e32 v4, 0
	s_mov_b32 s6, exec_lo
	global_load_dwordx2 v[7:8], v4, s[40:41] offset:24 glc dlc
	s_waitcnt vmcnt(0)
	buffer_gl1_inv
	buffer_gl0_inv
	s_clause 0x1
	global_load_dwordx2 v[0:1], v4, s[40:41] offset:40
	global_load_dwordx2 v[5:6], v4, s[40:41]
	s_waitcnt vmcnt(1)
	v_and_b32_e32 v1, v1, v8
	v_and_b32_e32 v0, v0, v7
	v_mul_lo_u32 v1, v1, 24
	v_mul_hi_u32 v9, v0, 24
	v_mul_lo_u32 v0, v0, 24
	v_add_nc_u32_e32 v1, v9, v1
	s_waitcnt vmcnt(0)
	v_add_co_u32 v0, vcc_lo, v5, v0
	v_add_co_ci_u32_e32 v1, vcc_lo, v6, v1, vcc_lo
	global_load_dwordx2 v[5:6], v[0:1], off glc dlc
	s_waitcnt vmcnt(0)
	global_atomic_cmpswap_x2 v[0:1], v4, v[5:8], s[40:41] offset:24 glc
	s_waitcnt vmcnt(0)
	buffer_gl1_inv
	buffer_gl0_inv
	v_cmpx_ne_u64_e64 v[0:1], v[7:8]
	s_cbranch_execz .LBB11_792
; %bb.789:
	s_mov_b32 s7, 0
	.p2align	6
.LBB11_790:                             ; =>This Inner Loop Header: Depth=1
	s_sleep 1
	s_clause 0x1
	global_load_dwordx2 v[5:6], v4, s[40:41] offset:40
	global_load_dwordx2 v[9:10], v4, s[40:41]
	v_mov_b32_e32 v8, v1
	v_mov_b32_e32 v7, v0
	s_waitcnt vmcnt(1)
	v_and_b32_e32 v0, v5, v7
	v_and_b32_e32 v5, v6, v8
	s_waitcnt vmcnt(0)
	v_mad_u64_u32 v[0:1], null, v0, 24, v[9:10]
	v_mad_u64_u32 v[5:6], null, v5, 24, v[1:2]
	v_mov_b32_e32 v1, v5
	global_load_dwordx2 v[5:6], v[0:1], off glc dlc
	s_waitcnt vmcnt(0)
	global_atomic_cmpswap_x2 v[0:1], v4, v[5:8], s[40:41] offset:24 glc
	s_waitcnt vmcnt(0)
	buffer_gl1_inv
	buffer_gl0_inv
	v_cmp_eq_u64_e32 vcc_lo, v[0:1], v[7:8]
	s_or_b32 s7, vcc_lo, s7
	s_andn2_b32 exec_lo, exec_lo, s7
	s_cbranch_execnz .LBB11_790
; %bb.791:
	s_or_b32 exec_lo, exec_lo, s7
.LBB11_792:
	s_or_b32 exec_lo, exec_lo, s6
.LBB11_793:
	s_or_b32 exec_lo, exec_lo, s5
	v_mov_b32_e32 v5, 0
	v_readfirstlane_b32 s6, v0
	v_readfirstlane_b32 s7, v1
	s_mov_b32 s5, exec_lo
	s_clause 0x1
	global_load_dwordx2 v[10:11], v5, s[40:41] offset:40
	global_load_dwordx4 v[6:9], v5, s[40:41]
	s_waitcnt vmcnt(1)
	v_readfirstlane_b32 s10, v10
	v_readfirstlane_b32 s11, v11
	s_and_b64 s[10:11], s[6:7], s[10:11]
	s_mul_i32 s16, s11, 24
	s_mul_hi_u32 s17, s10, 24
	s_mul_i32 s18, s10, 24
	s_add_i32 s17, s17, s16
	s_waitcnt vmcnt(0)
	v_add_co_u32 v10, vcc_lo, v6, s18
	v_add_co_ci_u32_e32 v11, vcc_lo, s17, v7, vcc_lo
	s_and_saveexec_b32 s16, s4
	s_cbranch_execz .LBB11_795
; %bb.794:
	v_mov_b32_e32 v4, s5
	v_mov_b32_e32 v13, v5
	;; [unrolled: 1-line block ×5, first 2 shown]
	global_store_dwordx4 v[10:11], v[12:15], off offset:8
.LBB11_795:
	s_or_b32 exec_lo, exec_lo, s16
	s_lshl_b64 s[10:11], s[10:11], 12
	s_mov_b32 s16, 0
	v_add_co_u32 v0, vcc_lo, v8, s10
	v_add_co_ci_u32_e32 v1, vcc_lo, s11, v9, vcc_lo
	s_mov_b32 s17, s16
	s_mov_b32 s18, s16
	;; [unrolled: 1-line block ×3, first 2 shown]
	v_and_or_b32 v2, 0xffffff1d, v2, 34
	v_mov_b32_e32 v4, 58
	v_readfirstlane_b32 s10, v0
	v_readfirstlane_b32 s11, v1
	v_mov_b32_e32 v12, s16
	v_mov_b32_e32 v13, s17
	;; [unrolled: 1-line block ×4, first 2 shown]
	global_store_dwordx4 v68, v[2:5], s[10:11]
	global_store_dwordx4 v68, v[12:15], s[10:11] offset:16
	global_store_dwordx4 v68, v[12:15], s[10:11] offset:32
	;; [unrolled: 1-line block ×3, first 2 shown]
	s_and_saveexec_b32 s5, s4
	s_cbranch_execz .LBB11_803
; %bb.796:
	v_mov_b32_e32 v8, 0
	v_mov_b32_e32 v12, s6
	;; [unrolled: 1-line block ×3, first 2 shown]
	s_clause 0x1
	global_load_dwordx2 v[14:15], v8, s[40:41] offset:32 glc dlc
	global_load_dwordx2 v[0:1], v8, s[40:41] offset:40
	s_waitcnt vmcnt(0)
	v_readfirstlane_b32 s10, v0
	v_readfirstlane_b32 s11, v1
	s_and_b64 s[10:11], s[10:11], s[6:7]
	s_mul_i32 s11, s11, 24
	s_mul_hi_u32 s16, s10, 24
	s_mul_i32 s10, s10, 24
	s_add_i32 s16, s16, s11
	v_add_co_u32 v4, vcc_lo, v6, s10
	v_add_co_ci_u32_e32 v5, vcc_lo, s16, v7, vcc_lo
	s_mov_b32 s10, exec_lo
	global_store_dwordx2 v[4:5], v[14:15], off
	s_waitcnt_vscnt null, 0x0
	global_atomic_cmpswap_x2 v[2:3], v8, v[12:15], s[40:41] offset:32 glc
	s_waitcnt vmcnt(0)
	v_cmpx_ne_u64_e64 v[2:3], v[14:15]
	s_cbranch_execz .LBB11_799
; %bb.797:
	s_mov_b32 s11, 0
.LBB11_798:                             ; =>This Inner Loop Header: Depth=1
	v_mov_b32_e32 v0, s6
	v_mov_b32_e32 v1, s7
	s_sleep 1
	global_store_dwordx2 v[4:5], v[2:3], off
	s_waitcnt_vscnt null, 0x0
	global_atomic_cmpswap_x2 v[0:1], v8, v[0:3], s[40:41] offset:32 glc
	s_waitcnt vmcnt(0)
	v_cmp_eq_u64_e32 vcc_lo, v[0:1], v[2:3]
	v_mov_b32_e32 v3, v1
	v_mov_b32_e32 v2, v0
	s_or_b32 s11, vcc_lo, s11
	s_andn2_b32 exec_lo, exec_lo, s11
	s_cbranch_execnz .LBB11_798
.LBB11_799:
	s_or_b32 exec_lo, exec_lo, s10
	v_mov_b32_e32 v3, 0
	s_mov_b32 s11, exec_lo
	s_mov_b32 s10, exec_lo
	v_mbcnt_lo_u32_b32 v2, s11, 0
	global_load_dwordx2 v[0:1], v3, s[40:41] offset:16
	v_cmpx_eq_u32_e32 0, v2
	s_cbranch_execz .LBB11_801
; %bb.800:
	s_bcnt1_i32_b32 s11, s11
	v_mov_b32_e32 v2, s11
	s_waitcnt vmcnt(0)
	global_atomic_add_x2 v[0:1], v[2:3], off offset:8
.LBB11_801:
	s_or_b32 exec_lo, exec_lo, s10
	s_waitcnt vmcnt(0)
	global_load_dwordx2 v[2:3], v[0:1], off offset:16
	s_waitcnt vmcnt(0)
	v_cmp_eq_u64_e32 vcc_lo, 0, v[2:3]
	s_cbranch_vccnz .LBB11_803
; %bb.802:
	global_load_dword v0, v[0:1], off offset:24
	v_mov_b32_e32 v1, 0
	s_waitcnt vmcnt(0)
	v_and_b32_e32 v4, 0x7fffff, v0
	s_waitcnt_vscnt null, 0x0
	global_store_dwordx2 v[2:3], v[0:1], off
	v_readfirstlane_b32 m0, v4
	s_sendmsg sendmsg(MSG_INTERRUPT)
.LBB11_803:
	s_or_b32 exec_lo, exec_lo, s5
	s_branch .LBB11_807
	.p2align	6
.LBB11_804:                             ;   in Loop: Header=BB11_807 Depth=1
	s_or_b32 exec_lo, exec_lo, s5
	v_readfirstlane_b32 s5, v0
	s_cmp_eq_u32 s5, 0
	s_cbranch_scc1 .LBB11_806
; %bb.805:                              ;   in Loop: Header=BB11_807 Depth=1
	s_sleep 1
	s_cbranch_execnz .LBB11_807
	s_branch .LBB11_809
	.p2align	6
.LBB11_806:
	s_branch .LBB11_809
.LBB11_807:                             ; =>This Inner Loop Header: Depth=1
	v_mov_b32_e32 v0, 1
	s_and_saveexec_b32 s5, s4
	s_cbranch_execz .LBB11_804
; %bb.808:                              ;   in Loop: Header=BB11_807 Depth=1
	global_load_dword v0, v[10:11], off offset:20 glc dlc
	s_waitcnt vmcnt(0)
	buffer_gl1_inv
	buffer_gl0_inv
	v_and_b32_e32 v0, 1, v0
	s_branch .LBB11_804
.LBB11_809:
	s_and_saveexec_b32 s5, s4
	s_cbranch_execz .LBB11_813
; %bb.810:
	v_mov_b32_e32 v6, 0
	s_clause 0x2
	global_load_dwordx2 v[2:3], v6, s[40:41] offset:40
	global_load_dwordx2 v[7:8], v6, s[40:41] offset:24 glc dlc
	global_load_dwordx2 v[4:5], v6, s[40:41]
	s_waitcnt vmcnt(2)
	v_add_co_u32 v9, vcc_lo, v2, 1
	v_add_co_ci_u32_e32 v10, vcc_lo, 0, v3, vcc_lo
	v_add_co_u32 v0, vcc_lo, v9, s6
	v_add_co_ci_u32_e32 v1, vcc_lo, s7, v10, vcc_lo
	v_cmp_eq_u64_e32 vcc_lo, 0, v[0:1]
	v_cndmask_b32_e32 v1, v1, v10, vcc_lo
	v_cndmask_b32_e32 v0, v0, v9, vcc_lo
	v_and_b32_e32 v3, v1, v3
	v_and_b32_e32 v2, v0, v2
	v_mul_lo_u32 v3, v3, 24
	v_mul_hi_u32 v9, v2, 24
	v_mul_lo_u32 v2, v2, 24
	v_add_nc_u32_e32 v3, v9, v3
	s_waitcnt vmcnt(0)
	v_add_co_u32 v4, vcc_lo, v4, v2
	v_mov_b32_e32 v2, v7
	v_add_co_ci_u32_e32 v5, vcc_lo, v5, v3, vcc_lo
	v_mov_b32_e32 v3, v8
	global_store_dwordx2 v[4:5], v[7:8], off
	s_waitcnt_vscnt null, 0x0
	global_atomic_cmpswap_x2 v[2:3], v6, v[0:3], s[40:41] offset:24 glc
	s_waitcnt vmcnt(0)
	v_cmp_ne_u64_e32 vcc_lo, v[2:3], v[7:8]
	s_and_b32 exec_lo, exec_lo, vcc_lo
	s_cbranch_execz .LBB11_813
; %bb.811:
	s_mov_b32 s4, 0
.LBB11_812:                             ; =>This Inner Loop Header: Depth=1
	s_sleep 1
	global_store_dwordx2 v[4:5], v[2:3], off
	s_waitcnt_vscnt null, 0x0
	global_atomic_cmpswap_x2 v[7:8], v6, v[0:3], s[40:41] offset:24 glc
	s_waitcnt vmcnt(0)
	v_cmp_eq_u64_e32 vcc_lo, v[7:8], v[2:3]
	v_mov_b32_e32 v2, v7
	v_mov_b32_e32 v3, v8
	s_or_b32 s4, vcc_lo, s4
	s_andn2_b32 exec_lo, exec_lo, s4
	s_cbranch_execnz .LBB11_812
.LBB11_813:
	s_or_b32 exec_lo, exec_lo, s5
	v_readfirstlane_b32 s4, v69
	v_mov_b32_e32 v6, 0
	v_mov_b32_e32 v7, 0
	v_cmp_eq_u32_e64 s4, s4, v69
	s_and_saveexec_b32 s5, s4
	s_cbranch_execz .LBB11_819
; %bb.814:
	v_mov_b32_e32 v0, 0
	s_mov_b32 s6, exec_lo
	global_load_dwordx2 v[3:4], v0, s[40:41] offset:24 glc dlc
	s_waitcnt vmcnt(0)
	buffer_gl1_inv
	buffer_gl0_inv
	s_clause 0x1
	global_load_dwordx2 v[1:2], v0, s[40:41] offset:40
	global_load_dwordx2 v[5:6], v0, s[40:41]
	s_waitcnt vmcnt(1)
	v_and_b32_e32 v2, v2, v4
	v_and_b32_e32 v1, v1, v3
	v_mul_lo_u32 v2, v2, 24
	v_mul_hi_u32 v7, v1, 24
	v_mul_lo_u32 v1, v1, 24
	v_add_nc_u32_e32 v2, v7, v2
	s_waitcnt vmcnt(0)
	v_add_co_u32 v1, vcc_lo, v5, v1
	v_add_co_ci_u32_e32 v2, vcc_lo, v6, v2, vcc_lo
	global_load_dwordx2 v[1:2], v[1:2], off glc dlc
	s_waitcnt vmcnt(0)
	global_atomic_cmpswap_x2 v[6:7], v0, v[1:4], s[40:41] offset:24 glc
	s_waitcnt vmcnt(0)
	buffer_gl1_inv
	buffer_gl0_inv
	v_cmpx_ne_u64_e64 v[6:7], v[3:4]
	s_cbranch_execz .LBB11_818
; %bb.815:
	s_mov_b32 s7, 0
	.p2align	6
.LBB11_816:                             ; =>This Inner Loop Header: Depth=1
	s_sleep 1
	s_clause 0x1
	global_load_dwordx2 v[1:2], v0, s[40:41] offset:40
	global_load_dwordx2 v[8:9], v0, s[40:41]
	v_mov_b32_e32 v3, v6
	v_mov_b32_e32 v4, v7
	s_waitcnt vmcnt(1)
	v_and_b32_e32 v1, v1, v3
	v_and_b32_e32 v2, v2, v4
	s_waitcnt vmcnt(0)
	v_mad_u64_u32 v[5:6], null, v1, 24, v[8:9]
	v_mov_b32_e32 v1, v6
	v_mad_u64_u32 v[1:2], null, v2, 24, v[1:2]
	v_mov_b32_e32 v6, v1
	global_load_dwordx2 v[1:2], v[5:6], off glc dlc
	s_waitcnt vmcnt(0)
	global_atomic_cmpswap_x2 v[6:7], v0, v[1:4], s[40:41] offset:24 glc
	s_waitcnt vmcnt(0)
	buffer_gl1_inv
	buffer_gl0_inv
	v_cmp_eq_u64_e32 vcc_lo, v[6:7], v[3:4]
	s_or_b32 s7, vcc_lo, s7
	s_andn2_b32 exec_lo, exec_lo, s7
	s_cbranch_execnz .LBB11_816
; %bb.817:
	s_or_b32 exec_lo, exec_lo, s7
.LBB11_818:
	s_or_b32 exec_lo, exec_lo, s6
.LBB11_819:
	s_or_b32 exec_lo, exec_lo, s5
	v_mov_b32_e32 v5, 0
	v_readfirstlane_b32 s6, v6
	v_readfirstlane_b32 s7, v7
	s_mov_b32 s5, exec_lo
	s_clause 0x1
	global_load_dwordx2 v[8:9], v5, s[40:41] offset:40
	global_load_dwordx4 v[0:3], v5, s[40:41]
	s_waitcnt vmcnt(1)
	v_readfirstlane_b32 s10, v8
	v_readfirstlane_b32 s11, v9
	s_and_b64 s[10:11], s[6:7], s[10:11]
	s_mul_i32 s16, s11, 24
	s_mul_hi_u32 s17, s10, 24
	s_mul_i32 s18, s10, 24
	s_add_i32 s17, s17, s16
	s_waitcnt vmcnt(0)
	v_add_co_u32 v8, vcc_lo, v0, s18
	v_add_co_ci_u32_e32 v9, vcc_lo, s17, v1, vcc_lo
	s_and_saveexec_b32 s16, s4
	s_cbranch_execz .LBB11_821
; %bb.820:
	v_mov_b32_e32 v4, s5
	v_mov_b32_e32 v6, 2
	;; [unrolled: 1-line block ×3, first 2 shown]
	global_store_dwordx4 v[8:9], v[4:7], off offset:8
.LBB11_821:
	s_or_b32 exec_lo, exec_lo, s16
	s_lshl_b64 s[10:11], s[10:11], 12
	s_mov_b32 s16, 0
	v_add_co_u32 v2, vcc_lo, v2, s10
	v_add_co_ci_u32_e32 v3, vcc_lo, s11, v3, vcc_lo
	s_mov_b32 s17, s16
	v_add_co_u32 v10, vcc_lo, v2, v68
	s_mov_b32 s18, s16
	s_mov_b32 s19, s16
	v_mov_b32_e32 v4, 33
	v_mov_b32_e32 v6, v5
	;; [unrolled: 1-line block ×3, first 2 shown]
	v_readfirstlane_b32 s10, v2
	v_readfirstlane_b32 s11, v3
	v_mov_b32_e32 v12, s16
	v_add_co_ci_u32_e32 v11, vcc_lo, 0, v3, vcc_lo
	v_mov_b32_e32 v13, s17
	v_mov_b32_e32 v14, s18
	;; [unrolled: 1-line block ×3, first 2 shown]
	global_store_dwordx4 v68, v[4:7], s[10:11]
	global_store_dwordx4 v68, v[12:15], s[10:11] offset:16
	global_store_dwordx4 v68, v[12:15], s[10:11] offset:32
	;; [unrolled: 1-line block ×3, first 2 shown]
	s_and_saveexec_b32 s5, s4
	s_cbranch_execz .LBB11_829
; %bb.822:
	v_mov_b32_e32 v6, 0
	v_mov_b32_e32 v12, s6
	;; [unrolled: 1-line block ×3, first 2 shown]
	s_clause 0x1
	global_load_dwordx2 v[14:15], v6, s[40:41] offset:32 glc dlc
	global_load_dwordx2 v[2:3], v6, s[40:41] offset:40
	s_waitcnt vmcnt(0)
	v_readfirstlane_b32 s10, v2
	v_readfirstlane_b32 s11, v3
	s_and_b64 s[10:11], s[10:11], s[6:7]
	s_mul_i32 s11, s11, 24
	s_mul_hi_u32 s16, s10, 24
	s_mul_i32 s10, s10, 24
	s_add_i32 s16, s16, s11
	v_add_co_u32 v4, vcc_lo, v0, s10
	v_add_co_ci_u32_e32 v5, vcc_lo, s16, v1, vcc_lo
	s_mov_b32 s10, exec_lo
	global_store_dwordx2 v[4:5], v[14:15], off
	s_waitcnt_vscnt null, 0x0
	global_atomic_cmpswap_x2 v[2:3], v6, v[12:15], s[40:41] offset:32 glc
	s_waitcnt vmcnt(0)
	v_cmpx_ne_u64_e64 v[2:3], v[14:15]
	s_cbranch_execz .LBB11_825
; %bb.823:
	s_mov_b32 s11, 0
.LBB11_824:                             ; =>This Inner Loop Header: Depth=1
	v_mov_b32_e32 v0, s6
	v_mov_b32_e32 v1, s7
	s_sleep 1
	global_store_dwordx2 v[4:5], v[2:3], off
	s_waitcnt_vscnt null, 0x0
	global_atomic_cmpswap_x2 v[0:1], v6, v[0:3], s[40:41] offset:32 glc
	s_waitcnt vmcnt(0)
	v_cmp_eq_u64_e32 vcc_lo, v[0:1], v[2:3]
	v_mov_b32_e32 v3, v1
	v_mov_b32_e32 v2, v0
	s_or_b32 s11, vcc_lo, s11
	s_andn2_b32 exec_lo, exec_lo, s11
	s_cbranch_execnz .LBB11_824
.LBB11_825:
	s_or_b32 exec_lo, exec_lo, s10
	v_mov_b32_e32 v3, 0
	s_mov_b32 s11, exec_lo
	s_mov_b32 s10, exec_lo
	v_mbcnt_lo_u32_b32 v2, s11, 0
	global_load_dwordx2 v[0:1], v3, s[40:41] offset:16
	v_cmpx_eq_u32_e32 0, v2
	s_cbranch_execz .LBB11_827
; %bb.826:
	s_bcnt1_i32_b32 s11, s11
	v_mov_b32_e32 v2, s11
	s_waitcnt vmcnt(0)
	global_atomic_add_x2 v[0:1], v[2:3], off offset:8
.LBB11_827:
	s_or_b32 exec_lo, exec_lo, s10
	s_waitcnt vmcnt(0)
	global_load_dwordx2 v[2:3], v[0:1], off offset:16
	s_waitcnt vmcnt(0)
	v_cmp_eq_u64_e32 vcc_lo, 0, v[2:3]
	s_cbranch_vccnz .LBB11_829
; %bb.828:
	global_load_dword v0, v[0:1], off offset:24
	v_mov_b32_e32 v1, 0
	s_waitcnt vmcnt(0)
	v_and_b32_e32 v4, 0x7fffff, v0
	s_waitcnt_vscnt null, 0x0
	global_store_dwordx2 v[2:3], v[0:1], off
	v_readfirstlane_b32 m0, v4
	s_sendmsg sendmsg(MSG_INTERRUPT)
.LBB11_829:
	s_or_b32 exec_lo, exec_lo, s5
	s_branch .LBB11_833
	.p2align	6
.LBB11_830:                             ;   in Loop: Header=BB11_833 Depth=1
	s_or_b32 exec_lo, exec_lo, s5
	v_readfirstlane_b32 s5, v0
	s_cmp_eq_u32 s5, 0
	s_cbranch_scc1 .LBB11_832
; %bb.831:                              ;   in Loop: Header=BB11_833 Depth=1
	s_sleep 1
	s_cbranch_execnz .LBB11_833
	s_branch .LBB11_835
	.p2align	6
.LBB11_832:
	s_branch .LBB11_835
.LBB11_833:                             ; =>This Inner Loop Header: Depth=1
	v_mov_b32_e32 v0, 1
	s_and_saveexec_b32 s5, s4
	s_cbranch_execz .LBB11_830
; %bb.834:                              ;   in Loop: Header=BB11_833 Depth=1
	global_load_dword v0, v[8:9], off offset:20 glc dlc
	s_waitcnt vmcnt(0)
	buffer_gl1_inv
	buffer_gl0_inv
	v_and_b32_e32 v0, 1, v0
	s_branch .LBB11_830
.LBB11_835:
	global_load_dwordx2 v[0:1], v[10:11], off
	s_and_saveexec_b32 s5, s4
	s_cbranch_execz .LBB11_839
; %bb.836:
	v_mov_b32_e32 v8, 0
	s_clause 0x2
	global_load_dwordx2 v[4:5], v8, s[40:41] offset:40
	global_load_dwordx2 v[9:10], v8, s[40:41] offset:24 glc dlc
	global_load_dwordx2 v[6:7], v8, s[40:41]
	s_waitcnt vmcnt(2)
	v_add_co_u32 v11, vcc_lo, v4, 1
	v_add_co_ci_u32_e32 v12, vcc_lo, 0, v5, vcc_lo
	v_add_co_u32 v2, vcc_lo, v11, s6
	v_add_co_ci_u32_e32 v3, vcc_lo, s7, v12, vcc_lo
	v_cmp_eq_u64_e32 vcc_lo, 0, v[2:3]
	v_cndmask_b32_e32 v3, v3, v12, vcc_lo
	v_cndmask_b32_e32 v2, v2, v11, vcc_lo
	v_and_b32_e32 v5, v3, v5
	v_and_b32_e32 v4, v2, v4
	v_mul_lo_u32 v5, v5, 24
	v_mul_hi_u32 v11, v4, 24
	v_mul_lo_u32 v4, v4, 24
	v_add_nc_u32_e32 v5, v11, v5
	s_waitcnt vmcnt(0)
	v_add_co_u32 v6, vcc_lo, v6, v4
	v_mov_b32_e32 v4, v9
	v_add_co_ci_u32_e32 v7, vcc_lo, v7, v5, vcc_lo
	v_mov_b32_e32 v5, v10
	global_store_dwordx2 v[6:7], v[9:10], off
	s_waitcnt_vscnt null, 0x0
	global_atomic_cmpswap_x2 v[4:5], v8, v[2:5], s[40:41] offset:24 glc
	s_waitcnt vmcnt(0)
	v_cmp_ne_u64_e32 vcc_lo, v[4:5], v[9:10]
	s_and_b32 exec_lo, exec_lo, vcc_lo
	s_cbranch_execz .LBB11_839
; %bb.837:
	s_mov_b32 s4, 0
.LBB11_838:                             ; =>This Inner Loop Header: Depth=1
	s_sleep 1
	global_store_dwordx2 v[6:7], v[4:5], off
	s_waitcnt_vscnt null, 0x0
	global_atomic_cmpswap_x2 v[9:10], v8, v[2:5], s[40:41] offset:24 glc
	s_waitcnt vmcnt(0)
	v_cmp_eq_u64_e32 vcc_lo, v[9:10], v[4:5]
	v_mov_b32_e32 v4, v9
	v_mov_b32_e32 v5, v10
	s_or_b32 s4, vcc_lo, s4
	s_andn2_b32 exec_lo, exec_lo, s4
	s_cbranch_execnz .LBB11_838
.LBB11_839:
	s_or_b32 exec_lo, exec_lo, s5
	s_getpc_b64 s[6:7]
	s_add_u32 s6, s6, .str.7@rel32@lo+4
	s_addc_u32 s7, s7, .str.7@rel32@hi+12
	s_cmp_lg_u64 s[6:7], 0
	s_cbranch_scc0 .LBB11_918
; %bb.840:
	s_waitcnt vmcnt(0)
	v_and_b32_e32 v31, 2, v0
	v_mov_b32_e32 v6, 0
	v_and_b32_e32 v2, -3, v0
	v_mov_b32_e32 v3, v1
	v_mov_b32_e32 v7, 2
	;; [unrolled: 1-line block ×3, first 2 shown]
	s_mov_b64 s[10:11], 4
	s_branch .LBB11_842
.LBB11_841:                             ;   in Loop: Header=BB11_842 Depth=1
	s_or_b32 exec_lo, exec_lo, s5
	s_sub_u32 s10, s10, s16
	s_subb_u32 s11, s11, s17
	s_add_u32 s6, s6, s16
	s_addc_u32 s7, s7, s17
	s_cmp_lg_u64 s[10:11], 0
	s_cbranch_scc0 .LBB11_917
.LBB11_842:                             ; =>This Loop Header: Depth=1
                                        ;     Child Loop BB11_851 Depth 2
                                        ;     Child Loop BB11_847 Depth 2
	;; [unrolled: 1-line block ×11, first 2 shown]
	v_cmp_lt_u64_e64 s4, s[10:11], 56
	v_cmp_gt_u64_e64 s5, s[10:11], 7
                                        ; implicit-def: $vgpr11_vgpr12
                                        ; implicit-def: $sgpr22
	s_and_b32 s4, s4, exec_lo
	s_cselect_b32 s17, s11, 0
	s_cselect_b32 s16, s10, 56
	s_and_b32 vcc_lo, exec_lo, s5
	s_mov_b32 s4, -1
	s_cbranch_vccz .LBB11_849
; %bb.843:                              ;   in Loop: Header=BB11_842 Depth=1
	s_andn2_b32 vcc_lo, exec_lo, s4
	s_mov_b64 s[4:5], s[6:7]
	s_cbranch_vccz .LBB11_853
.LBB11_844:                             ;   in Loop: Header=BB11_842 Depth=1
	s_cmp_gt_u32 s22, 7
	s_cbranch_scc1 .LBB11_854
.LBB11_845:                             ;   in Loop: Header=BB11_842 Depth=1
	v_mov_b32_e32 v13, 0
	v_mov_b32_e32 v14, 0
	s_cmp_eq_u32 s22, 0
	s_cbranch_scc1 .LBB11_848
; %bb.846:                              ;   in Loop: Header=BB11_842 Depth=1
	s_mov_b64 s[18:19], 0
	s_mov_b64 s[20:21], 0
.LBB11_847:                             ;   Parent Loop BB11_842 Depth=1
                                        ; =>  This Inner Loop Header: Depth=2
	s_add_u32 s24, s4, s20
	s_addc_u32 s25, s5, s21
	s_add_u32 s20, s20, 1
	global_load_ubyte v4, v6, s[24:25]
	s_addc_u32 s21, s21, 0
	s_waitcnt vmcnt(0)
	v_and_b32_e32 v5, 0xffff, v4
	v_lshlrev_b64 v[4:5], s18, v[5:6]
	s_add_u32 s18, s18, 8
	s_addc_u32 s19, s19, 0
	s_cmp_lg_u32 s22, s20
	v_or_b32_e32 v13, v4, v13
	v_or_b32_e32 v14, v5, v14
	s_cbranch_scc1 .LBB11_847
.LBB11_848:                             ;   in Loop: Header=BB11_842 Depth=1
	s_mov_b32 s23, 0
	s_cbranch_execz .LBB11_855
	s_branch .LBB11_856
.LBB11_849:                             ;   in Loop: Header=BB11_842 Depth=1
	v_mov_b32_e32 v11, 0
	v_mov_b32_e32 v12, 0
	s_cmp_eq_u64 s[10:11], 0
	s_mov_b64 s[4:5], 0
	s_cbranch_scc1 .LBB11_852
; %bb.850:                              ;   in Loop: Header=BB11_842 Depth=1
	v_mov_b32_e32 v11, 0
	v_mov_b32_e32 v12, 0
	s_lshl_b64 s[18:19], s[16:17], 3
	s_mov_b64 s[20:21], s[6:7]
.LBB11_851:                             ;   Parent Loop BB11_842 Depth=1
                                        ; =>  This Inner Loop Header: Depth=2
	global_load_ubyte v4, v6, s[20:21]
	s_waitcnt vmcnt(0)
	v_and_b32_e32 v5, 0xffff, v4
	v_lshlrev_b64 v[4:5], s4, v[5:6]
	s_add_u32 s4, s4, 8
	s_addc_u32 s5, s5, 0
	s_add_u32 s20, s20, 1
	s_addc_u32 s21, s21, 0
	s_cmp_lg_u32 s18, s4
	v_or_b32_e32 v11, v4, v11
	v_or_b32_e32 v12, v5, v12
	s_cbranch_scc1 .LBB11_851
.LBB11_852:                             ;   in Loop: Header=BB11_842 Depth=1
	s_mov_b32 s22, 0
	s_mov_b64 s[4:5], s[6:7]
	s_cbranch_execnz .LBB11_844
.LBB11_853:                             ;   in Loop: Header=BB11_842 Depth=1
	global_load_dwordx2 v[11:12], v6, s[6:7]
	s_add_i32 s22, s16, -8
	s_add_u32 s4, s6, 8
	s_addc_u32 s5, s7, 0
	s_cmp_gt_u32 s22, 7
	s_cbranch_scc0 .LBB11_845
.LBB11_854:                             ;   in Loop: Header=BB11_842 Depth=1
                                        ; implicit-def: $vgpr13_vgpr14
                                        ; implicit-def: $sgpr23
.LBB11_855:                             ;   in Loop: Header=BB11_842 Depth=1
	global_load_dwordx2 v[13:14], v6, s[4:5]
	s_add_i32 s23, s22, -8
	s_add_u32 s4, s4, 8
	s_addc_u32 s5, s5, 0
.LBB11_856:                             ;   in Loop: Header=BB11_842 Depth=1
	s_cmp_gt_u32 s23, 7
	s_cbranch_scc1 .LBB11_861
; %bb.857:                              ;   in Loop: Header=BB11_842 Depth=1
	v_mov_b32_e32 v15, 0
	v_mov_b32_e32 v16, 0
	s_cmp_eq_u32 s23, 0
	s_cbranch_scc1 .LBB11_860
; %bb.858:                              ;   in Loop: Header=BB11_842 Depth=1
	s_mov_b64 s[18:19], 0
	s_mov_b64 s[20:21], 0
.LBB11_859:                             ;   Parent Loop BB11_842 Depth=1
                                        ; =>  This Inner Loop Header: Depth=2
	s_add_u32 s24, s4, s20
	s_addc_u32 s25, s5, s21
	s_add_u32 s20, s20, 1
	global_load_ubyte v4, v6, s[24:25]
	s_addc_u32 s21, s21, 0
	s_waitcnt vmcnt(0)
	v_and_b32_e32 v5, 0xffff, v4
	v_lshlrev_b64 v[4:5], s18, v[5:6]
	s_add_u32 s18, s18, 8
	s_addc_u32 s19, s19, 0
	s_cmp_lg_u32 s23, s20
	v_or_b32_e32 v15, v4, v15
	v_or_b32_e32 v16, v5, v16
	s_cbranch_scc1 .LBB11_859
.LBB11_860:                             ;   in Loop: Header=BB11_842 Depth=1
	s_mov_b32 s22, 0
	s_cbranch_execz .LBB11_862
	s_branch .LBB11_863
.LBB11_861:                             ;   in Loop: Header=BB11_842 Depth=1
                                        ; implicit-def: $sgpr22
.LBB11_862:                             ;   in Loop: Header=BB11_842 Depth=1
	global_load_dwordx2 v[15:16], v6, s[4:5]
	s_add_i32 s22, s23, -8
	s_add_u32 s4, s4, 8
	s_addc_u32 s5, s5, 0
.LBB11_863:                             ;   in Loop: Header=BB11_842 Depth=1
	s_cmp_gt_u32 s22, 7
	s_cbranch_scc1 .LBB11_868
; %bb.864:                              ;   in Loop: Header=BB11_842 Depth=1
	v_mov_b32_e32 v17, 0
	v_mov_b32_e32 v18, 0
	s_cmp_eq_u32 s22, 0
	s_cbranch_scc1 .LBB11_867
; %bb.865:                              ;   in Loop: Header=BB11_842 Depth=1
	s_mov_b64 s[18:19], 0
	s_mov_b64 s[20:21], 0
.LBB11_866:                             ;   Parent Loop BB11_842 Depth=1
                                        ; =>  This Inner Loop Header: Depth=2
	s_add_u32 s24, s4, s20
	s_addc_u32 s25, s5, s21
	s_add_u32 s20, s20, 1
	global_load_ubyte v4, v6, s[24:25]
	s_addc_u32 s21, s21, 0
	s_waitcnt vmcnt(0)
	v_and_b32_e32 v5, 0xffff, v4
	v_lshlrev_b64 v[4:5], s18, v[5:6]
	s_add_u32 s18, s18, 8
	s_addc_u32 s19, s19, 0
	s_cmp_lg_u32 s22, s20
	v_or_b32_e32 v17, v4, v17
	v_or_b32_e32 v18, v5, v18
	s_cbranch_scc1 .LBB11_866
.LBB11_867:                             ;   in Loop: Header=BB11_842 Depth=1
	s_mov_b32 s23, 0
	s_cbranch_execz .LBB11_869
	s_branch .LBB11_870
.LBB11_868:                             ;   in Loop: Header=BB11_842 Depth=1
                                        ; implicit-def: $vgpr17_vgpr18
                                        ; implicit-def: $sgpr23
.LBB11_869:                             ;   in Loop: Header=BB11_842 Depth=1
	global_load_dwordx2 v[17:18], v6, s[4:5]
	s_add_i32 s23, s22, -8
	s_add_u32 s4, s4, 8
	s_addc_u32 s5, s5, 0
.LBB11_870:                             ;   in Loop: Header=BB11_842 Depth=1
	s_cmp_gt_u32 s23, 7
	s_cbranch_scc1 .LBB11_875
; %bb.871:                              ;   in Loop: Header=BB11_842 Depth=1
	v_mov_b32_e32 v19, 0
	v_mov_b32_e32 v20, 0
	s_cmp_eq_u32 s23, 0
	s_cbranch_scc1 .LBB11_874
; %bb.872:                              ;   in Loop: Header=BB11_842 Depth=1
	s_mov_b64 s[18:19], 0
	s_mov_b64 s[20:21], 0
.LBB11_873:                             ;   Parent Loop BB11_842 Depth=1
                                        ; =>  This Inner Loop Header: Depth=2
	s_add_u32 s24, s4, s20
	s_addc_u32 s25, s5, s21
	s_add_u32 s20, s20, 1
	global_load_ubyte v4, v6, s[24:25]
	s_addc_u32 s21, s21, 0
	s_waitcnt vmcnt(0)
	v_and_b32_e32 v5, 0xffff, v4
	v_lshlrev_b64 v[4:5], s18, v[5:6]
	s_add_u32 s18, s18, 8
	s_addc_u32 s19, s19, 0
	s_cmp_lg_u32 s23, s20
	v_or_b32_e32 v19, v4, v19
	v_or_b32_e32 v20, v5, v20
	s_cbranch_scc1 .LBB11_873
.LBB11_874:                             ;   in Loop: Header=BB11_842 Depth=1
	s_mov_b32 s22, 0
	s_cbranch_execz .LBB11_876
	s_branch .LBB11_877
.LBB11_875:                             ;   in Loop: Header=BB11_842 Depth=1
                                        ; implicit-def: $sgpr22
.LBB11_876:                             ;   in Loop: Header=BB11_842 Depth=1
	global_load_dwordx2 v[19:20], v6, s[4:5]
	s_add_i32 s22, s23, -8
	s_add_u32 s4, s4, 8
	s_addc_u32 s5, s5, 0
.LBB11_877:                             ;   in Loop: Header=BB11_842 Depth=1
	s_cmp_gt_u32 s22, 7
	s_cbranch_scc1 .LBB11_882
; %bb.878:                              ;   in Loop: Header=BB11_842 Depth=1
	v_mov_b32_e32 v21, 0
	v_mov_b32_e32 v22, 0
	s_cmp_eq_u32 s22, 0
	s_cbranch_scc1 .LBB11_881
; %bb.879:                              ;   in Loop: Header=BB11_842 Depth=1
	s_mov_b64 s[18:19], 0
	s_mov_b64 s[20:21], 0
.LBB11_880:                             ;   Parent Loop BB11_842 Depth=1
                                        ; =>  This Inner Loop Header: Depth=2
	s_add_u32 s24, s4, s20
	s_addc_u32 s25, s5, s21
	s_add_u32 s20, s20, 1
	global_load_ubyte v4, v6, s[24:25]
	s_addc_u32 s21, s21, 0
	s_waitcnt vmcnt(0)
	v_and_b32_e32 v5, 0xffff, v4
	v_lshlrev_b64 v[4:5], s18, v[5:6]
	s_add_u32 s18, s18, 8
	s_addc_u32 s19, s19, 0
	s_cmp_lg_u32 s22, s20
	v_or_b32_e32 v21, v4, v21
	v_or_b32_e32 v22, v5, v22
	s_cbranch_scc1 .LBB11_880
.LBB11_881:                             ;   in Loop: Header=BB11_842 Depth=1
	s_mov_b32 s23, 0
	s_cbranch_execz .LBB11_883
	s_branch .LBB11_884
.LBB11_882:                             ;   in Loop: Header=BB11_842 Depth=1
                                        ; implicit-def: $vgpr21_vgpr22
                                        ; implicit-def: $sgpr23
.LBB11_883:                             ;   in Loop: Header=BB11_842 Depth=1
	global_load_dwordx2 v[21:22], v6, s[4:5]
	s_add_i32 s23, s22, -8
	s_add_u32 s4, s4, 8
	s_addc_u32 s5, s5, 0
.LBB11_884:                             ;   in Loop: Header=BB11_842 Depth=1
	s_cmp_gt_u32 s23, 7
	s_cbranch_scc1 .LBB11_889
; %bb.885:                              ;   in Loop: Header=BB11_842 Depth=1
	v_mov_b32_e32 v23, 0
	v_mov_b32_e32 v24, 0
	s_cmp_eq_u32 s23, 0
	s_cbranch_scc1 .LBB11_888
; %bb.886:                              ;   in Loop: Header=BB11_842 Depth=1
	s_mov_b64 s[18:19], 0
	s_mov_b64 s[20:21], s[4:5]
.LBB11_887:                             ;   Parent Loop BB11_842 Depth=1
                                        ; =>  This Inner Loop Header: Depth=2
	global_load_ubyte v4, v6, s[20:21]
	s_add_i32 s23, s23, -1
	s_waitcnt vmcnt(0)
	v_and_b32_e32 v5, 0xffff, v4
	v_lshlrev_b64 v[4:5], s18, v[5:6]
	s_add_u32 s18, s18, 8
	s_addc_u32 s19, s19, 0
	s_add_u32 s20, s20, 1
	s_addc_u32 s21, s21, 0
	s_cmp_lg_u32 s23, 0
	v_or_b32_e32 v23, v4, v23
	v_or_b32_e32 v24, v5, v24
	s_cbranch_scc1 .LBB11_887
.LBB11_888:                             ;   in Loop: Header=BB11_842 Depth=1
	s_cbranch_execz .LBB11_890
	s_branch .LBB11_891
.LBB11_889:                             ;   in Loop: Header=BB11_842 Depth=1
.LBB11_890:                             ;   in Loop: Header=BB11_842 Depth=1
	global_load_dwordx2 v[23:24], v6, s[4:5]
.LBB11_891:                             ;   in Loop: Header=BB11_842 Depth=1
	v_readfirstlane_b32 s4, v69
	s_waitcnt vmcnt(0)
	v_mov_b32_e32 v4, 0
	v_mov_b32_e32 v5, 0
	v_cmp_eq_u32_e64 s4, s4, v69
	s_and_saveexec_b32 s5, s4
	s_cbranch_execz .LBB11_897
; %bb.892:                              ;   in Loop: Header=BB11_842 Depth=1
	global_load_dwordx2 v[27:28], v6, s[40:41] offset:24 glc dlc
	s_waitcnt vmcnt(0)
	buffer_gl1_inv
	buffer_gl0_inv
	s_clause 0x1
	global_load_dwordx2 v[4:5], v6, s[40:41] offset:40
	global_load_dwordx2 v[9:10], v6, s[40:41]
	s_mov_b32 s18, exec_lo
	s_waitcnt vmcnt(1)
	v_and_b32_e32 v5, v5, v28
	v_and_b32_e32 v4, v4, v27
	v_mul_lo_u32 v5, v5, 24
	v_mul_hi_u32 v25, v4, 24
	v_mul_lo_u32 v4, v4, 24
	v_add_nc_u32_e32 v5, v25, v5
	s_waitcnt vmcnt(0)
	v_add_co_u32 v4, vcc_lo, v9, v4
	v_add_co_ci_u32_e32 v5, vcc_lo, v10, v5, vcc_lo
	global_load_dwordx2 v[25:26], v[4:5], off glc dlc
	s_waitcnt vmcnt(0)
	global_atomic_cmpswap_x2 v[4:5], v6, v[25:28], s[40:41] offset:24 glc
	s_waitcnt vmcnt(0)
	buffer_gl1_inv
	buffer_gl0_inv
	v_cmpx_ne_u64_e64 v[4:5], v[27:28]
	s_cbranch_execz .LBB11_896
; %bb.893:                              ;   in Loop: Header=BB11_842 Depth=1
	s_mov_b32 s19, 0
	.p2align	6
.LBB11_894:                             ;   Parent Loop BB11_842 Depth=1
                                        ; =>  This Inner Loop Header: Depth=2
	s_sleep 1
	s_clause 0x1
	global_load_dwordx2 v[9:10], v6, s[40:41] offset:40
	global_load_dwordx2 v[25:26], v6, s[40:41]
	v_mov_b32_e32 v28, v5
	v_mov_b32_e32 v27, v4
	s_waitcnt vmcnt(1)
	v_and_b32_e32 v4, v9, v27
	v_and_b32_e32 v9, v10, v28
	s_waitcnt vmcnt(0)
	v_mad_u64_u32 v[4:5], null, v4, 24, v[25:26]
	v_mad_u64_u32 v[9:10], null, v9, 24, v[5:6]
	v_mov_b32_e32 v5, v9
	global_load_dwordx2 v[25:26], v[4:5], off glc dlc
	s_waitcnt vmcnt(0)
	global_atomic_cmpswap_x2 v[4:5], v6, v[25:28], s[40:41] offset:24 glc
	s_waitcnt vmcnt(0)
	buffer_gl1_inv
	buffer_gl0_inv
	v_cmp_eq_u64_e32 vcc_lo, v[4:5], v[27:28]
	s_or_b32 s19, vcc_lo, s19
	s_andn2_b32 exec_lo, exec_lo, s19
	s_cbranch_execnz .LBB11_894
; %bb.895:                              ;   in Loop: Header=BB11_842 Depth=1
	s_or_b32 exec_lo, exec_lo, s19
.LBB11_896:                             ;   in Loop: Header=BB11_842 Depth=1
	s_or_b32 exec_lo, exec_lo, s18
.LBB11_897:                             ;   in Loop: Header=BB11_842 Depth=1
	s_or_b32 exec_lo, exec_lo, s5
	s_clause 0x1
	global_load_dwordx2 v[9:10], v6, s[40:41] offset:40
	global_load_dwordx4 v[25:28], v6, s[40:41]
	v_readfirstlane_b32 s18, v4
	v_readfirstlane_b32 s19, v5
	s_mov_b32 s5, exec_lo
	s_waitcnt vmcnt(1)
	v_readfirstlane_b32 s20, v9
	v_readfirstlane_b32 s21, v10
	s_and_b64 s[20:21], s[18:19], s[20:21]
	s_mul_i32 s22, s21, 24
	s_mul_hi_u32 s23, s20, 24
	s_mul_i32 s24, s20, 24
	s_add_i32 s23, s23, s22
	s_waitcnt vmcnt(0)
	v_add_co_u32 v29, vcc_lo, v25, s24
	v_add_co_ci_u32_e32 v30, vcc_lo, s23, v26, vcc_lo
	s_and_saveexec_b32 s22, s4
	s_cbranch_execz .LBB11_899
; %bb.898:                              ;   in Loop: Header=BB11_842 Depth=1
	v_mov_b32_e32 v5, s5
	global_store_dwordx4 v[29:30], v[5:8], off offset:8
.LBB11_899:                             ;   in Loop: Header=BB11_842 Depth=1
	s_or_b32 exec_lo, exec_lo, s22
	s_lshl_b64 s[20:21], s[20:21], 12
	v_cmp_gt_u64_e64 vcc_lo, s[10:11], 56
	v_or_b32_e32 v5, v2, v31
	v_add_co_u32 v27, s5, v27, s20
	v_add_co_ci_u32_e64 v28, s5, s21, v28, s5
	s_lshl_b32 s5, s16, 2
	v_or_b32_e32 v4, 0, v3
	v_cndmask_b32_e32 v2, v5, v2, vcc_lo
	s_add_i32 s5, s5, 28
	v_readfirstlane_b32 s20, v27
	s_and_b32 s5, s5, 0x1e0
	v_cndmask_b32_e32 v10, v4, v3, vcc_lo
	v_readfirstlane_b32 s21, v28
	v_and_or_b32 v9, 0xffffff1f, v2, s5
	global_store_dwordx4 v68, v[9:12], s[20:21]
	global_store_dwordx4 v68, v[13:16], s[20:21] offset:16
	global_store_dwordx4 v68, v[17:20], s[20:21] offset:32
	;; [unrolled: 1-line block ×3, first 2 shown]
	s_and_saveexec_b32 s5, s4
	s_cbranch_execz .LBB11_907
; %bb.900:                              ;   in Loop: Header=BB11_842 Depth=1
	s_clause 0x1
	global_load_dwordx2 v[13:14], v6, s[40:41] offset:32 glc dlc
	global_load_dwordx2 v[2:3], v6, s[40:41] offset:40
	v_mov_b32_e32 v11, s18
	v_mov_b32_e32 v12, s19
	s_waitcnt vmcnt(0)
	v_readfirstlane_b32 s20, v2
	v_readfirstlane_b32 s21, v3
	s_and_b64 s[20:21], s[20:21], s[18:19]
	s_mul_i32 s21, s21, 24
	s_mul_hi_u32 s22, s20, 24
	s_mul_i32 s20, s20, 24
	s_add_i32 s22, s22, s21
	v_add_co_u32 v9, vcc_lo, v25, s20
	v_add_co_ci_u32_e32 v10, vcc_lo, s22, v26, vcc_lo
	s_mov_b32 s20, exec_lo
	global_store_dwordx2 v[9:10], v[13:14], off
	s_waitcnt_vscnt null, 0x0
	global_atomic_cmpswap_x2 v[4:5], v6, v[11:14], s[40:41] offset:32 glc
	s_waitcnt vmcnt(0)
	v_cmpx_ne_u64_e64 v[4:5], v[13:14]
	s_cbranch_execz .LBB11_903
; %bb.901:                              ;   in Loop: Header=BB11_842 Depth=1
	s_mov_b32 s21, 0
.LBB11_902:                             ;   Parent Loop BB11_842 Depth=1
                                        ; =>  This Inner Loop Header: Depth=2
	v_mov_b32_e32 v2, s18
	v_mov_b32_e32 v3, s19
	s_sleep 1
	global_store_dwordx2 v[9:10], v[4:5], off
	s_waitcnt_vscnt null, 0x0
	global_atomic_cmpswap_x2 v[2:3], v6, v[2:5], s[40:41] offset:32 glc
	s_waitcnt vmcnt(0)
	v_cmp_eq_u64_e32 vcc_lo, v[2:3], v[4:5]
	v_mov_b32_e32 v5, v3
	v_mov_b32_e32 v4, v2
	s_or_b32 s21, vcc_lo, s21
	s_andn2_b32 exec_lo, exec_lo, s21
	s_cbranch_execnz .LBB11_902
.LBB11_903:                             ;   in Loop: Header=BB11_842 Depth=1
	s_or_b32 exec_lo, exec_lo, s20
	global_load_dwordx2 v[2:3], v6, s[40:41] offset:16
	s_mov_b32 s21, exec_lo
	s_mov_b32 s20, exec_lo
	v_mbcnt_lo_u32_b32 v4, s21, 0
	v_cmpx_eq_u32_e32 0, v4
	s_cbranch_execz .LBB11_905
; %bb.904:                              ;   in Loop: Header=BB11_842 Depth=1
	s_bcnt1_i32_b32 s21, s21
	v_mov_b32_e32 v5, s21
	s_waitcnt vmcnt(0)
	global_atomic_add_x2 v[2:3], v[5:6], off offset:8
.LBB11_905:                             ;   in Loop: Header=BB11_842 Depth=1
	s_or_b32 exec_lo, exec_lo, s20
	s_waitcnt vmcnt(0)
	global_load_dwordx2 v[9:10], v[2:3], off offset:16
	s_waitcnt vmcnt(0)
	v_cmp_eq_u64_e32 vcc_lo, 0, v[9:10]
	s_cbranch_vccnz .LBB11_907
; %bb.906:                              ;   in Loop: Header=BB11_842 Depth=1
	global_load_dword v5, v[2:3], off offset:24
	s_waitcnt vmcnt(0)
	v_and_b32_e32 v2, 0x7fffff, v5
	s_waitcnt_vscnt null, 0x0
	global_store_dwordx2 v[9:10], v[5:6], off
	v_readfirstlane_b32 m0, v2
	s_sendmsg sendmsg(MSG_INTERRUPT)
.LBB11_907:                             ;   in Loop: Header=BB11_842 Depth=1
	s_or_b32 exec_lo, exec_lo, s5
	v_add_co_u32 v2, vcc_lo, v27, v68
	v_add_co_ci_u32_e32 v3, vcc_lo, 0, v28, vcc_lo
	s_branch .LBB11_911
	.p2align	6
.LBB11_908:                             ;   in Loop: Header=BB11_911 Depth=2
	s_or_b32 exec_lo, exec_lo, s5
	v_readfirstlane_b32 s5, v4
	s_cmp_eq_u32 s5, 0
	s_cbranch_scc1 .LBB11_910
; %bb.909:                              ;   in Loop: Header=BB11_911 Depth=2
	s_sleep 1
	s_cbranch_execnz .LBB11_911
	s_branch .LBB11_913
	.p2align	6
.LBB11_910:                             ;   in Loop: Header=BB11_842 Depth=1
	s_branch .LBB11_913
.LBB11_911:                             ;   Parent Loop BB11_842 Depth=1
                                        ; =>  This Inner Loop Header: Depth=2
	v_mov_b32_e32 v4, 1
	s_and_saveexec_b32 s5, s4
	s_cbranch_execz .LBB11_908
; %bb.912:                              ;   in Loop: Header=BB11_911 Depth=2
	global_load_dword v4, v[29:30], off offset:20 glc dlc
	s_waitcnt vmcnt(0)
	buffer_gl1_inv
	buffer_gl0_inv
	v_and_b32_e32 v4, 1, v4
	s_branch .LBB11_908
.LBB11_913:                             ;   in Loop: Header=BB11_842 Depth=1
	global_load_dwordx4 v[2:5], v[2:3], off
	s_and_saveexec_b32 s5, s4
	s_cbranch_execz .LBB11_841
; %bb.914:                              ;   in Loop: Header=BB11_842 Depth=1
	s_clause 0x2
	global_load_dwordx2 v[4:5], v6, s[40:41] offset:40
	global_load_dwordx2 v[13:14], v6, s[40:41] offset:24 glc dlc
	global_load_dwordx2 v[11:12], v6, s[40:41]
	s_waitcnt vmcnt(2)
	v_add_co_u32 v15, vcc_lo, v4, 1
	v_add_co_ci_u32_e32 v16, vcc_lo, 0, v5, vcc_lo
	v_add_co_u32 v9, vcc_lo, v15, s18
	v_add_co_ci_u32_e32 v10, vcc_lo, s19, v16, vcc_lo
	v_cmp_eq_u64_e32 vcc_lo, 0, v[9:10]
	v_cndmask_b32_e32 v10, v10, v16, vcc_lo
	v_cndmask_b32_e32 v9, v9, v15, vcc_lo
	v_and_b32_e32 v5, v10, v5
	v_and_b32_e32 v4, v9, v4
	v_mul_lo_u32 v5, v5, 24
	v_mul_hi_u32 v15, v4, 24
	v_mul_lo_u32 v4, v4, 24
	v_add_nc_u32_e32 v5, v15, v5
	s_waitcnt vmcnt(0)
	v_add_co_u32 v4, vcc_lo, v11, v4
	v_mov_b32_e32 v11, v13
	v_add_co_ci_u32_e32 v5, vcc_lo, v12, v5, vcc_lo
	v_mov_b32_e32 v12, v14
	global_store_dwordx2 v[4:5], v[13:14], off
	s_waitcnt_vscnt null, 0x0
	global_atomic_cmpswap_x2 v[11:12], v6, v[9:12], s[40:41] offset:24 glc
	s_waitcnt vmcnt(0)
	v_cmp_ne_u64_e32 vcc_lo, v[11:12], v[13:14]
	s_and_b32 exec_lo, exec_lo, vcc_lo
	s_cbranch_execz .LBB11_841
; %bb.915:                              ;   in Loop: Header=BB11_842 Depth=1
	s_mov_b32 s4, 0
.LBB11_916:                             ;   Parent Loop BB11_842 Depth=1
                                        ; =>  This Inner Loop Header: Depth=2
	s_sleep 1
	global_store_dwordx2 v[4:5], v[11:12], off
	s_waitcnt_vscnt null, 0x0
	global_atomic_cmpswap_x2 v[13:14], v6, v[9:12], s[40:41] offset:24 glc
	s_waitcnt vmcnt(0)
	v_cmp_eq_u64_e32 vcc_lo, v[13:14], v[11:12]
	v_mov_b32_e32 v11, v13
	v_mov_b32_e32 v12, v14
	s_or_b32 s4, vcc_lo, s4
	s_andn2_b32 exec_lo, exec_lo, s4
	s_cbranch_execnz .LBB11_916
	s_branch .LBB11_841
.LBB11_917:
	s_branch .LBB11_946
.LBB11_918:
                                        ; implicit-def: $vgpr2_vgpr3
	s_cbranch_execz .LBB11_946
; %bb.919:
	v_readfirstlane_b32 s4, v69
	v_mov_b32_e32 v8, 0
	v_mov_b32_e32 v9, 0
	v_cmp_eq_u32_e64 s4, s4, v69
	s_and_saveexec_b32 s5, s4
	s_cbranch_execz .LBB11_925
; %bb.920:
	s_waitcnt vmcnt(0)
	v_mov_b32_e32 v2, 0
	s_mov_b32 s6, exec_lo
	global_load_dwordx2 v[5:6], v2, s[40:41] offset:24 glc dlc
	s_waitcnt vmcnt(0)
	buffer_gl1_inv
	buffer_gl0_inv
	s_clause 0x1
	global_load_dwordx2 v[3:4], v2, s[40:41] offset:40
	global_load_dwordx2 v[7:8], v2, s[40:41]
	s_waitcnt vmcnt(1)
	v_and_b32_e32 v4, v4, v6
	v_and_b32_e32 v3, v3, v5
	v_mul_lo_u32 v4, v4, 24
	v_mul_hi_u32 v9, v3, 24
	v_mul_lo_u32 v3, v3, 24
	v_add_nc_u32_e32 v4, v9, v4
	s_waitcnt vmcnt(0)
	v_add_co_u32 v3, vcc_lo, v7, v3
	v_add_co_ci_u32_e32 v4, vcc_lo, v8, v4, vcc_lo
	global_load_dwordx2 v[3:4], v[3:4], off glc dlc
	s_waitcnt vmcnt(0)
	global_atomic_cmpswap_x2 v[8:9], v2, v[3:6], s[40:41] offset:24 glc
	s_waitcnt vmcnt(0)
	buffer_gl1_inv
	buffer_gl0_inv
	v_cmpx_ne_u64_e64 v[8:9], v[5:6]
	s_cbranch_execz .LBB11_924
; %bb.921:
	s_mov_b32 s7, 0
	.p2align	6
.LBB11_922:                             ; =>This Inner Loop Header: Depth=1
	s_sleep 1
	s_clause 0x1
	global_load_dwordx2 v[3:4], v2, s[40:41] offset:40
	global_load_dwordx2 v[10:11], v2, s[40:41]
	v_mov_b32_e32 v5, v8
	v_mov_b32_e32 v6, v9
	s_waitcnt vmcnt(1)
	v_and_b32_e32 v3, v3, v5
	v_and_b32_e32 v4, v4, v6
	s_waitcnt vmcnt(0)
	v_mad_u64_u32 v[7:8], null, v3, 24, v[10:11]
	v_mov_b32_e32 v3, v8
	v_mad_u64_u32 v[3:4], null, v4, 24, v[3:4]
	v_mov_b32_e32 v8, v3
	global_load_dwordx2 v[3:4], v[7:8], off glc dlc
	s_waitcnt vmcnt(0)
	global_atomic_cmpswap_x2 v[8:9], v2, v[3:6], s[40:41] offset:24 glc
	s_waitcnt vmcnt(0)
	buffer_gl1_inv
	buffer_gl0_inv
	v_cmp_eq_u64_e32 vcc_lo, v[8:9], v[5:6]
	s_or_b32 s7, vcc_lo, s7
	s_andn2_b32 exec_lo, exec_lo, s7
	s_cbranch_execnz .LBB11_922
; %bb.923:
	s_or_b32 exec_lo, exec_lo, s7
.LBB11_924:
	s_or_b32 exec_lo, exec_lo, s6
.LBB11_925:
	s_or_b32 exec_lo, exec_lo, s5
	s_waitcnt vmcnt(0)
	v_mov_b32_e32 v2, 0
	v_readfirstlane_b32 s6, v8
	v_readfirstlane_b32 s7, v9
	s_mov_b32 s5, exec_lo
	s_clause 0x1
	global_load_dwordx2 v[10:11], v2, s[40:41] offset:40
	global_load_dwordx4 v[4:7], v2, s[40:41]
	s_waitcnt vmcnt(1)
	v_readfirstlane_b32 s10, v10
	v_readfirstlane_b32 s11, v11
	s_and_b64 s[10:11], s[6:7], s[10:11]
	s_mul_i32 s16, s11, 24
	s_mul_hi_u32 s17, s10, 24
	s_mul_i32 s18, s10, 24
	s_add_i32 s17, s17, s16
	s_waitcnt vmcnt(0)
	v_add_co_u32 v8, vcc_lo, v4, s18
	v_add_co_ci_u32_e32 v9, vcc_lo, s17, v5, vcc_lo
	s_and_saveexec_b32 s16, s4
	s_cbranch_execz .LBB11_927
; %bb.926:
	v_mov_b32_e32 v10, s5
	v_mov_b32_e32 v11, v2
	;; [unrolled: 1-line block ×4, first 2 shown]
	global_store_dwordx4 v[8:9], v[10:13], off offset:8
.LBB11_927:
	s_or_b32 exec_lo, exec_lo, s16
	s_lshl_b64 s[10:11], s[10:11], 12
	s_mov_b32 s16, 0
	v_add_co_u32 v6, vcc_lo, v6, s10
	v_add_co_ci_u32_e32 v7, vcc_lo, s11, v7, vcc_lo
	s_mov_b32 s17, s16
	v_readfirstlane_b32 s10, v6
	v_add_co_u32 v6, vcc_lo, v6, v68
	s_mov_b32 s18, s16
	s_mov_b32 s19, s16
	v_and_or_b32 v0, 0xffffff1f, v0, 32
	v_mov_b32_e32 v3, v2
	v_readfirstlane_b32 s11, v7
	v_mov_b32_e32 v10, s16
	v_add_co_ci_u32_e32 v7, vcc_lo, 0, v7, vcc_lo
	v_mov_b32_e32 v11, s17
	v_mov_b32_e32 v12, s18
	;; [unrolled: 1-line block ×3, first 2 shown]
	global_store_dwordx4 v68, v[0:3], s[10:11]
	global_store_dwordx4 v68, v[10:13], s[10:11] offset:16
	global_store_dwordx4 v68, v[10:13], s[10:11] offset:32
	;; [unrolled: 1-line block ×3, first 2 shown]
	s_and_saveexec_b32 s5, s4
	s_cbranch_execz .LBB11_935
; %bb.928:
	v_mov_b32_e32 v10, 0
	v_mov_b32_e32 v11, s6
	;; [unrolled: 1-line block ×3, first 2 shown]
	s_clause 0x1
	global_load_dwordx2 v[13:14], v10, s[40:41] offset:32 glc dlc
	global_load_dwordx2 v[0:1], v10, s[40:41] offset:40
	s_waitcnt vmcnt(0)
	v_readfirstlane_b32 s10, v0
	v_readfirstlane_b32 s11, v1
	s_and_b64 s[10:11], s[10:11], s[6:7]
	s_mul_i32 s11, s11, 24
	s_mul_hi_u32 s16, s10, 24
	s_mul_i32 s10, s10, 24
	s_add_i32 s16, s16, s11
	v_add_co_u32 v4, vcc_lo, v4, s10
	v_add_co_ci_u32_e32 v5, vcc_lo, s16, v5, vcc_lo
	s_mov_b32 s10, exec_lo
	global_store_dwordx2 v[4:5], v[13:14], off
	s_waitcnt_vscnt null, 0x0
	global_atomic_cmpswap_x2 v[2:3], v10, v[11:14], s[40:41] offset:32 glc
	s_waitcnt vmcnt(0)
	v_cmpx_ne_u64_e64 v[2:3], v[13:14]
	s_cbranch_execz .LBB11_931
; %bb.929:
	s_mov_b32 s11, 0
.LBB11_930:                             ; =>This Inner Loop Header: Depth=1
	v_mov_b32_e32 v0, s6
	v_mov_b32_e32 v1, s7
	s_sleep 1
	global_store_dwordx2 v[4:5], v[2:3], off
	s_waitcnt_vscnt null, 0x0
	global_atomic_cmpswap_x2 v[0:1], v10, v[0:3], s[40:41] offset:32 glc
	s_waitcnt vmcnt(0)
	v_cmp_eq_u64_e32 vcc_lo, v[0:1], v[2:3]
	v_mov_b32_e32 v3, v1
	v_mov_b32_e32 v2, v0
	s_or_b32 s11, vcc_lo, s11
	s_andn2_b32 exec_lo, exec_lo, s11
	s_cbranch_execnz .LBB11_930
.LBB11_931:
	s_or_b32 exec_lo, exec_lo, s10
	v_mov_b32_e32 v3, 0
	s_mov_b32 s11, exec_lo
	s_mov_b32 s10, exec_lo
	v_mbcnt_lo_u32_b32 v2, s11, 0
	global_load_dwordx2 v[0:1], v3, s[40:41] offset:16
	v_cmpx_eq_u32_e32 0, v2
	s_cbranch_execz .LBB11_933
; %bb.932:
	s_bcnt1_i32_b32 s11, s11
	v_mov_b32_e32 v2, s11
	s_waitcnt vmcnt(0)
	global_atomic_add_x2 v[0:1], v[2:3], off offset:8
.LBB11_933:
	s_or_b32 exec_lo, exec_lo, s10
	s_waitcnt vmcnt(0)
	global_load_dwordx2 v[2:3], v[0:1], off offset:16
	s_waitcnt vmcnt(0)
	v_cmp_eq_u64_e32 vcc_lo, 0, v[2:3]
	s_cbranch_vccnz .LBB11_935
; %bb.934:
	global_load_dword v0, v[0:1], off offset:24
	v_mov_b32_e32 v1, 0
	s_waitcnt vmcnt(0)
	v_and_b32_e32 v4, 0x7fffff, v0
	s_waitcnt_vscnt null, 0x0
	global_store_dwordx2 v[2:3], v[0:1], off
	v_readfirstlane_b32 m0, v4
	s_sendmsg sendmsg(MSG_INTERRUPT)
.LBB11_935:
	s_or_b32 exec_lo, exec_lo, s5
	s_branch .LBB11_939
	.p2align	6
.LBB11_936:                             ;   in Loop: Header=BB11_939 Depth=1
	s_or_b32 exec_lo, exec_lo, s5
	v_readfirstlane_b32 s5, v0
	s_cmp_eq_u32 s5, 0
	s_cbranch_scc1 .LBB11_938
; %bb.937:                              ;   in Loop: Header=BB11_939 Depth=1
	s_sleep 1
	s_cbranch_execnz .LBB11_939
	s_branch .LBB11_941
	.p2align	6
.LBB11_938:
	s_branch .LBB11_941
.LBB11_939:                             ; =>This Inner Loop Header: Depth=1
	v_mov_b32_e32 v0, 1
	s_and_saveexec_b32 s5, s4
	s_cbranch_execz .LBB11_936
; %bb.940:                              ;   in Loop: Header=BB11_939 Depth=1
	global_load_dword v0, v[8:9], off offset:20 glc dlc
	s_waitcnt vmcnt(0)
	buffer_gl1_inv
	buffer_gl0_inv
	v_and_b32_e32 v0, 1, v0
	s_branch .LBB11_936
.LBB11_941:
	global_load_dwordx2 v[2:3], v[6:7], off
	s_and_saveexec_b32 s5, s4
	s_cbranch_execz .LBB11_945
; %bb.942:
	v_mov_b32_e32 v8, 0
	s_clause 0x2
	global_load_dwordx2 v[0:1], v8, s[40:41] offset:40
	global_load_dwordx2 v[9:10], v8, s[40:41] offset:24 glc dlc
	global_load_dwordx2 v[6:7], v8, s[40:41]
	s_waitcnt vmcnt(2)
	v_add_co_u32 v11, vcc_lo, v0, 1
	v_add_co_ci_u32_e32 v12, vcc_lo, 0, v1, vcc_lo
	v_add_co_u32 v4, vcc_lo, v11, s6
	v_add_co_ci_u32_e32 v5, vcc_lo, s7, v12, vcc_lo
	v_cmp_eq_u64_e32 vcc_lo, 0, v[4:5]
	v_cndmask_b32_e32 v5, v5, v12, vcc_lo
	v_cndmask_b32_e32 v4, v4, v11, vcc_lo
	v_and_b32_e32 v1, v5, v1
	v_and_b32_e32 v0, v4, v0
	v_mul_lo_u32 v1, v1, 24
	v_mul_hi_u32 v11, v0, 24
	v_mul_lo_u32 v0, v0, 24
	v_add_nc_u32_e32 v1, v11, v1
	s_waitcnt vmcnt(0)
	v_add_co_u32 v0, vcc_lo, v6, v0
	v_mov_b32_e32 v6, v9
	v_add_co_ci_u32_e32 v1, vcc_lo, v7, v1, vcc_lo
	v_mov_b32_e32 v7, v10
	global_store_dwordx2 v[0:1], v[9:10], off
	s_waitcnt_vscnt null, 0x0
	global_atomic_cmpswap_x2 v[6:7], v8, v[4:7], s[40:41] offset:24 glc
	s_waitcnt vmcnt(0)
	v_cmp_ne_u64_e32 vcc_lo, v[6:7], v[9:10]
	s_and_b32 exec_lo, exec_lo, vcc_lo
	s_cbranch_execz .LBB11_945
; %bb.943:
	s_mov_b32 s4, 0
.LBB11_944:                             ; =>This Inner Loop Header: Depth=1
	s_sleep 1
	global_store_dwordx2 v[0:1], v[6:7], off
	s_waitcnt_vscnt null, 0x0
	global_atomic_cmpswap_x2 v[9:10], v8, v[4:7], s[40:41] offset:24 glc
	s_waitcnt vmcnt(0)
	v_cmp_eq_u64_e32 vcc_lo, v[9:10], v[6:7]
	v_mov_b32_e32 v6, v9
	v_mov_b32_e32 v7, v10
	s_or_b32 s4, vcc_lo, s4
	s_andn2_b32 exec_lo, exec_lo, s4
	s_cbranch_execnz .LBB11_944
.LBB11_945:
	s_or_b32 exec_lo, exec_lo, s5
.LBB11_946:
	v_readfirstlane_b32 s4, v69
	s_waitcnt vmcnt(0)
	v_mov_b32_e32 v0, 0
	v_mov_b32_e32 v1, 0
	v_cmp_eq_u32_e64 s4, s4, v69
	s_and_saveexec_b32 s5, s4
	s_cbranch_execz .LBB11_952
; %bb.947:
	v_mov_b32_e32 v4, 0
	s_mov_b32 s6, exec_lo
	global_load_dwordx2 v[7:8], v4, s[40:41] offset:24 glc dlc
	s_waitcnt vmcnt(0)
	buffer_gl1_inv
	buffer_gl0_inv
	s_clause 0x1
	global_load_dwordx2 v[0:1], v4, s[40:41] offset:40
	global_load_dwordx2 v[5:6], v4, s[40:41]
	s_waitcnt vmcnt(1)
	v_and_b32_e32 v1, v1, v8
	v_and_b32_e32 v0, v0, v7
	v_mul_lo_u32 v1, v1, 24
	v_mul_hi_u32 v9, v0, 24
	v_mul_lo_u32 v0, v0, 24
	v_add_nc_u32_e32 v1, v9, v1
	s_waitcnt vmcnt(0)
	v_add_co_u32 v0, vcc_lo, v5, v0
	v_add_co_ci_u32_e32 v1, vcc_lo, v6, v1, vcc_lo
	global_load_dwordx2 v[5:6], v[0:1], off glc dlc
	s_waitcnt vmcnt(0)
	global_atomic_cmpswap_x2 v[0:1], v4, v[5:8], s[40:41] offset:24 glc
	s_waitcnt vmcnt(0)
	buffer_gl1_inv
	buffer_gl0_inv
	v_cmpx_ne_u64_e64 v[0:1], v[7:8]
	s_cbranch_execz .LBB11_951
; %bb.948:
	s_mov_b32 s7, 0
	.p2align	6
.LBB11_949:                             ; =>This Inner Loop Header: Depth=1
	s_sleep 1
	s_clause 0x1
	global_load_dwordx2 v[5:6], v4, s[40:41] offset:40
	global_load_dwordx2 v[9:10], v4, s[40:41]
	v_mov_b32_e32 v8, v1
	v_mov_b32_e32 v7, v0
	s_waitcnt vmcnt(1)
	v_and_b32_e32 v0, v5, v7
	v_and_b32_e32 v5, v6, v8
	s_waitcnt vmcnt(0)
	v_mad_u64_u32 v[0:1], null, v0, 24, v[9:10]
	v_mad_u64_u32 v[5:6], null, v5, 24, v[1:2]
	v_mov_b32_e32 v1, v5
	global_load_dwordx2 v[5:6], v[0:1], off glc dlc
	s_waitcnt vmcnt(0)
	global_atomic_cmpswap_x2 v[0:1], v4, v[5:8], s[40:41] offset:24 glc
	s_waitcnt vmcnt(0)
	buffer_gl1_inv
	buffer_gl0_inv
	v_cmp_eq_u64_e32 vcc_lo, v[0:1], v[7:8]
	s_or_b32 s7, vcc_lo, s7
	s_andn2_b32 exec_lo, exec_lo, s7
	s_cbranch_execnz .LBB11_949
; %bb.950:
	s_or_b32 exec_lo, exec_lo, s7
.LBB11_951:
	s_or_b32 exec_lo, exec_lo, s6
.LBB11_952:
	s_or_b32 exec_lo, exec_lo, s5
	v_mov_b32_e32 v5, 0
	v_readfirstlane_b32 s6, v0
	v_readfirstlane_b32 s7, v1
	s_mov_b32 s5, exec_lo
	s_clause 0x1
	global_load_dwordx2 v[10:11], v5, s[40:41] offset:40
	global_load_dwordx4 v[6:9], v5, s[40:41]
	s_waitcnt vmcnt(1)
	v_readfirstlane_b32 s10, v10
	v_readfirstlane_b32 s11, v11
	s_and_b64 s[10:11], s[6:7], s[10:11]
	s_mul_i32 s16, s11, 24
	s_mul_hi_u32 s17, s10, 24
	s_mul_i32 s18, s10, 24
	s_add_i32 s17, s17, s16
	s_waitcnt vmcnt(0)
	v_add_co_u32 v10, vcc_lo, v6, s18
	v_add_co_ci_u32_e32 v11, vcc_lo, s17, v7, vcc_lo
	s_and_saveexec_b32 s16, s4
	s_cbranch_execz .LBB11_954
; %bb.953:
	v_mov_b32_e32 v4, s5
	v_mov_b32_e32 v13, v5
	;; [unrolled: 1-line block ×5, first 2 shown]
	global_store_dwordx4 v[10:11], v[12:15], off offset:8
.LBB11_954:
	s_or_b32 exec_lo, exec_lo, s16
	s_lshl_b64 s[10:11], s[10:11], 12
	s_mov_b32 s16, 0
	v_add_co_u32 v0, vcc_lo, v8, s10
	v_add_co_ci_u32_e32 v1, vcc_lo, s11, v9, vcc_lo
	s_mov_b32 s17, s16
	s_mov_b32 s18, s16
	;; [unrolled: 1-line block ×3, first 2 shown]
	v_and_or_b32 v2, 0xffffff1d, v2, 34
	v_mov_b32_e32 v4, 0x43c
	v_readfirstlane_b32 s10, v0
	v_readfirstlane_b32 s11, v1
	v_mov_b32_e32 v12, s16
	v_mov_b32_e32 v13, s17
	;; [unrolled: 1-line block ×4, first 2 shown]
	global_store_dwordx4 v68, v[2:5], s[10:11]
	global_store_dwordx4 v68, v[12:15], s[10:11] offset:16
	global_store_dwordx4 v68, v[12:15], s[10:11] offset:32
	;; [unrolled: 1-line block ×3, first 2 shown]
	s_and_saveexec_b32 s5, s4
	s_cbranch_execz .LBB11_962
; %bb.955:
	v_mov_b32_e32 v8, 0
	v_mov_b32_e32 v12, s6
	;; [unrolled: 1-line block ×3, first 2 shown]
	s_clause 0x1
	global_load_dwordx2 v[14:15], v8, s[40:41] offset:32 glc dlc
	global_load_dwordx2 v[0:1], v8, s[40:41] offset:40
	s_waitcnt vmcnt(0)
	v_readfirstlane_b32 s10, v0
	v_readfirstlane_b32 s11, v1
	s_and_b64 s[10:11], s[10:11], s[6:7]
	s_mul_i32 s11, s11, 24
	s_mul_hi_u32 s16, s10, 24
	s_mul_i32 s10, s10, 24
	s_add_i32 s16, s16, s11
	v_add_co_u32 v4, vcc_lo, v6, s10
	v_add_co_ci_u32_e32 v5, vcc_lo, s16, v7, vcc_lo
	s_mov_b32 s10, exec_lo
	global_store_dwordx2 v[4:5], v[14:15], off
	s_waitcnt_vscnt null, 0x0
	global_atomic_cmpswap_x2 v[2:3], v8, v[12:15], s[40:41] offset:32 glc
	s_waitcnt vmcnt(0)
	v_cmpx_ne_u64_e64 v[2:3], v[14:15]
	s_cbranch_execz .LBB11_958
; %bb.956:
	s_mov_b32 s11, 0
.LBB11_957:                             ; =>This Inner Loop Header: Depth=1
	v_mov_b32_e32 v0, s6
	v_mov_b32_e32 v1, s7
	s_sleep 1
	global_store_dwordx2 v[4:5], v[2:3], off
	s_waitcnt_vscnt null, 0x0
	global_atomic_cmpswap_x2 v[0:1], v8, v[0:3], s[40:41] offset:32 glc
	s_waitcnt vmcnt(0)
	v_cmp_eq_u64_e32 vcc_lo, v[0:1], v[2:3]
	v_mov_b32_e32 v3, v1
	v_mov_b32_e32 v2, v0
	s_or_b32 s11, vcc_lo, s11
	s_andn2_b32 exec_lo, exec_lo, s11
	s_cbranch_execnz .LBB11_957
.LBB11_958:
	s_or_b32 exec_lo, exec_lo, s10
	v_mov_b32_e32 v3, 0
	s_mov_b32 s11, exec_lo
	s_mov_b32 s10, exec_lo
	v_mbcnt_lo_u32_b32 v2, s11, 0
	global_load_dwordx2 v[0:1], v3, s[40:41] offset:16
	v_cmpx_eq_u32_e32 0, v2
	s_cbranch_execz .LBB11_960
; %bb.959:
	s_bcnt1_i32_b32 s11, s11
	v_mov_b32_e32 v2, s11
	s_waitcnt vmcnt(0)
	global_atomic_add_x2 v[0:1], v[2:3], off offset:8
.LBB11_960:
	s_or_b32 exec_lo, exec_lo, s10
	s_waitcnt vmcnt(0)
	global_load_dwordx2 v[2:3], v[0:1], off offset:16
	s_waitcnt vmcnt(0)
	v_cmp_eq_u64_e32 vcc_lo, 0, v[2:3]
	s_cbranch_vccnz .LBB11_962
; %bb.961:
	global_load_dword v0, v[0:1], off offset:24
	v_mov_b32_e32 v1, 0
	s_waitcnt vmcnt(0)
	v_and_b32_e32 v4, 0x7fffff, v0
	s_waitcnt_vscnt null, 0x0
	global_store_dwordx2 v[2:3], v[0:1], off
	v_readfirstlane_b32 m0, v4
	s_sendmsg sendmsg(MSG_INTERRUPT)
.LBB11_962:
	s_or_b32 exec_lo, exec_lo, s5
	s_branch .LBB11_966
	.p2align	6
.LBB11_963:                             ;   in Loop: Header=BB11_966 Depth=1
	s_or_b32 exec_lo, exec_lo, s5
	v_readfirstlane_b32 s5, v0
	s_cmp_eq_u32 s5, 0
	s_cbranch_scc1 .LBB11_965
; %bb.964:                              ;   in Loop: Header=BB11_966 Depth=1
	s_sleep 1
	s_cbranch_execnz .LBB11_966
	s_branch .LBB11_968
	.p2align	6
.LBB11_965:
	s_branch .LBB11_968
.LBB11_966:                             ; =>This Inner Loop Header: Depth=1
	v_mov_b32_e32 v0, 1
	s_and_saveexec_b32 s5, s4
	s_cbranch_execz .LBB11_963
; %bb.967:                              ;   in Loop: Header=BB11_966 Depth=1
	global_load_dword v0, v[10:11], off offset:20 glc dlc
	s_waitcnt vmcnt(0)
	buffer_gl1_inv
	buffer_gl0_inv
	v_and_b32_e32 v0, 1, v0
	s_branch .LBB11_963
.LBB11_968:
	s_and_saveexec_b32 s5, s4
	s_cbranch_execz .LBB11_972
; %bb.969:
	v_mov_b32_e32 v6, 0
	s_clause 0x2
	global_load_dwordx2 v[2:3], v6, s[40:41] offset:40
	global_load_dwordx2 v[7:8], v6, s[40:41] offset:24 glc dlc
	global_load_dwordx2 v[4:5], v6, s[40:41]
	s_waitcnt vmcnt(2)
	v_add_co_u32 v9, vcc_lo, v2, 1
	v_add_co_ci_u32_e32 v10, vcc_lo, 0, v3, vcc_lo
	v_add_co_u32 v0, vcc_lo, v9, s6
	v_add_co_ci_u32_e32 v1, vcc_lo, s7, v10, vcc_lo
	v_cmp_eq_u64_e32 vcc_lo, 0, v[0:1]
	v_cndmask_b32_e32 v1, v1, v10, vcc_lo
	v_cndmask_b32_e32 v0, v0, v9, vcc_lo
	v_and_b32_e32 v3, v1, v3
	v_and_b32_e32 v2, v0, v2
	v_mul_lo_u32 v3, v3, 24
	v_mul_hi_u32 v9, v2, 24
	v_mul_lo_u32 v2, v2, 24
	v_add_nc_u32_e32 v3, v9, v3
	s_waitcnt vmcnt(0)
	v_add_co_u32 v4, vcc_lo, v4, v2
	v_mov_b32_e32 v2, v7
	v_add_co_ci_u32_e32 v5, vcc_lo, v5, v3, vcc_lo
	v_mov_b32_e32 v3, v8
	global_store_dwordx2 v[4:5], v[7:8], off
	s_waitcnt_vscnt null, 0x0
	global_atomic_cmpswap_x2 v[2:3], v6, v[0:3], s[40:41] offset:24 glc
	s_waitcnt vmcnt(0)
	v_cmp_ne_u64_e32 vcc_lo, v[2:3], v[7:8]
	s_and_b32 exec_lo, exec_lo, vcc_lo
	s_cbranch_execz .LBB11_972
; %bb.970:
	s_mov_b32 s4, 0
.LBB11_971:                             ; =>This Inner Loop Header: Depth=1
	s_sleep 1
	global_store_dwordx2 v[4:5], v[2:3], off
	s_waitcnt_vscnt null, 0x0
	global_atomic_cmpswap_x2 v[7:8], v6, v[0:3], s[40:41] offset:24 glc
	s_waitcnt vmcnt(0)
	v_cmp_eq_u64_e32 vcc_lo, v[7:8], v[2:3]
	v_mov_b32_e32 v2, v7
	v_mov_b32_e32 v3, v8
	s_or_b32 s4, vcc_lo, s4
	s_andn2_b32 exec_lo, exec_lo, s4
	s_cbranch_execnz .LBB11_971
.LBB11_972:
	s_or_b32 exec_lo, exec_lo, s5
	v_readfirstlane_b32 s4, v69
	v_mov_b32_e32 v6, 0
	v_mov_b32_e32 v7, 0
	v_cmp_eq_u32_e64 s4, s4, v69
	s_and_saveexec_b32 s5, s4
	s_cbranch_execz .LBB11_978
; %bb.973:
	v_mov_b32_e32 v0, 0
	s_mov_b32 s6, exec_lo
	global_load_dwordx2 v[3:4], v0, s[40:41] offset:24 glc dlc
	s_waitcnt vmcnt(0)
	buffer_gl1_inv
	buffer_gl0_inv
	s_clause 0x1
	global_load_dwordx2 v[1:2], v0, s[40:41] offset:40
	global_load_dwordx2 v[5:6], v0, s[40:41]
	s_waitcnt vmcnt(1)
	v_and_b32_e32 v2, v2, v4
	v_and_b32_e32 v1, v1, v3
	v_mul_lo_u32 v2, v2, 24
	v_mul_hi_u32 v7, v1, 24
	v_mul_lo_u32 v1, v1, 24
	v_add_nc_u32_e32 v2, v7, v2
	s_waitcnt vmcnt(0)
	v_add_co_u32 v1, vcc_lo, v5, v1
	v_add_co_ci_u32_e32 v2, vcc_lo, v6, v2, vcc_lo
	global_load_dwordx2 v[1:2], v[1:2], off glc dlc
	s_waitcnt vmcnt(0)
	global_atomic_cmpswap_x2 v[6:7], v0, v[1:4], s[40:41] offset:24 glc
	s_waitcnt vmcnt(0)
	buffer_gl1_inv
	buffer_gl0_inv
	v_cmpx_ne_u64_e64 v[6:7], v[3:4]
	s_cbranch_execz .LBB11_977
; %bb.974:
	s_mov_b32 s7, 0
	.p2align	6
.LBB11_975:                             ; =>This Inner Loop Header: Depth=1
	s_sleep 1
	s_clause 0x1
	global_load_dwordx2 v[1:2], v0, s[40:41] offset:40
	global_load_dwordx2 v[8:9], v0, s[40:41]
	v_mov_b32_e32 v3, v6
	v_mov_b32_e32 v4, v7
	s_waitcnt vmcnt(1)
	v_and_b32_e32 v1, v1, v3
	v_and_b32_e32 v2, v2, v4
	s_waitcnt vmcnt(0)
	v_mad_u64_u32 v[5:6], null, v1, 24, v[8:9]
	v_mov_b32_e32 v1, v6
	v_mad_u64_u32 v[1:2], null, v2, 24, v[1:2]
	v_mov_b32_e32 v6, v1
	global_load_dwordx2 v[1:2], v[5:6], off glc dlc
	s_waitcnt vmcnt(0)
	global_atomic_cmpswap_x2 v[6:7], v0, v[1:4], s[40:41] offset:24 glc
	s_waitcnt vmcnt(0)
	buffer_gl1_inv
	buffer_gl0_inv
	v_cmp_eq_u64_e32 vcc_lo, v[6:7], v[3:4]
	s_or_b32 s7, vcc_lo, s7
	s_andn2_b32 exec_lo, exec_lo, s7
	s_cbranch_execnz .LBB11_975
; %bb.976:
	s_or_b32 exec_lo, exec_lo, s7
.LBB11_977:
	s_or_b32 exec_lo, exec_lo, s6
.LBB11_978:
	s_or_b32 exec_lo, exec_lo, s5
	v_mov_b32_e32 v5, 0
	v_readfirstlane_b32 s6, v6
	v_readfirstlane_b32 s7, v7
	s_mov_b32 s5, exec_lo
	s_clause 0x1
	global_load_dwordx2 v[8:9], v5, s[40:41] offset:40
	global_load_dwordx4 v[0:3], v5, s[40:41]
	s_waitcnt vmcnt(1)
	v_readfirstlane_b32 s10, v8
	v_readfirstlane_b32 s11, v9
	s_and_b64 s[10:11], s[6:7], s[10:11]
	s_mul_i32 s16, s11, 24
	s_mul_hi_u32 s17, s10, 24
	s_mul_i32 s18, s10, 24
	s_add_i32 s17, s17, s16
	s_waitcnt vmcnt(0)
	v_add_co_u32 v8, vcc_lo, v0, s18
	v_add_co_ci_u32_e32 v9, vcc_lo, s17, v1, vcc_lo
	s_and_saveexec_b32 s16, s4
	s_cbranch_execz .LBB11_980
; %bb.979:
	v_mov_b32_e32 v4, s5
	v_mov_b32_e32 v6, 2
	;; [unrolled: 1-line block ×3, first 2 shown]
	global_store_dwordx4 v[8:9], v[4:7], off offset:8
.LBB11_980:
	s_or_b32 exec_lo, exec_lo, s16
	s_lshl_b64 s[10:11], s[10:11], 12
	s_mov_b32 s16, 0
	v_add_co_u32 v2, vcc_lo, v2, s10
	v_add_co_ci_u32_e32 v3, vcc_lo, s11, v3, vcc_lo
	s_mov_b32 s17, s16
	v_add_co_u32 v10, vcc_lo, v2, v68
	s_mov_b32 s18, s16
	s_mov_b32 s19, s16
	v_mov_b32_e32 v4, 33
	v_mov_b32_e32 v6, v5
	;; [unrolled: 1-line block ×3, first 2 shown]
	v_readfirstlane_b32 s10, v2
	v_readfirstlane_b32 s11, v3
	v_mov_b32_e32 v12, s16
	v_add_co_ci_u32_e32 v11, vcc_lo, 0, v3, vcc_lo
	v_mov_b32_e32 v13, s17
	v_mov_b32_e32 v14, s18
	;; [unrolled: 1-line block ×3, first 2 shown]
	global_store_dwordx4 v68, v[4:7], s[10:11]
	global_store_dwordx4 v68, v[12:15], s[10:11] offset:16
	global_store_dwordx4 v68, v[12:15], s[10:11] offset:32
	;; [unrolled: 1-line block ×3, first 2 shown]
	s_and_saveexec_b32 s5, s4
	s_cbranch_execz .LBB11_988
; %bb.981:
	v_mov_b32_e32 v6, 0
	v_mov_b32_e32 v12, s6
	;; [unrolled: 1-line block ×3, first 2 shown]
	s_clause 0x1
	global_load_dwordx2 v[14:15], v6, s[40:41] offset:32 glc dlc
	global_load_dwordx2 v[2:3], v6, s[40:41] offset:40
	s_waitcnt vmcnt(0)
	v_readfirstlane_b32 s10, v2
	v_readfirstlane_b32 s11, v3
	s_and_b64 s[10:11], s[10:11], s[6:7]
	s_mul_i32 s11, s11, 24
	s_mul_hi_u32 s16, s10, 24
	s_mul_i32 s10, s10, 24
	s_add_i32 s16, s16, s11
	v_add_co_u32 v4, vcc_lo, v0, s10
	v_add_co_ci_u32_e32 v5, vcc_lo, s16, v1, vcc_lo
	s_mov_b32 s10, exec_lo
	global_store_dwordx2 v[4:5], v[14:15], off
	s_waitcnt_vscnt null, 0x0
	global_atomic_cmpswap_x2 v[2:3], v6, v[12:15], s[40:41] offset:32 glc
	s_waitcnt vmcnt(0)
	v_cmpx_ne_u64_e64 v[2:3], v[14:15]
	s_cbranch_execz .LBB11_984
; %bb.982:
	s_mov_b32 s11, 0
.LBB11_983:                             ; =>This Inner Loop Header: Depth=1
	v_mov_b32_e32 v0, s6
	v_mov_b32_e32 v1, s7
	s_sleep 1
	global_store_dwordx2 v[4:5], v[2:3], off
	s_waitcnt_vscnt null, 0x0
	global_atomic_cmpswap_x2 v[0:1], v6, v[0:3], s[40:41] offset:32 glc
	s_waitcnt vmcnt(0)
	v_cmp_eq_u64_e32 vcc_lo, v[0:1], v[2:3]
	v_mov_b32_e32 v3, v1
	v_mov_b32_e32 v2, v0
	s_or_b32 s11, vcc_lo, s11
	s_andn2_b32 exec_lo, exec_lo, s11
	s_cbranch_execnz .LBB11_983
.LBB11_984:
	s_or_b32 exec_lo, exec_lo, s10
	v_mov_b32_e32 v3, 0
	s_mov_b32 s11, exec_lo
	s_mov_b32 s10, exec_lo
	v_mbcnt_lo_u32_b32 v2, s11, 0
	global_load_dwordx2 v[0:1], v3, s[40:41] offset:16
	v_cmpx_eq_u32_e32 0, v2
	s_cbranch_execz .LBB11_986
; %bb.985:
	s_bcnt1_i32_b32 s11, s11
	v_mov_b32_e32 v2, s11
	s_waitcnt vmcnt(0)
	global_atomic_add_x2 v[0:1], v[2:3], off offset:8
.LBB11_986:
	s_or_b32 exec_lo, exec_lo, s10
	s_waitcnt vmcnt(0)
	global_load_dwordx2 v[2:3], v[0:1], off offset:16
	s_waitcnt vmcnt(0)
	v_cmp_eq_u64_e32 vcc_lo, 0, v[2:3]
	s_cbranch_vccnz .LBB11_988
; %bb.987:
	global_load_dword v0, v[0:1], off offset:24
	v_mov_b32_e32 v1, 0
	s_waitcnt vmcnt(0)
	v_and_b32_e32 v4, 0x7fffff, v0
	s_waitcnt_vscnt null, 0x0
	global_store_dwordx2 v[2:3], v[0:1], off
	v_readfirstlane_b32 m0, v4
	s_sendmsg sendmsg(MSG_INTERRUPT)
.LBB11_988:
	s_or_b32 exec_lo, exec_lo, s5
	s_branch .LBB11_992
	.p2align	6
.LBB11_989:                             ;   in Loop: Header=BB11_992 Depth=1
	s_or_b32 exec_lo, exec_lo, s5
	v_readfirstlane_b32 s5, v0
	s_cmp_eq_u32 s5, 0
	s_cbranch_scc1 .LBB11_991
; %bb.990:                              ;   in Loop: Header=BB11_992 Depth=1
	s_sleep 1
	s_cbranch_execnz .LBB11_992
	s_branch .LBB11_994
	.p2align	6
.LBB11_991:
	s_branch .LBB11_994
.LBB11_992:                             ; =>This Inner Loop Header: Depth=1
	v_mov_b32_e32 v0, 1
	s_and_saveexec_b32 s5, s4
	s_cbranch_execz .LBB11_989
; %bb.993:                              ;   in Loop: Header=BB11_992 Depth=1
	global_load_dword v0, v[8:9], off offset:20 glc dlc
	s_waitcnt vmcnt(0)
	buffer_gl1_inv
	buffer_gl0_inv
	v_and_b32_e32 v0, 1, v0
	s_branch .LBB11_989
.LBB11_994:
	global_load_dwordx2 v[0:1], v[10:11], off
	s_and_saveexec_b32 s5, s4
	s_cbranch_execz .LBB11_998
; %bb.995:
	v_mov_b32_e32 v8, 0
	s_clause 0x2
	global_load_dwordx2 v[4:5], v8, s[40:41] offset:40
	global_load_dwordx2 v[9:10], v8, s[40:41] offset:24 glc dlc
	global_load_dwordx2 v[6:7], v8, s[40:41]
	s_waitcnt vmcnt(2)
	v_add_co_u32 v11, vcc_lo, v4, 1
	v_add_co_ci_u32_e32 v12, vcc_lo, 0, v5, vcc_lo
	v_add_co_u32 v2, vcc_lo, v11, s6
	v_add_co_ci_u32_e32 v3, vcc_lo, s7, v12, vcc_lo
	v_cmp_eq_u64_e32 vcc_lo, 0, v[2:3]
	v_cndmask_b32_e32 v3, v3, v12, vcc_lo
	v_cndmask_b32_e32 v2, v2, v11, vcc_lo
	v_and_b32_e32 v5, v3, v5
	v_and_b32_e32 v4, v2, v4
	v_mul_lo_u32 v5, v5, 24
	v_mul_hi_u32 v11, v4, 24
	v_mul_lo_u32 v4, v4, 24
	v_add_nc_u32_e32 v5, v11, v5
	s_waitcnt vmcnt(0)
	v_add_co_u32 v6, vcc_lo, v6, v4
	v_mov_b32_e32 v4, v9
	v_add_co_ci_u32_e32 v7, vcc_lo, v7, v5, vcc_lo
	v_mov_b32_e32 v5, v10
	global_store_dwordx2 v[6:7], v[9:10], off
	s_waitcnt_vscnt null, 0x0
	global_atomic_cmpswap_x2 v[4:5], v8, v[2:5], s[40:41] offset:24 glc
	s_waitcnt vmcnt(0)
	v_cmp_ne_u64_e32 vcc_lo, v[4:5], v[9:10]
	s_and_b32 exec_lo, exec_lo, vcc_lo
	s_cbranch_execz .LBB11_998
; %bb.996:
	s_mov_b32 s4, 0
.LBB11_997:                             ; =>This Inner Loop Header: Depth=1
	s_sleep 1
	global_store_dwordx2 v[6:7], v[4:5], off
	s_waitcnt_vscnt null, 0x0
	global_atomic_cmpswap_x2 v[9:10], v8, v[2:5], s[40:41] offset:24 glc
	s_waitcnt vmcnt(0)
	v_cmp_eq_u64_e32 vcc_lo, v[9:10], v[4:5]
	v_mov_b32_e32 v4, v9
	v_mov_b32_e32 v5, v10
	s_or_b32 s4, vcc_lo, s4
	s_andn2_b32 exec_lo, exec_lo, s4
	s_cbranch_execnz .LBB11_997
.LBB11_998:
	s_or_b32 exec_lo, exec_lo, s5
	s_and_b32 vcc_lo, exec_lo, s44
	s_cbranch_vccz .LBB11_1077
; %bb.999:
	s_waitcnt vmcnt(0)
	v_and_b32_e32 v31, 2, v0
	v_mov_b32_e32 v6, 0
	v_and_b32_e32 v2, -3, v0
	v_mov_b32_e32 v3, v1
	v_mov_b32_e32 v7, 2
	v_mov_b32_e32 v8, 1
	s_mov_b64 s[10:11], 3
	s_getpc_b64 s[6:7]
	s_add_u32 s6, s6, .str.6@rel32@lo+4
	s_addc_u32 s7, s7, .str.6@rel32@hi+12
	s_branch .LBB11_1001
.LBB11_1000:                            ;   in Loop: Header=BB11_1001 Depth=1
	s_or_b32 exec_lo, exec_lo, s5
	s_sub_u32 s10, s10, s16
	s_subb_u32 s11, s11, s17
	s_add_u32 s6, s6, s16
	s_addc_u32 s7, s7, s17
	s_cmp_lg_u64 s[10:11], 0
	s_cbranch_scc0 .LBB11_1076
.LBB11_1001:                            ; =>This Loop Header: Depth=1
                                        ;     Child Loop BB11_1010 Depth 2
                                        ;     Child Loop BB11_1006 Depth 2
	;; [unrolled: 1-line block ×11, first 2 shown]
	v_cmp_lt_u64_e64 s4, s[10:11], 56
	v_cmp_gt_u64_e64 s5, s[10:11], 7
                                        ; implicit-def: $vgpr11_vgpr12
                                        ; implicit-def: $sgpr22
	s_and_b32 s4, s4, exec_lo
	s_cselect_b32 s17, s11, 0
	s_cselect_b32 s16, s10, 56
	s_and_b32 vcc_lo, exec_lo, s5
	s_mov_b32 s4, -1
	s_cbranch_vccz .LBB11_1008
; %bb.1002:                             ;   in Loop: Header=BB11_1001 Depth=1
	s_andn2_b32 vcc_lo, exec_lo, s4
	s_mov_b64 s[4:5], s[6:7]
	s_cbranch_vccz .LBB11_1012
.LBB11_1003:                            ;   in Loop: Header=BB11_1001 Depth=1
	s_cmp_gt_u32 s22, 7
	s_cbranch_scc1 .LBB11_1013
.LBB11_1004:                            ;   in Loop: Header=BB11_1001 Depth=1
	v_mov_b32_e32 v13, 0
	v_mov_b32_e32 v14, 0
	s_cmp_eq_u32 s22, 0
	s_cbranch_scc1 .LBB11_1007
; %bb.1005:                             ;   in Loop: Header=BB11_1001 Depth=1
	s_mov_b64 s[18:19], 0
	s_mov_b64 s[20:21], 0
.LBB11_1006:                            ;   Parent Loop BB11_1001 Depth=1
                                        ; =>  This Inner Loop Header: Depth=2
	s_add_u32 s24, s4, s20
	s_addc_u32 s25, s5, s21
	s_add_u32 s20, s20, 1
	global_load_ubyte v4, v6, s[24:25]
	s_addc_u32 s21, s21, 0
	s_waitcnt vmcnt(0)
	v_and_b32_e32 v5, 0xffff, v4
	v_lshlrev_b64 v[4:5], s18, v[5:6]
	s_add_u32 s18, s18, 8
	s_addc_u32 s19, s19, 0
	s_cmp_lg_u32 s22, s20
	v_or_b32_e32 v13, v4, v13
	v_or_b32_e32 v14, v5, v14
	s_cbranch_scc1 .LBB11_1006
.LBB11_1007:                            ;   in Loop: Header=BB11_1001 Depth=1
	s_mov_b32 s23, 0
	s_cbranch_execz .LBB11_1014
	s_branch .LBB11_1015
.LBB11_1008:                            ;   in Loop: Header=BB11_1001 Depth=1
	v_mov_b32_e32 v11, 0
	v_mov_b32_e32 v12, 0
	s_cmp_eq_u64 s[10:11], 0
	s_mov_b64 s[4:5], 0
	s_cbranch_scc1 .LBB11_1011
; %bb.1009:                             ;   in Loop: Header=BB11_1001 Depth=1
	v_mov_b32_e32 v11, 0
	v_mov_b32_e32 v12, 0
	s_lshl_b64 s[18:19], s[16:17], 3
	s_mov_b64 s[20:21], s[6:7]
.LBB11_1010:                            ;   Parent Loop BB11_1001 Depth=1
                                        ; =>  This Inner Loop Header: Depth=2
	global_load_ubyte v4, v6, s[20:21]
	s_waitcnt vmcnt(0)
	v_and_b32_e32 v5, 0xffff, v4
	v_lshlrev_b64 v[4:5], s4, v[5:6]
	s_add_u32 s4, s4, 8
	s_addc_u32 s5, s5, 0
	s_add_u32 s20, s20, 1
	s_addc_u32 s21, s21, 0
	s_cmp_lg_u32 s18, s4
	v_or_b32_e32 v11, v4, v11
	v_or_b32_e32 v12, v5, v12
	s_cbranch_scc1 .LBB11_1010
.LBB11_1011:                            ;   in Loop: Header=BB11_1001 Depth=1
	s_mov_b32 s22, 0
	s_mov_b64 s[4:5], s[6:7]
	s_cbranch_execnz .LBB11_1003
.LBB11_1012:                            ;   in Loop: Header=BB11_1001 Depth=1
	global_load_dwordx2 v[11:12], v6, s[6:7]
	s_add_i32 s22, s16, -8
	s_add_u32 s4, s6, 8
	s_addc_u32 s5, s7, 0
	s_cmp_gt_u32 s22, 7
	s_cbranch_scc0 .LBB11_1004
.LBB11_1013:                            ;   in Loop: Header=BB11_1001 Depth=1
                                        ; implicit-def: $vgpr13_vgpr14
                                        ; implicit-def: $sgpr23
.LBB11_1014:                            ;   in Loop: Header=BB11_1001 Depth=1
	global_load_dwordx2 v[13:14], v6, s[4:5]
	s_add_i32 s23, s22, -8
	s_add_u32 s4, s4, 8
	s_addc_u32 s5, s5, 0
.LBB11_1015:                            ;   in Loop: Header=BB11_1001 Depth=1
	s_cmp_gt_u32 s23, 7
	s_cbranch_scc1 .LBB11_1020
; %bb.1016:                             ;   in Loop: Header=BB11_1001 Depth=1
	v_mov_b32_e32 v15, 0
	v_mov_b32_e32 v16, 0
	s_cmp_eq_u32 s23, 0
	s_cbranch_scc1 .LBB11_1019
; %bb.1017:                             ;   in Loop: Header=BB11_1001 Depth=1
	s_mov_b64 s[18:19], 0
	s_mov_b64 s[20:21], 0
.LBB11_1018:                            ;   Parent Loop BB11_1001 Depth=1
                                        ; =>  This Inner Loop Header: Depth=2
	s_add_u32 s24, s4, s20
	s_addc_u32 s25, s5, s21
	s_add_u32 s20, s20, 1
	global_load_ubyte v4, v6, s[24:25]
	s_addc_u32 s21, s21, 0
	s_waitcnt vmcnt(0)
	v_and_b32_e32 v5, 0xffff, v4
	v_lshlrev_b64 v[4:5], s18, v[5:6]
	s_add_u32 s18, s18, 8
	s_addc_u32 s19, s19, 0
	s_cmp_lg_u32 s23, s20
	v_or_b32_e32 v15, v4, v15
	v_or_b32_e32 v16, v5, v16
	s_cbranch_scc1 .LBB11_1018
.LBB11_1019:                            ;   in Loop: Header=BB11_1001 Depth=1
	s_mov_b32 s22, 0
	s_cbranch_execz .LBB11_1021
	s_branch .LBB11_1022
.LBB11_1020:                            ;   in Loop: Header=BB11_1001 Depth=1
                                        ; implicit-def: $sgpr22
.LBB11_1021:                            ;   in Loop: Header=BB11_1001 Depth=1
	global_load_dwordx2 v[15:16], v6, s[4:5]
	s_add_i32 s22, s23, -8
	s_add_u32 s4, s4, 8
	s_addc_u32 s5, s5, 0
.LBB11_1022:                            ;   in Loop: Header=BB11_1001 Depth=1
	s_cmp_gt_u32 s22, 7
	s_cbranch_scc1 .LBB11_1027
; %bb.1023:                             ;   in Loop: Header=BB11_1001 Depth=1
	v_mov_b32_e32 v17, 0
	v_mov_b32_e32 v18, 0
	s_cmp_eq_u32 s22, 0
	s_cbranch_scc1 .LBB11_1026
; %bb.1024:                             ;   in Loop: Header=BB11_1001 Depth=1
	s_mov_b64 s[18:19], 0
	s_mov_b64 s[20:21], 0
.LBB11_1025:                            ;   Parent Loop BB11_1001 Depth=1
                                        ; =>  This Inner Loop Header: Depth=2
	s_add_u32 s24, s4, s20
	s_addc_u32 s25, s5, s21
	s_add_u32 s20, s20, 1
	global_load_ubyte v4, v6, s[24:25]
	s_addc_u32 s21, s21, 0
	s_waitcnt vmcnt(0)
	v_and_b32_e32 v5, 0xffff, v4
	v_lshlrev_b64 v[4:5], s18, v[5:6]
	s_add_u32 s18, s18, 8
	s_addc_u32 s19, s19, 0
	s_cmp_lg_u32 s22, s20
	v_or_b32_e32 v17, v4, v17
	v_or_b32_e32 v18, v5, v18
	s_cbranch_scc1 .LBB11_1025
.LBB11_1026:                            ;   in Loop: Header=BB11_1001 Depth=1
	s_mov_b32 s23, 0
	s_cbranch_execz .LBB11_1028
	s_branch .LBB11_1029
.LBB11_1027:                            ;   in Loop: Header=BB11_1001 Depth=1
                                        ; implicit-def: $vgpr17_vgpr18
                                        ; implicit-def: $sgpr23
.LBB11_1028:                            ;   in Loop: Header=BB11_1001 Depth=1
	global_load_dwordx2 v[17:18], v6, s[4:5]
	s_add_i32 s23, s22, -8
	s_add_u32 s4, s4, 8
	s_addc_u32 s5, s5, 0
.LBB11_1029:                            ;   in Loop: Header=BB11_1001 Depth=1
	s_cmp_gt_u32 s23, 7
	s_cbranch_scc1 .LBB11_1034
; %bb.1030:                             ;   in Loop: Header=BB11_1001 Depth=1
	v_mov_b32_e32 v19, 0
	v_mov_b32_e32 v20, 0
	s_cmp_eq_u32 s23, 0
	s_cbranch_scc1 .LBB11_1033
; %bb.1031:                             ;   in Loop: Header=BB11_1001 Depth=1
	s_mov_b64 s[18:19], 0
	s_mov_b64 s[20:21], 0
.LBB11_1032:                            ;   Parent Loop BB11_1001 Depth=1
                                        ; =>  This Inner Loop Header: Depth=2
	s_add_u32 s24, s4, s20
	s_addc_u32 s25, s5, s21
	s_add_u32 s20, s20, 1
	global_load_ubyte v4, v6, s[24:25]
	s_addc_u32 s21, s21, 0
	s_waitcnt vmcnt(0)
	v_and_b32_e32 v5, 0xffff, v4
	v_lshlrev_b64 v[4:5], s18, v[5:6]
	s_add_u32 s18, s18, 8
	s_addc_u32 s19, s19, 0
	s_cmp_lg_u32 s23, s20
	v_or_b32_e32 v19, v4, v19
	v_or_b32_e32 v20, v5, v20
	s_cbranch_scc1 .LBB11_1032
.LBB11_1033:                            ;   in Loop: Header=BB11_1001 Depth=1
	s_mov_b32 s22, 0
	s_cbranch_execz .LBB11_1035
	s_branch .LBB11_1036
.LBB11_1034:                            ;   in Loop: Header=BB11_1001 Depth=1
                                        ; implicit-def: $sgpr22
.LBB11_1035:                            ;   in Loop: Header=BB11_1001 Depth=1
	global_load_dwordx2 v[19:20], v6, s[4:5]
	s_add_i32 s22, s23, -8
	s_add_u32 s4, s4, 8
	s_addc_u32 s5, s5, 0
.LBB11_1036:                            ;   in Loop: Header=BB11_1001 Depth=1
	s_cmp_gt_u32 s22, 7
	s_cbranch_scc1 .LBB11_1041
; %bb.1037:                             ;   in Loop: Header=BB11_1001 Depth=1
	v_mov_b32_e32 v21, 0
	v_mov_b32_e32 v22, 0
	s_cmp_eq_u32 s22, 0
	s_cbranch_scc1 .LBB11_1040
; %bb.1038:                             ;   in Loop: Header=BB11_1001 Depth=1
	s_mov_b64 s[18:19], 0
	s_mov_b64 s[20:21], 0
.LBB11_1039:                            ;   Parent Loop BB11_1001 Depth=1
                                        ; =>  This Inner Loop Header: Depth=2
	s_add_u32 s24, s4, s20
	s_addc_u32 s25, s5, s21
	s_add_u32 s20, s20, 1
	global_load_ubyte v4, v6, s[24:25]
	s_addc_u32 s21, s21, 0
	s_waitcnt vmcnt(0)
	v_and_b32_e32 v5, 0xffff, v4
	v_lshlrev_b64 v[4:5], s18, v[5:6]
	s_add_u32 s18, s18, 8
	s_addc_u32 s19, s19, 0
	s_cmp_lg_u32 s22, s20
	v_or_b32_e32 v21, v4, v21
	v_or_b32_e32 v22, v5, v22
	s_cbranch_scc1 .LBB11_1039
.LBB11_1040:                            ;   in Loop: Header=BB11_1001 Depth=1
	s_mov_b32 s23, 0
	s_cbranch_execz .LBB11_1042
	s_branch .LBB11_1043
.LBB11_1041:                            ;   in Loop: Header=BB11_1001 Depth=1
                                        ; implicit-def: $vgpr21_vgpr22
                                        ; implicit-def: $sgpr23
.LBB11_1042:                            ;   in Loop: Header=BB11_1001 Depth=1
	global_load_dwordx2 v[21:22], v6, s[4:5]
	s_add_i32 s23, s22, -8
	s_add_u32 s4, s4, 8
	s_addc_u32 s5, s5, 0
.LBB11_1043:                            ;   in Loop: Header=BB11_1001 Depth=1
	s_cmp_gt_u32 s23, 7
	s_cbranch_scc1 .LBB11_1048
; %bb.1044:                             ;   in Loop: Header=BB11_1001 Depth=1
	v_mov_b32_e32 v23, 0
	v_mov_b32_e32 v24, 0
	s_cmp_eq_u32 s23, 0
	s_cbranch_scc1 .LBB11_1047
; %bb.1045:                             ;   in Loop: Header=BB11_1001 Depth=1
	s_mov_b64 s[18:19], 0
	s_mov_b64 s[20:21], s[4:5]
.LBB11_1046:                            ;   Parent Loop BB11_1001 Depth=1
                                        ; =>  This Inner Loop Header: Depth=2
	global_load_ubyte v4, v6, s[20:21]
	s_add_i32 s23, s23, -1
	s_waitcnt vmcnt(0)
	v_and_b32_e32 v5, 0xffff, v4
	v_lshlrev_b64 v[4:5], s18, v[5:6]
	s_add_u32 s18, s18, 8
	s_addc_u32 s19, s19, 0
	s_add_u32 s20, s20, 1
	s_addc_u32 s21, s21, 0
	s_cmp_lg_u32 s23, 0
	v_or_b32_e32 v23, v4, v23
	v_or_b32_e32 v24, v5, v24
	s_cbranch_scc1 .LBB11_1046
.LBB11_1047:                            ;   in Loop: Header=BB11_1001 Depth=1
	s_cbranch_execz .LBB11_1049
	s_branch .LBB11_1050
.LBB11_1048:                            ;   in Loop: Header=BB11_1001 Depth=1
.LBB11_1049:                            ;   in Loop: Header=BB11_1001 Depth=1
	global_load_dwordx2 v[23:24], v6, s[4:5]
.LBB11_1050:                            ;   in Loop: Header=BB11_1001 Depth=1
	v_readfirstlane_b32 s4, v69
	s_waitcnt vmcnt(0)
	v_mov_b32_e32 v4, 0
	v_mov_b32_e32 v5, 0
	v_cmp_eq_u32_e64 s4, s4, v69
	s_and_saveexec_b32 s5, s4
	s_cbranch_execz .LBB11_1056
; %bb.1051:                             ;   in Loop: Header=BB11_1001 Depth=1
	global_load_dwordx2 v[27:28], v6, s[40:41] offset:24 glc dlc
	s_waitcnt vmcnt(0)
	buffer_gl1_inv
	buffer_gl0_inv
	s_clause 0x1
	global_load_dwordx2 v[4:5], v6, s[40:41] offset:40
	global_load_dwordx2 v[9:10], v6, s[40:41]
	s_mov_b32 s18, exec_lo
	s_waitcnt vmcnt(1)
	v_and_b32_e32 v5, v5, v28
	v_and_b32_e32 v4, v4, v27
	v_mul_lo_u32 v5, v5, 24
	v_mul_hi_u32 v25, v4, 24
	v_mul_lo_u32 v4, v4, 24
	v_add_nc_u32_e32 v5, v25, v5
	s_waitcnt vmcnt(0)
	v_add_co_u32 v4, vcc_lo, v9, v4
	v_add_co_ci_u32_e32 v5, vcc_lo, v10, v5, vcc_lo
	global_load_dwordx2 v[25:26], v[4:5], off glc dlc
	s_waitcnt vmcnt(0)
	global_atomic_cmpswap_x2 v[4:5], v6, v[25:28], s[40:41] offset:24 glc
	s_waitcnt vmcnt(0)
	buffer_gl1_inv
	buffer_gl0_inv
	v_cmpx_ne_u64_e64 v[4:5], v[27:28]
	s_cbranch_execz .LBB11_1055
; %bb.1052:                             ;   in Loop: Header=BB11_1001 Depth=1
	s_mov_b32 s19, 0
	.p2align	6
.LBB11_1053:                            ;   Parent Loop BB11_1001 Depth=1
                                        ; =>  This Inner Loop Header: Depth=2
	s_sleep 1
	s_clause 0x1
	global_load_dwordx2 v[9:10], v6, s[40:41] offset:40
	global_load_dwordx2 v[25:26], v6, s[40:41]
	v_mov_b32_e32 v28, v5
	v_mov_b32_e32 v27, v4
	s_waitcnt vmcnt(1)
	v_and_b32_e32 v4, v9, v27
	v_and_b32_e32 v9, v10, v28
	s_waitcnt vmcnt(0)
	v_mad_u64_u32 v[4:5], null, v4, 24, v[25:26]
	v_mad_u64_u32 v[9:10], null, v9, 24, v[5:6]
	v_mov_b32_e32 v5, v9
	global_load_dwordx2 v[25:26], v[4:5], off glc dlc
	s_waitcnt vmcnt(0)
	global_atomic_cmpswap_x2 v[4:5], v6, v[25:28], s[40:41] offset:24 glc
	s_waitcnt vmcnt(0)
	buffer_gl1_inv
	buffer_gl0_inv
	v_cmp_eq_u64_e32 vcc_lo, v[4:5], v[27:28]
	s_or_b32 s19, vcc_lo, s19
	s_andn2_b32 exec_lo, exec_lo, s19
	s_cbranch_execnz .LBB11_1053
; %bb.1054:                             ;   in Loop: Header=BB11_1001 Depth=1
	s_or_b32 exec_lo, exec_lo, s19
.LBB11_1055:                            ;   in Loop: Header=BB11_1001 Depth=1
	s_or_b32 exec_lo, exec_lo, s18
.LBB11_1056:                            ;   in Loop: Header=BB11_1001 Depth=1
	s_or_b32 exec_lo, exec_lo, s5
	s_clause 0x1
	global_load_dwordx2 v[9:10], v6, s[40:41] offset:40
	global_load_dwordx4 v[25:28], v6, s[40:41]
	v_readfirstlane_b32 s18, v4
	v_readfirstlane_b32 s19, v5
	s_mov_b32 s5, exec_lo
	s_waitcnt vmcnt(1)
	v_readfirstlane_b32 s20, v9
	v_readfirstlane_b32 s21, v10
	s_and_b64 s[20:21], s[18:19], s[20:21]
	s_mul_i32 s22, s21, 24
	s_mul_hi_u32 s23, s20, 24
	s_mul_i32 s24, s20, 24
	s_add_i32 s23, s23, s22
	s_waitcnt vmcnt(0)
	v_add_co_u32 v29, vcc_lo, v25, s24
	v_add_co_ci_u32_e32 v30, vcc_lo, s23, v26, vcc_lo
	s_and_saveexec_b32 s22, s4
	s_cbranch_execz .LBB11_1058
; %bb.1057:                             ;   in Loop: Header=BB11_1001 Depth=1
	v_mov_b32_e32 v5, s5
	global_store_dwordx4 v[29:30], v[5:8], off offset:8
.LBB11_1058:                            ;   in Loop: Header=BB11_1001 Depth=1
	s_or_b32 exec_lo, exec_lo, s22
	s_lshl_b64 s[20:21], s[20:21], 12
	v_cmp_gt_u64_e64 vcc_lo, s[10:11], 56
	v_or_b32_e32 v5, v2, v31
	v_add_co_u32 v27, s5, v27, s20
	v_add_co_ci_u32_e64 v28, s5, s21, v28, s5
	s_lshl_b32 s5, s16, 2
	v_or_b32_e32 v4, 0, v3
	v_cndmask_b32_e32 v2, v5, v2, vcc_lo
	s_add_i32 s5, s5, 28
	v_readfirstlane_b32 s20, v27
	s_and_b32 s5, s5, 0x1e0
	v_cndmask_b32_e32 v10, v4, v3, vcc_lo
	v_readfirstlane_b32 s21, v28
	v_and_or_b32 v9, 0xffffff1f, v2, s5
	global_store_dwordx4 v68, v[9:12], s[20:21]
	global_store_dwordx4 v68, v[13:16], s[20:21] offset:16
	global_store_dwordx4 v68, v[17:20], s[20:21] offset:32
	;; [unrolled: 1-line block ×3, first 2 shown]
	s_and_saveexec_b32 s5, s4
	s_cbranch_execz .LBB11_1066
; %bb.1059:                             ;   in Loop: Header=BB11_1001 Depth=1
	s_clause 0x1
	global_load_dwordx2 v[13:14], v6, s[40:41] offset:32 glc dlc
	global_load_dwordx2 v[2:3], v6, s[40:41] offset:40
	v_mov_b32_e32 v11, s18
	v_mov_b32_e32 v12, s19
	s_waitcnt vmcnt(0)
	v_readfirstlane_b32 s20, v2
	v_readfirstlane_b32 s21, v3
	s_and_b64 s[20:21], s[20:21], s[18:19]
	s_mul_i32 s21, s21, 24
	s_mul_hi_u32 s22, s20, 24
	s_mul_i32 s20, s20, 24
	s_add_i32 s22, s22, s21
	v_add_co_u32 v9, vcc_lo, v25, s20
	v_add_co_ci_u32_e32 v10, vcc_lo, s22, v26, vcc_lo
	s_mov_b32 s20, exec_lo
	global_store_dwordx2 v[9:10], v[13:14], off
	s_waitcnt_vscnt null, 0x0
	global_atomic_cmpswap_x2 v[4:5], v6, v[11:14], s[40:41] offset:32 glc
	s_waitcnt vmcnt(0)
	v_cmpx_ne_u64_e64 v[4:5], v[13:14]
	s_cbranch_execz .LBB11_1062
; %bb.1060:                             ;   in Loop: Header=BB11_1001 Depth=1
	s_mov_b32 s21, 0
.LBB11_1061:                            ;   Parent Loop BB11_1001 Depth=1
                                        ; =>  This Inner Loop Header: Depth=2
	v_mov_b32_e32 v2, s18
	v_mov_b32_e32 v3, s19
	s_sleep 1
	global_store_dwordx2 v[9:10], v[4:5], off
	s_waitcnt_vscnt null, 0x0
	global_atomic_cmpswap_x2 v[2:3], v6, v[2:5], s[40:41] offset:32 glc
	s_waitcnt vmcnt(0)
	v_cmp_eq_u64_e32 vcc_lo, v[2:3], v[4:5]
	v_mov_b32_e32 v5, v3
	v_mov_b32_e32 v4, v2
	s_or_b32 s21, vcc_lo, s21
	s_andn2_b32 exec_lo, exec_lo, s21
	s_cbranch_execnz .LBB11_1061
.LBB11_1062:                            ;   in Loop: Header=BB11_1001 Depth=1
	s_or_b32 exec_lo, exec_lo, s20
	global_load_dwordx2 v[2:3], v6, s[40:41] offset:16
	s_mov_b32 s21, exec_lo
	s_mov_b32 s20, exec_lo
	v_mbcnt_lo_u32_b32 v4, s21, 0
	v_cmpx_eq_u32_e32 0, v4
	s_cbranch_execz .LBB11_1064
; %bb.1063:                             ;   in Loop: Header=BB11_1001 Depth=1
	s_bcnt1_i32_b32 s21, s21
	v_mov_b32_e32 v5, s21
	s_waitcnt vmcnt(0)
	global_atomic_add_x2 v[2:3], v[5:6], off offset:8
.LBB11_1064:                            ;   in Loop: Header=BB11_1001 Depth=1
	s_or_b32 exec_lo, exec_lo, s20
	s_waitcnt vmcnt(0)
	global_load_dwordx2 v[9:10], v[2:3], off offset:16
	s_waitcnt vmcnt(0)
	v_cmp_eq_u64_e32 vcc_lo, 0, v[9:10]
	s_cbranch_vccnz .LBB11_1066
; %bb.1065:                             ;   in Loop: Header=BB11_1001 Depth=1
	global_load_dword v5, v[2:3], off offset:24
	s_waitcnt vmcnt(0)
	v_and_b32_e32 v2, 0x7fffff, v5
	s_waitcnt_vscnt null, 0x0
	global_store_dwordx2 v[9:10], v[5:6], off
	v_readfirstlane_b32 m0, v2
	s_sendmsg sendmsg(MSG_INTERRUPT)
.LBB11_1066:                            ;   in Loop: Header=BB11_1001 Depth=1
	s_or_b32 exec_lo, exec_lo, s5
	v_add_co_u32 v2, vcc_lo, v27, v68
	v_add_co_ci_u32_e32 v3, vcc_lo, 0, v28, vcc_lo
	s_branch .LBB11_1070
	.p2align	6
.LBB11_1067:                            ;   in Loop: Header=BB11_1070 Depth=2
	s_or_b32 exec_lo, exec_lo, s5
	v_readfirstlane_b32 s5, v4
	s_cmp_eq_u32 s5, 0
	s_cbranch_scc1 .LBB11_1069
; %bb.1068:                             ;   in Loop: Header=BB11_1070 Depth=2
	s_sleep 1
	s_cbranch_execnz .LBB11_1070
	s_branch .LBB11_1072
	.p2align	6
.LBB11_1069:                            ;   in Loop: Header=BB11_1001 Depth=1
	s_branch .LBB11_1072
.LBB11_1070:                            ;   Parent Loop BB11_1001 Depth=1
                                        ; =>  This Inner Loop Header: Depth=2
	v_mov_b32_e32 v4, 1
	s_and_saveexec_b32 s5, s4
	s_cbranch_execz .LBB11_1067
; %bb.1071:                             ;   in Loop: Header=BB11_1070 Depth=2
	global_load_dword v4, v[29:30], off offset:20 glc dlc
	s_waitcnt vmcnt(0)
	buffer_gl1_inv
	buffer_gl0_inv
	v_and_b32_e32 v4, 1, v4
	s_branch .LBB11_1067
.LBB11_1072:                            ;   in Loop: Header=BB11_1001 Depth=1
	global_load_dwordx4 v[2:5], v[2:3], off
	s_and_saveexec_b32 s5, s4
	s_cbranch_execz .LBB11_1000
; %bb.1073:                             ;   in Loop: Header=BB11_1001 Depth=1
	s_clause 0x2
	global_load_dwordx2 v[4:5], v6, s[40:41] offset:40
	global_load_dwordx2 v[13:14], v6, s[40:41] offset:24 glc dlc
	global_load_dwordx2 v[11:12], v6, s[40:41]
	s_waitcnt vmcnt(2)
	v_add_co_u32 v15, vcc_lo, v4, 1
	v_add_co_ci_u32_e32 v16, vcc_lo, 0, v5, vcc_lo
	v_add_co_u32 v9, vcc_lo, v15, s18
	v_add_co_ci_u32_e32 v10, vcc_lo, s19, v16, vcc_lo
	v_cmp_eq_u64_e32 vcc_lo, 0, v[9:10]
	v_cndmask_b32_e32 v10, v10, v16, vcc_lo
	v_cndmask_b32_e32 v9, v9, v15, vcc_lo
	v_and_b32_e32 v5, v10, v5
	v_and_b32_e32 v4, v9, v4
	v_mul_lo_u32 v5, v5, 24
	v_mul_hi_u32 v15, v4, 24
	v_mul_lo_u32 v4, v4, 24
	v_add_nc_u32_e32 v5, v15, v5
	s_waitcnt vmcnt(0)
	v_add_co_u32 v4, vcc_lo, v11, v4
	v_mov_b32_e32 v11, v13
	v_add_co_ci_u32_e32 v5, vcc_lo, v12, v5, vcc_lo
	v_mov_b32_e32 v12, v14
	global_store_dwordx2 v[4:5], v[13:14], off
	s_waitcnt_vscnt null, 0x0
	global_atomic_cmpswap_x2 v[11:12], v6, v[9:12], s[40:41] offset:24 glc
	s_waitcnt vmcnt(0)
	v_cmp_ne_u64_e32 vcc_lo, v[11:12], v[13:14]
	s_and_b32 exec_lo, exec_lo, vcc_lo
	s_cbranch_execz .LBB11_1000
; %bb.1074:                             ;   in Loop: Header=BB11_1001 Depth=1
	s_mov_b32 s4, 0
.LBB11_1075:                            ;   Parent Loop BB11_1001 Depth=1
                                        ; =>  This Inner Loop Header: Depth=2
	s_sleep 1
	global_store_dwordx2 v[4:5], v[11:12], off
	s_waitcnt_vscnt null, 0x0
	global_atomic_cmpswap_x2 v[13:14], v6, v[9:12], s[40:41] offset:24 glc
	s_waitcnt vmcnt(0)
	v_cmp_eq_u64_e32 vcc_lo, v[13:14], v[11:12]
	v_mov_b32_e32 v11, v13
	v_mov_b32_e32 v12, v14
	s_or_b32 s4, vcc_lo, s4
	s_andn2_b32 exec_lo, exec_lo, s4
	s_cbranch_execnz .LBB11_1075
	s_branch .LBB11_1000
.LBB11_1076:
	s_branch .LBB11_1105
.LBB11_1077:
                                        ; implicit-def: $vgpr2_vgpr3
	s_cbranch_execz .LBB11_1105
; %bb.1078:
	v_readfirstlane_b32 s4, v69
	v_mov_b32_e32 v8, 0
	v_mov_b32_e32 v9, 0
	v_cmp_eq_u32_e64 s4, s4, v69
	s_and_saveexec_b32 s5, s4
	s_cbranch_execz .LBB11_1084
; %bb.1079:
	s_waitcnt vmcnt(0)
	v_mov_b32_e32 v2, 0
	s_mov_b32 s6, exec_lo
	global_load_dwordx2 v[5:6], v2, s[40:41] offset:24 glc dlc
	s_waitcnt vmcnt(0)
	buffer_gl1_inv
	buffer_gl0_inv
	s_clause 0x1
	global_load_dwordx2 v[3:4], v2, s[40:41] offset:40
	global_load_dwordx2 v[7:8], v2, s[40:41]
	s_waitcnt vmcnt(1)
	v_and_b32_e32 v4, v4, v6
	v_and_b32_e32 v3, v3, v5
	v_mul_lo_u32 v4, v4, 24
	v_mul_hi_u32 v9, v3, 24
	v_mul_lo_u32 v3, v3, 24
	v_add_nc_u32_e32 v4, v9, v4
	s_waitcnt vmcnt(0)
	v_add_co_u32 v3, vcc_lo, v7, v3
	v_add_co_ci_u32_e32 v4, vcc_lo, v8, v4, vcc_lo
	global_load_dwordx2 v[3:4], v[3:4], off glc dlc
	s_waitcnt vmcnt(0)
	global_atomic_cmpswap_x2 v[8:9], v2, v[3:6], s[40:41] offset:24 glc
	s_waitcnt vmcnt(0)
	buffer_gl1_inv
	buffer_gl0_inv
	v_cmpx_ne_u64_e64 v[8:9], v[5:6]
	s_cbranch_execz .LBB11_1083
; %bb.1080:
	s_mov_b32 s7, 0
	.p2align	6
.LBB11_1081:                            ; =>This Inner Loop Header: Depth=1
	s_sleep 1
	s_clause 0x1
	global_load_dwordx2 v[3:4], v2, s[40:41] offset:40
	global_load_dwordx2 v[10:11], v2, s[40:41]
	v_mov_b32_e32 v5, v8
	v_mov_b32_e32 v6, v9
	s_waitcnt vmcnt(1)
	v_and_b32_e32 v3, v3, v5
	v_and_b32_e32 v4, v4, v6
	s_waitcnt vmcnt(0)
	v_mad_u64_u32 v[7:8], null, v3, 24, v[10:11]
	v_mov_b32_e32 v3, v8
	v_mad_u64_u32 v[3:4], null, v4, 24, v[3:4]
	v_mov_b32_e32 v8, v3
	global_load_dwordx2 v[3:4], v[7:8], off glc dlc
	s_waitcnt vmcnt(0)
	global_atomic_cmpswap_x2 v[8:9], v2, v[3:6], s[40:41] offset:24 glc
	s_waitcnt vmcnt(0)
	buffer_gl1_inv
	buffer_gl0_inv
	v_cmp_eq_u64_e32 vcc_lo, v[8:9], v[5:6]
	s_or_b32 s7, vcc_lo, s7
	s_andn2_b32 exec_lo, exec_lo, s7
	s_cbranch_execnz .LBB11_1081
; %bb.1082:
	s_or_b32 exec_lo, exec_lo, s7
.LBB11_1083:
	s_or_b32 exec_lo, exec_lo, s6
.LBB11_1084:
	s_or_b32 exec_lo, exec_lo, s5
	s_waitcnt vmcnt(0)
	v_mov_b32_e32 v2, 0
	v_readfirstlane_b32 s6, v8
	v_readfirstlane_b32 s7, v9
	s_mov_b32 s5, exec_lo
	s_clause 0x1
	global_load_dwordx2 v[10:11], v2, s[40:41] offset:40
	global_load_dwordx4 v[4:7], v2, s[40:41]
	s_waitcnt vmcnt(1)
	v_readfirstlane_b32 s10, v10
	v_readfirstlane_b32 s11, v11
	s_and_b64 s[10:11], s[6:7], s[10:11]
	s_mul_i32 s16, s11, 24
	s_mul_hi_u32 s17, s10, 24
	s_mul_i32 s18, s10, 24
	s_add_i32 s17, s17, s16
	s_waitcnt vmcnt(0)
	v_add_co_u32 v8, vcc_lo, v4, s18
	v_add_co_ci_u32_e32 v9, vcc_lo, s17, v5, vcc_lo
	s_and_saveexec_b32 s16, s4
	s_cbranch_execz .LBB11_1086
; %bb.1085:
	v_mov_b32_e32 v10, s5
	v_mov_b32_e32 v11, v2
	;; [unrolled: 1-line block ×4, first 2 shown]
	global_store_dwordx4 v[8:9], v[10:13], off offset:8
.LBB11_1086:
	s_or_b32 exec_lo, exec_lo, s16
	s_lshl_b64 s[10:11], s[10:11], 12
	s_mov_b32 s16, 0
	v_add_co_u32 v6, vcc_lo, v6, s10
	v_add_co_ci_u32_e32 v7, vcc_lo, s11, v7, vcc_lo
	s_mov_b32 s17, s16
	v_readfirstlane_b32 s10, v6
	v_add_co_u32 v6, vcc_lo, v6, v68
	s_mov_b32 s18, s16
	s_mov_b32 s19, s16
	v_and_or_b32 v0, 0xffffff1f, v0, 32
	v_mov_b32_e32 v3, v2
	v_readfirstlane_b32 s11, v7
	v_mov_b32_e32 v10, s16
	v_add_co_ci_u32_e32 v7, vcc_lo, 0, v7, vcc_lo
	v_mov_b32_e32 v11, s17
	v_mov_b32_e32 v12, s18
	;; [unrolled: 1-line block ×3, first 2 shown]
	global_store_dwordx4 v68, v[0:3], s[10:11]
	global_store_dwordx4 v68, v[10:13], s[10:11] offset:16
	global_store_dwordx4 v68, v[10:13], s[10:11] offset:32
	;; [unrolled: 1-line block ×3, first 2 shown]
	s_and_saveexec_b32 s5, s4
	s_cbranch_execz .LBB11_1094
; %bb.1087:
	v_mov_b32_e32 v10, 0
	v_mov_b32_e32 v11, s6
	;; [unrolled: 1-line block ×3, first 2 shown]
	s_clause 0x1
	global_load_dwordx2 v[13:14], v10, s[40:41] offset:32 glc dlc
	global_load_dwordx2 v[0:1], v10, s[40:41] offset:40
	s_waitcnt vmcnt(0)
	v_readfirstlane_b32 s10, v0
	v_readfirstlane_b32 s11, v1
	s_and_b64 s[10:11], s[10:11], s[6:7]
	s_mul_i32 s11, s11, 24
	s_mul_hi_u32 s16, s10, 24
	s_mul_i32 s10, s10, 24
	s_add_i32 s16, s16, s11
	v_add_co_u32 v4, vcc_lo, v4, s10
	v_add_co_ci_u32_e32 v5, vcc_lo, s16, v5, vcc_lo
	s_mov_b32 s10, exec_lo
	global_store_dwordx2 v[4:5], v[13:14], off
	s_waitcnt_vscnt null, 0x0
	global_atomic_cmpswap_x2 v[2:3], v10, v[11:14], s[40:41] offset:32 glc
	s_waitcnt vmcnt(0)
	v_cmpx_ne_u64_e64 v[2:3], v[13:14]
	s_cbranch_execz .LBB11_1090
; %bb.1088:
	s_mov_b32 s11, 0
.LBB11_1089:                            ; =>This Inner Loop Header: Depth=1
	v_mov_b32_e32 v0, s6
	v_mov_b32_e32 v1, s7
	s_sleep 1
	global_store_dwordx2 v[4:5], v[2:3], off
	s_waitcnt_vscnt null, 0x0
	global_atomic_cmpswap_x2 v[0:1], v10, v[0:3], s[40:41] offset:32 glc
	s_waitcnt vmcnt(0)
	v_cmp_eq_u64_e32 vcc_lo, v[0:1], v[2:3]
	v_mov_b32_e32 v3, v1
	v_mov_b32_e32 v2, v0
	s_or_b32 s11, vcc_lo, s11
	s_andn2_b32 exec_lo, exec_lo, s11
	s_cbranch_execnz .LBB11_1089
.LBB11_1090:
	s_or_b32 exec_lo, exec_lo, s10
	v_mov_b32_e32 v3, 0
	s_mov_b32 s11, exec_lo
	s_mov_b32 s10, exec_lo
	v_mbcnt_lo_u32_b32 v2, s11, 0
	global_load_dwordx2 v[0:1], v3, s[40:41] offset:16
	v_cmpx_eq_u32_e32 0, v2
	s_cbranch_execz .LBB11_1092
; %bb.1091:
	s_bcnt1_i32_b32 s11, s11
	v_mov_b32_e32 v2, s11
	s_waitcnt vmcnt(0)
	global_atomic_add_x2 v[0:1], v[2:3], off offset:8
.LBB11_1092:
	s_or_b32 exec_lo, exec_lo, s10
	s_waitcnt vmcnt(0)
	global_load_dwordx2 v[2:3], v[0:1], off offset:16
	s_waitcnt vmcnt(0)
	v_cmp_eq_u64_e32 vcc_lo, 0, v[2:3]
	s_cbranch_vccnz .LBB11_1094
; %bb.1093:
	global_load_dword v0, v[0:1], off offset:24
	v_mov_b32_e32 v1, 0
	s_waitcnt vmcnt(0)
	v_and_b32_e32 v4, 0x7fffff, v0
	s_waitcnt_vscnt null, 0x0
	global_store_dwordx2 v[2:3], v[0:1], off
	v_readfirstlane_b32 m0, v4
	s_sendmsg sendmsg(MSG_INTERRUPT)
.LBB11_1094:
	s_or_b32 exec_lo, exec_lo, s5
	s_branch .LBB11_1098
	.p2align	6
.LBB11_1095:                            ;   in Loop: Header=BB11_1098 Depth=1
	s_or_b32 exec_lo, exec_lo, s5
	v_readfirstlane_b32 s5, v0
	s_cmp_eq_u32 s5, 0
	s_cbranch_scc1 .LBB11_1097
; %bb.1096:                             ;   in Loop: Header=BB11_1098 Depth=1
	s_sleep 1
	s_cbranch_execnz .LBB11_1098
	s_branch .LBB11_1100
	.p2align	6
.LBB11_1097:
	s_branch .LBB11_1100
.LBB11_1098:                            ; =>This Inner Loop Header: Depth=1
	v_mov_b32_e32 v0, 1
	s_and_saveexec_b32 s5, s4
	s_cbranch_execz .LBB11_1095
; %bb.1099:                             ;   in Loop: Header=BB11_1098 Depth=1
	global_load_dword v0, v[8:9], off offset:20 glc dlc
	s_waitcnt vmcnt(0)
	buffer_gl1_inv
	buffer_gl0_inv
	v_and_b32_e32 v0, 1, v0
	s_branch .LBB11_1095
.LBB11_1100:
	global_load_dwordx2 v[2:3], v[6:7], off
	s_and_saveexec_b32 s5, s4
	s_cbranch_execz .LBB11_1104
; %bb.1101:
	v_mov_b32_e32 v8, 0
	s_clause 0x2
	global_load_dwordx2 v[0:1], v8, s[40:41] offset:40
	global_load_dwordx2 v[9:10], v8, s[40:41] offset:24 glc dlc
	global_load_dwordx2 v[6:7], v8, s[40:41]
	s_waitcnt vmcnt(2)
	v_add_co_u32 v11, vcc_lo, v0, 1
	v_add_co_ci_u32_e32 v12, vcc_lo, 0, v1, vcc_lo
	v_add_co_u32 v4, vcc_lo, v11, s6
	v_add_co_ci_u32_e32 v5, vcc_lo, s7, v12, vcc_lo
	v_cmp_eq_u64_e32 vcc_lo, 0, v[4:5]
	v_cndmask_b32_e32 v5, v5, v12, vcc_lo
	v_cndmask_b32_e32 v4, v4, v11, vcc_lo
	v_and_b32_e32 v1, v5, v1
	v_and_b32_e32 v0, v4, v0
	v_mul_lo_u32 v1, v1, 24
	v_mul_hi_u32 v11, v0, 24
	v_mul_lo_u32 v0, v0, 24
	v_add_nc_u32_e32 v1, v11, v1
	s_waitcnt vmcnt(0)
	v_add_co_u32 v0, vcc_lo, v6, v0
	v_mov_b32_e32 v6, v9
	v_add_co_ci_u32_e32 v1, vcc_lo, v7, v1, vcc_lo
	v_mov_b32_e32 v7, v10
	global_store_dwordx2 v[0:1], v[9:10], off
	s_waitcnt_vscnt null, 0x0
	global_atomic_cmpswap_x2 v[6:7], v8, v[4:7], s[40:41] offset:24 glc
	s_waitcnt vmcnt(0)
	v_cmp_ne_u64_e32 vcc_lo, v[6:7], v[9:10]
	s_and_b32 exec_lo, exec_lo, vcc_lo
	s_cbranch_execz .LBB11_1104
; %bb.1102:
	s_mov_b32 s4, 0
.LBB11_1103:                            ; =>This Inner Loop Header: Depth=1
	s_sleep 1
	global_store_dwordx2 v[0:1], v[6:7], off
	s_waitcnt_vscnt null, 0x0
	global_atomic_cmpswap_x2 v[9:10], v8, v[4:7], s[40:41] offset:24 glc
	s_waitcnt vmcnt(0)
	v_cmp_eq_u64_e32 vcc_lo, v[9:10], v[6:7]
	v_mov_b32_e32 v6, v9
	v_mov_b32_e32 v7, v10
	s_or_b32 s4, vcc_lo, s4
	s_andn2_b32 exec_lo, exec_lo, s4
	s_cbranch_execnz .LBB11_1103
.LBB11_1104:
	s_or_b32 exec_lo, exec_lo, s5
.LBB11_1105:
	v_readfirstlane_b32 s4, v69
	s_waitcnt vmcnt(0)
	v_mov_b32_e32 v0, 0
	v_mov_b32_e32 v1, 0
	v_cmp_eq_u32_e64 s4, s4, v69
	s_and_saveexec_b32 s5, s4
	s_cbranch_execz .LBB11_1111
; %bb.1106:
	v_mov_b32_e32 v4, 0
	s_mov_b32 s6, exec_lo
	global_load_dwordx2 v[7:8], v4, s[40:41] offset:24 glc dlc
	s_waitcnt vmcnt(0)
	buffer_gl1_inv
	buffer_gl0_inv
	s_clause 0x1
	global_load_dwordx2 v[0:1], v4, s[40:41] offset:40
	global_load_dwordx2 v[5:6], v4, s[40:41]
	s_waitcnt vmcnt(1)
	v_and_b32_e32 v1, v1, v8
	v_and_b32_e32 v0, v0, v7
	v_mul_lo_u32 v1, v1, 24
	v_mul_hi_u32 v9, v0, 24
	v_mul_lo_u32 v0, v0, 24
	v_add_nc_u32_e32 v1, v9, v1
	s_waitcnt vmcnt(0)
	v_add_co_u32 v0, vcc_lo, v5, v0
	v_add_co_ci_u32_e32 v1, vcc_lo, v6, v1, vcc_lo
	global_load_dwordx2 v[5:6], v[0:1], off glc dlc
	s_waitcnt vmcnt(0)
	global_atomic_cmpswap_x2 v[0:1], v4, v[5:8], s[40:41] offset:24 glc
	s_waitcnt vmcnt(0)
	buffer_gl1_inv
	buffer_gl0_inv
	v_cmpx_ne_u64_e64 v[0:1], v[7:8]
	s_cbranch_execz .LBB11_1110
; %bb.1107:
	s_mov_b32 s7, 0
	.p2align	6
.LBB11_1108:                            ; =>This Inner Loop Header: Depth=1
	s_sleep 1
	s_clause 0x1
	global_load_dwordx2 v[5:6], v4, s[40:41] offset:40
	global_load_dwordx2 v[9:10], v4, s[40:41]
	v_mov_b32_e32 v8, v1
	v_mov_b32_e32 v7, v0
	s_waitcnt vmcnt(1)
	v_and_b32_e32 v0, v5, v7
	v_and_b32_e32 v5, v6, v8
	s_waitcnt vmcnt(0)
	v_mad_u64_u32 v[0:1], null, v0, 24, v[9:10]
	v_mad_u64_u32 v[5:6], null, v5, 24, v[1:2]
	v_mov_b32_e32 v1, v5
	global_load_dwordx2 v[5:6], v[0:1], off glc dlc
	s_waitcnt vmcnt(0)
	global_atomic_cmpswap_x2 v[0:1], v4, v[5:8], s[40:41] offset:24 glc
	s_waitcnt vmcnt(0)
	buffer_gl1_inv
	buffer_gl0_inv
	v_cmp_eq_u64_e32 vcc_lo, v[0:1], v[7:8]
	s_or_b32 s7, vcc_lo, s7
	s_andn2_b32 exec_lo, exec_lo, s7
	s_cbranch_execnz .LBB11_1108
; %bb.1109:
	s_or_b32 exec_lo, exec_lo, s7
.LBB11_1110:
	s_or_b32 exec_lo, exec_lo, s6
.LBB11_1111:
	s_or_b32 exec_lo, exec_lo, s5
	v_mov_b32_e32 v5, 0
	v_readfirstlane_b32 s6, v0
	v_readfirstlane_b32 s7, v1
	s_mov_b32 s5, exec_lo
	s_clause 0x1
	global_load_dwordx2 v[10:11], v5, s[40:41] offset:40
	global_load_dwordx4 v[6:9], v5, s[40:41]
	s_waitcnt vmcnt(1)
	v_readfirstlane_b32 s10, v10
	v_readfirstlane_b32 s11, v11
	s_and_b64 s[10:11], s[6:7], s[10:11]
	s_mul_i32 s16, s11, 24
	s_mul_hi_u32 s17, s10, 24
	s_mul_i32 s18, s10, 24
	s_add_i32 s17, s17, s16
	s_waitcnt vmcnt(0)
	v_add_co_u32 v10, vcc_lo, v6, s18
	v_add_co_ci_u32_e32 v11, vcc_lo, s17, v7, vcc_lo
	s_and_saveexec_b32 s16, s4
	s_cbranch_execz .LBB11_1113
; %bb.1112:
	v_mov_b32_e32 v4, s5
	v_mov_b32_e32 v13, v5
	;; [unrolled: 1-line block ×5, first 2 shown]
	global_store_dwordx4 v[10:11], v[12:15], off offset:8
.LBB11_1113:
	s_or_b32 exec_lo, exec_lo, s16
	s_lshl_b64 s[10:11], s[10:11], 12
	s_mov_b32 s16, 0
	v_add_co_u32 v0, vcc_lo, v8, s10
	v_add_co_ci_u32_e32 v1, vcc_lo, s11, v9, vcc_lo
	s_mov_b32 s17, s16
	s_mov_b32 s18, s16
	s_mov_b32 s19, s16
	v_and_or_b32 v2, 0xffffff1d, v2, 34
	v_mov_b32_e32 v4, 58
	v_readfirstlane_b32 s10, v0
	v_readfirstlane_b32 s11, v1
	v_mov_b32_e32 v12, s16
	v_mov_b32_e32 v13, s17
	;; [unrolled: 1-line block ×4, first 2 shown]
	global_store_dwordx4 v68, v[2:5], s[10:11]
	global_store_dwordx4 v68, v[12:15], s[10:11] offset:16
	global_store_dwordx4 v68, v[12:15], s[10:11] offset:32
	;; [unrolled: 1-line block ×3, first 2 shown]
	s_and_saveexec_b32 s5, s4
	s_cbranch_execz .LBB11_1121
; %bb.1114:
	v_mov_b32_e32 v8, 0
	v_mov_b32_e32 v12, s6
	;; [unrolled: 1-line block ×3, first 2 shown]
	s_clause 0x1
	global_load_dwordx2 v[14:15], v8, s[40:41] offset:32 glc dlc
	global_load_dwordx2 v[0:1], v8, s[40:41] offset:40
	s_waitcnt vmcnt(0)
	v_readfirstlane_b32 s10, v0
	v_readfirstlane_b32 s11, v1
	s_and_b64 s[10:11], s[10:11], s[6:7]
	s_mul_i32 s11, s11, 24
	s_mul_hi_u32 s16, s10, 24
	s_mul_i32 s10, s10, 24
	s_add_i32 s16, s16, s11
	v_add_co_u32 v4, vcc_lo, v6, s10
	v_add_co_ci_u32_e32 v5, vcc_lo, s16, v7, vcc_lo
	s_mov_b32 s10, exec_lo
	global_store_dwordx2 v[4:5], v[14:15], off
	s_waitcnt_vscnt null, 0x0
	global_atomic_cmpswap_x2 v[2:3], v8, v[12:15], s[40:41] offset:32 glc
	s_waitcnt vmcnt(0)
	v_cmpx_ne_u64_e64 v[2:3], v[14:15]
	s_cbranch_execz .LBB11_1117
; %bb.1115:
	s_mov_b32 s11, 0
.LBB11_1116:                            ; =>This Inner Loop Header: Depth=1
	v_mov_b32_e32 v0, s6
	v_mov_b32_e32 v1, s7
	s_sleep 1
	global_store_dwordx2 v[4:5], v[2:3], off
	s_waitcnt_vscnt null, 0x0
	global_atomic_cmpswap_x2 v[0:1], v8, v[0:3], s[40:41] offset:32 glc
	s_waitcnt vmcnt(0)
	v_cmp_eq_u64_e32 vcc_lo, v[0:1], v[2:3]
	v_mov_b32_e32 v3, v1
	v_mov_b32_e32 v2, v0
	s_or_b32 s11, vcc_lo, s11
	s_andn2_b32 exec_lo, exec_lo, s11
	s_cbranch_execnz .LBB11_1116
.LBB11_1117:
	s_or_b32 exec_lo, exec_lo, s10
	v_mov_b32_e32 v3, 0
	s_mov_b32 s11, exec_lo
	s_mov_b32 s10, exec_lo
	v_mbcnt_lo_u32_b32 v2, s11, 0
	global_load_dwordx2 v[0:1], v3, s[40:41] offset:16
	v_cmpx_eq_u32_e32 0, v2
	s_cbranch_execz .LBB11_1119
; %bb.1118:
	s_bcnt1_i32_b32 s11, s11
	v_mov_b32_e32 v2, s11
	s_waitcnt vmcnt(0)
	global_atomic_add_x2 v[0:1], v[2:3], off offset:8
.LBB11_1119:
	s_or_b32 exec_lo, exec_lo, s10
	s_waitcnt vmcnt(0)
	global_load_dwordx2 v[2:3], v[0:1], off offset:16
	s_waitcnt vmcnt(0)
	v_cmp_eq_u64_e32 vcc_lo, 0, v[2:3]
	s_cbranch_vccnz .LBB11_1121
; %bb.1120:
	global_load_dword v0, v[0:1], off offset:24
	v_mov_b32_e32 v1, 0
	s_waitcnt vmcnt(0)
	v_and_b32_e32 v4, 0x7fffff, v0
	s_waitcnt_vscnt null, 0x0
	global_store_dwordx2 v[2:3], v[0:1], off
	v_readfirstlane_b32 m0, v4
	s_sendmsg sendmsg(MSG_INTERRUPT)
.LBB11_1121:
	s_or_b32 exec_lo, exec_lo, s5
	s_branch .LBB11_1125
	.p2align	6
.LBB11_1122:                            ;   in Loop: Header=BB11_1125 Depth=1
	s_or_b32 exec_lo, exec_lo, s5
	v_readfirstlane_b32 s5, v0
	s_cmp_eq_u32 s5, 0
	s_cbranch_scc1 .LBB11_1124
; %bb.1123:                             ;   in Loop: Header=BB11_1125 Depth=1
	s_sleep 1
	s_cbranch_execnz .LBB11_1125
	s_branch .LBB11_1127
	.p2align	6
.LBB11_1124:
	s_branch .LBB11_1127
.LBB11_1125:                            ; =>This Inner Loop Header: Depth=1
	v_mov_b32_e32 v0, 1
	s_and_saveexec_b32 s5, s4
	s_cbranch_execz .LBB11_1122
; %bb.1126:                             ;   in Loop: Header=BB11_1125 Depth=1
	global_load_dword v0, v[10:11], off offset:20 glc dlc
	s_waitcnt vmcnt(0)
	buffer_gl1_inv
	buffer_gl0_inv
	v_and_b32_e32 v0, 1, v0
	s_branch .LBB11_1122
.LBB11_1127:
	s_and_saveexec_b32 s5, s4
	s_cbranch_execz .LBB11_1131
; %bb.1128:
	v_mov_b32_e32 v6, 0
	s_clause 0x2
	global_load_dwordx2 v[2:3], v6, s[40:41] offset:40
	global_load_dwordx2 v[7:8], v6, s[40:41] offset:24 glc dlc
	global_load_dwordx2 v[4:5], v6, s[40:41]
	s_waitcnt vmcnt(2)
	v_add_co_u32 v9, vcc_lo, v2, 1
	v_add_co_ci_u32_e32 v10, vcc_lo, 0, v3, vcc_lo
	v_add_co_u32 v0, vcc_lo, v9, s6
	v_add_co_ci_u32_e32 v1, vcc_lo, s7, v10, vcc_lo
	v_cmp_eq_u64_e32 vcc_lo, 0, v[0:1]
	v_cndmask_b32_e32 v1, v1, v10, vcc_lo
	v_cndmask_b32_e32 v0, v0, v9, vcc_lo
	v_and_b32_e32 v3, v1, v3
	v_and_b32_e32 v2, v0, v2
	v_mul_lo_u32 v3, v3, 24
	v_mul_hi_u32 v9, v2, 24
	v_mul_lo_u32 v2, v2, 24
	v_add_nc_u32_e32 v3, v9, v3
	s_waitcnt vmcnt(0)
	v_add_co_u32 v4, vcc_lo, v4, v2
	v_mov_b32_e32 v2, v7
	v_add_co_ci_u32_e32 v5, vcc_lo, v5, v3, vcc_lo
	v_mov_b32_e32 v3, v8
	global_store_dwordx2 v[4:5], v[7:8], off
	s_waitcnt_vscnt null, 0x0
	global_atomic_cmpswap_x2 v[2:3], v6, v[0:3], s[40:41] offset:24 glc
	s_waitcnt vmcnt(0)
	v_cmp_ne_u64_e32 vcc_lo, v[2:3], v[7:8]
	s_and_b32 exec_lo, exec_lo, vcc_lo
	s_cbranch_execz .LBB11_1131
; %bb.1129:
	s_mov_b32 s4, 0
.LBB11_1130:                            ; =>This Inner Loop Header: Depth=1
	s_sleep 1
	global_store_dwordx2 v[4:5], v[2:3], off
	s_waitcnt_vscnt null, 0x0
	global_atomic_cmpswap_x2 v[7:8], v6, v[0:3], s[40:41] offset:24 glc
	s_waitcnt vmcnt(0)
	v_cmp_eq_u64_e32 vcc_lo, v[7:8], v[2:3]
	v_mov_b32_e32 v2, v7
	v_mov_b32_e32 v3, v8
	s_or_b32 s4, vcc_lo, s4
	s_andn2_b32 exec_lo, exec_lo, s4
	s_cbranch_execnz .LBB11_1130
.LBB11_1131:
	s_or_b32 exec_lo, exec_lo, s5
	v_readfirstlane_b32 s4, v69
	v_mov_b32_e32 v6, 0
	v_mov_b32_e32 v7, 0
	v_cmp_eq_u32_e64 s4, s4, v69
	s_and_saveexec_b32 s5, s4
	s_cbranch_execz .LBB11_1137
; %bb.1132:
	v_mov_b32_e32 v0, 0
	s_mov_b32 s6, exec_lo
	global_load_dwordx2 v[3:4], v0, s[40:41] offset:24 glc dlc
	s_waitcnt vmcnt(0)
	buffer_gl1_inv
	buffer_gl0_inv
	s_clause 0x1
	global_load_dwordx2 v[1:2], v0, s[40:41] offset:40
	global_load_dwordx2 v[5:6], v0, s[40:41]
	s_waitcnt vmcnt(1)
	v_and_b32_e32 v2, v2, v4
	v_and_b32_e32 v1, v1, v3
	v_mul_lo_u32 v2, v2, 24
	v_mul_hi_u32 v7, v1, 24
	v_mul_lo_u32 v1, v1, 24
	v_add_nc_u32_e32 v2, v7, v2
	s_waitcnt vmcnt(0)
	v_add_co_u32 v1, vcc_lo, v5, v1
	v_add_co_ci_u32_e32 v2, vcc_lo, v6, v2, vcc_lo
	global_load_dwordx2 v[1:2], v[1:2], off glc dlc
	s_waitcnt vmcnt(0)
	global_atomic_cmpswap_x2 v[6:7], v0, v[1:4], s[40:41] offset:24 glc
	s_waitcnt vmcnt(0)
	buffer_gl1_inv
	buffer_gl0_inv
	v_cmpx_ne_u64_e64 v[6:7], v[3:4]
	s_cbranch_execz .LBB11_1136
; %bb.1133:
	s_mov_b32 s7, 0
	.p2align	6
.LBB11_1134:                            ; =>This Inner Loop Header: Depth=1
	s_sleep 1
	s_clause 0x1
	global_load_dwordx2 v[1:2], v0, s[40:41] offset:40
	global_load_dwordx2 v[8:9], v0, s[40:41]
	v_mov_b32_e32 v3, v6
	v_mov_b32_e32 v4, v7
	s_waitcnt vmcnt(1)
	v_and_b32_e32 v1, v1, v3
	v_and_b32_e32 v2, v2, v4
	s_waitcnt vmcnt(0)
	v_mad_u64_u32 v[5:6], null, v1, 24, v[8:9]
	v_mov_b32_e32 v1, v6
	v_mad_u64_u32 v[1:2], null, v2, 24, v[1:2]
	v_mov_b32_e32 v6, v1
	global_load_dwordx2 v[1:2], v[5:6], off glc dlc
	s_waitcnt vmcnt(0)
	global_atomic_cmpswap_x2 v[6:7], v0, v[1:4], s[40:41] offset:24 glc
	s_waitcnt vmcnt(0)
	buffer_gl1_inv
	buffer_gl0_inv
	v_cmp_eq_u64_e32 vcc_lo, v[6:7], v[3:4]
	s_or_b32 s7, vcc_lo, s7
	s_andn2_b32 exec_lo, exec_lo, s7
	s_cbranch_execnz .LBB11_1134
; %bb.1135:
	s_or_b32 exec_lo, exec_lo, s7
.LBB11_1136:
	s_or_b32 exec_lo, exec_lo, s6
.LBB11_1137:
	s_or_b32 exec_lo, exec_lo, s5
	v_mov_b32_e32 v5, 0
	v_readfirstlane_b32 s6, v6
	v_readfirstlane_b32 s7, v7
	s_mov_b32 s5, exec_lo
	s_clause 0x1
	global_load_dwordx2 v[8:9], v5, s[40:41] offset:40
	global_load_dwordx4 v[0:3], v5, s[40:41]
	s_waitcnt vmcnt(1)
	v_readfirstlane_b32 s10, v8
	v_readfirstlane_b32 s11, v9
	s_and_b64 s[10:11], s[6:7], s[10:11]
	s_mul_i32 s16, s11, 24
	s_mul_hi_u32 s17, s10, 24
	s_mul_i32 s18, s10, 24
	s_add_i32 s17, s17, s16
	s_waitcnt vmcnt(0)
	v_add_co_u32 v8, vcc_lo, v0, s18
	v_add_co_ci_u32_e32 v9, vcc_lo, s17, v1, vcc_lo
	s_and_saveexec_b32 s16, s4
	s_cbranch_execz .LBB11_1139
; %bb.1138:
	v_mov_b32_e32 v4, s5
	v_mov_b32_e32 v6, 2
	;; [unrolled: 1-line block ×3, first 2 shown]
	global_store_dwordx4 v[8:9], v[4:7], off offset:8
.LBB11_1139:
	s_or_b32 exec_lo, exec_lo, s16
	s_lshl_b64 s[10:11], s[10:11], 12
	s_mov_b32 s16, 0
	v_add_co_u32 v2, vcc_lo, v2, s10
	v_add_co_ci_u32_e32 v3, vcc_lo, s11, v3, vcc_lo
	s_mov_b32 s17, s16
	v_add_co_u32 v10, vcc_lo, v2, v68
	s_mov_b32 s18, s16
	s_mov_b32 s19, s16
	v_mov_b32_e32 v4, 33
	v_mov_b32_e32 v6, v5
	;; [unrolled: 1-line block ×3, first 2 shown]
	v_readfirstlane_b32 s10, v2
	v_readfirstlane_b32 s11, v3
	v_mov_b32_e32 v12, s16
	v_add_co_ci_u32_e32 v11, vcc_lo, 0, v3, vcc_lo
	v_mov_b32_e32 v13, s17
	v_mov_b32_e32 v14, s18
	;; [unrolled: 1-line block ×3, first 2 shown]
	global_store_dwordx4 v68, v[4:7], s[10:11]
	global_store_dwordx4 v68, v[12:15], s[10:11] offset:16
	global_store_dwordx4 v68, v[12:15], s[10:11] offset:32
	global_store_dwordx4 v68, v[12:15], s[10:11] offset:48
	s_and_saveexec_b32 s5, s4
	s_cbranch_execz .LBB11_1147
; %bb.1140:
	v_mov_b32_e32 v6, 0
	v_mov_b32_e32 v12, s6
	;; [unrolled: 1-line block ×3, first 2 shown]
	s_clause 0x1
	global_load_dwordx2 v[14:15], v6, s[40:41] offset:32 glc dlc
	global_load_dwordx2 v[2:3], v6, s[40:41] offset:40
	s_waitcnt vmcnt(0)
	v_readfirstlane_b32 s10, v2
	v_readfirstlane_b32 s11, v3
	s_and_b64 s[10:11], s[10:11], s[6:7]
	s_mul_i32 s11, s11, 24
	s_mul_hi_u32 s16, s10, 24
	s_mul_i32 s10, s10, 24
	s_add_i32 s16, s16, s11
	v_add_co_u32 v4, vcc_lo, v0, s10
	v_add_co_ci_u32_e32 v5, vcc_lo, s16, v1, vcc_lo
	s_mov_b32 s10, exec_lo
	global_store_dwordx2 v[4:5], v[14:15], off
	s_waitcnt_vscnt null, 0x0
	global_atomic_cmpswap_x2 v[2:3], v6, v[12:15], s[40:41] offset:32 glc
	s_waitcnt vmcnt(0)
	v_cmpx_ne_u64_e64 v[2:3], v[14:15]
	s_cbranch_execz .LBB11_1143
; %bb.1141:
	s_mov_b32 s11, 0
.LBB11_1142:                            ; =>This Inner Loop Header: Depth=1
	v_mov_b32_e32 v0, s6
	v_mov_b32_e32 v1, s7
	s_sleep 1
	global_store_dwordx2 v[4:5], v[2:3], off
	s_waitcnt_vscnt null, 0x0
	global_atomic_cmpswap_x2 v[0:1], v6, v[0:3], s[40:41] offset:32 glc
	s_waitcnt vmcnt(0)
	v_cmp_eq_u64_e32 vcc_lo, v[0:1], v[2:3]
	v_mov_b32_e32 v3, v1
	v_mov_b32_e32 v2, v0
	s_or_b32 s11, vcc_lo, s11
	s_andn2_b32 exec_lo, exec_lo, s11
	s_cbranch_execnz .LBB11_1142
.LBB11_1143:
	s_or_b32 exec_lo, exec_lo, s10
	v_mov_b32_e32 v3, 0
	s_mov_b32 s11, exec_lo
	s_mov_b32 s10, exec_lo
	v_mbcnt_lo_u32_b32 v2, s11, 0
	global_load_dwordx2 v[0:1], v3, s[40:41] offset:16
	v_cmpx_eq_u32_e32 0, v2
	s_cbranch_execz .LBB11_1145
; %bb.1144:
	s_bcnt1_i32_b32 s11, s11
	v_mov_b32_e32 v2, s11
	s_waitcnt vmcnt(0)
	global_atomic_add_x2 v[0:1], v[2:3], off offset:8
.LBB11_1145:
	s_or_b32 exec_lo, exec_lo, s10
	s_waitcnt vmcnt(0)
	global_load_dwordx2 v[2:3], v[0:1], off offset:16
	s_waitcnt vmcnt(0)
	v_cmp_eq_u64_e32 vcc_lo, 0, v[2:3]
	s_cbranch_vccnz .LBB11_1147
; %bb.1146:
	global_load_dword v0, v[0:1], off offset:24
	v_mov_b32_e32 v1, 0
	s_waitcnt vmcnt(0)
	v_and_b32_e32 v4, 0x7fffff, v0
	s_waitcnt_vscnt null, 0x0
	global_store_dwordx2 v[2:3], v[0:1], off
	v_readfirstlane_b32 m0, v4
	s_sendmsg sendmsg(MSG_INTERRUPT)
.LBB11_1147:
	s_or_b32 exec_lo, exec_lo, s5
	s_branch .LBB11_1151
	.p2align	6
.LBB11_1148:                            ;   in Loop: Header=BB11_1151 Depth=1
	s_or_b32 exec_lo, exec_lo, s5
	v_readfirstlane_b32 s5, v0
	s_cmp_eq_u32 s5, 0
	s_cbranch_scc1 .LBB11_1150
; %bb.1149:                             ;   in Loop: Header=BB11_1151 Depth=1
	s_sleep 1
	s_cbranch_execnz .LBB11_1151
	s_branch .LBB11_1153
	.p2align	6
.LBB11_1150:
	s_branch .LBB11_1153
.LBB11_1151:                            ; =>This Inner Loop Header: Depth=1
	v_mov_b32_e32 v0, 1
	s_and_saveexec_b32 s5, s4
	s_cbranch_execz .LBB11_1148
; %bb.1152:                             ;   in Loop: Header=BB11_1151 Depth=1
	global_load_dword v0, v[8:9], off offset:20 glc dlc
	s_waitcnt vmcnt(0)
	buffer_gl1_inv
	buffer_gl0_inv
	v_and_b32_e32 v0, 1, v0
	s_branch .LBB11_1148
.LBB11_1153:
	global_load_dwordx2 v[0:1], v[10:11], off
	s_and_saveexec_b32 s5, s4
	s_cbranch_execz .LBB11_1157
; %bb.1154:
	v_mov_b32_e32 v8, 0
	s_clause 0x2
	global_load_dwordx2 v[4:5], v8, s[40:41] offset:40
	global_load_dwordx2 v[9:10], v8, s[40:41] offset:24 glc dlc
	global_load_dwordx2 v[6:7], v8, s[40:41]
	s_waitcnt vmcnt(2)
	v_add_co_u32 v11, vcc_lo, v4, 1
	v_add_co_ci_u32_e32 v12, vcc_lo, 0, v5, vcc_lo
	v_add_co_u32 v2, vcc_lo, v11, s6
	v_add_co_ci_u32_e32 v3, vcc_lo, s7, v12, vcc_lo
	v_cmp_eq_u64_e32 vcc_lo, 0, v[2:3]
	v_cndmask_b32_e32 v3, v3, v12, vcc_lo
	v_cndmask_b32_e32 v2, v2, v11, vcc_lo
	v_and_b32_e32 v5, v3, v5
	v_and_b32_e32 v4, v2, v4
	v_mul_lo_u32 v5, v5, 24
	v_mul_hi_u32 v11, v4, 24
	v_mul_lo_u32 v4, v4, 24
	v_add_nc_u32_e32 v5, v11, v5
	s_waitcnt vmcnt(0)
	v_add_co_u32 v6, vcc_lo, v6, v4
	v_mov_b32_e32 v4, v9
	v_add_co_ci_u32_e32 v7, vcc_lo, v7, v5, vcc_lo
	v_mov_b32_e32 v5, v10
	global_store_dwordx2 v[6:7], v[9:10], off
	s_waitcnt_vscnt null, 0x0
	global_atomic_cmpswap_x2 v[4:5], v8, v[2:5], s[40:41] offset:24 glc
	s_waitcnt vmcnt(0)
	v_cmp_ne_u64_e32 vcc_lo, v[4:5], v[9:10]
	s_and_b32 exec_lo, exec_lo, vcc_lo
	s_cbranch_execz .LBB11_1157
; %bb.1155:
	s_mov_b32 s4, 0
.LBB11_1156:                            ; =>This Inner Loop Header: Depth=1
	s_sleep 1
	global_store_dwordx2 v[6:7], v[4:5], off
	s_waitcnt_vscnt null, 0x0
	global_atomic_cmpswap_x2 v[9:10], v8, v[2:5], s[40:41] offset:24 glc
	s_waitcnt vmcnt(0)
	v_cmp_eq_u64_e32 vcc_lo, v[9:10], v[4:5]
	v_mov_b32_e32 v4, v9
	v_mov_b32_e32 v5, v10
	s_or_b32 s4, vcc_lo, s4
	s_andn2_b32 exec_lo, exec_lo, s4
	s_cbranch_execnz .LBB11_1156
.LBB11_1157:
	s_or_b32 exec_lo, exec_lo, s5
	s_and_b32 vcc_lo, exec_lo, s44
	s_cbranch_vccz .LBB11_1236
; %bb.1158:
	s_waitcnt vmcnt(0)
	v_and_b32_e32 v31, 2, v0
	v_mov_b32_e32 v6, 0
	v_and_b32_e32 v2, -3, v0
	v_mov_b32_e32 v3, v1
	v_mov_b32_e32 v7, 2
	;; [unrolled: 1-line block ×3, first 2 shown]
	s_mov_b64 s[10:11], 3
	s_getpc_b64 s[6:7]
	s_add_u32 s6, s6, .str.6@rel32@lo+4
	s_addc_u32 s7, s7, .str.6@rel32@hi+12
	s_branch .LBB11_1160
.LBB11_1159:                            ;   in Loop: Header=BB11_1160 Depth=1
	s_or_b32 exec_lo, exec_lo, s5
	s_sub_u32 s10, s10, s16
	s_subb_u32 s11, s11, s17
	s_add_u32 s6, s6, s16
	s_addc_u32 s7, s7, s17
	s_cmp_lg_u64 s[10:11], 0
	s_cbranch_scc0 .LBB11_1235
.LBB11_1160:                            ; =>This Loop Header: Depth=1
                                        ;     Child Loop BB11_1169 Depth 2
                                        ;     Child Loop BB11_1165 Depth 2
	;; [unrolled: 1-line block ×11, first 2 shown]
	v_cmp_lt_u64_e64 s4, s[10:11], 56
	v_cmp_gt_u64_e64 s5, s[10:11], 7
                                        ; implicit-def: $vgpr11_vgpr12
                                        ; implicit-def: $sgpr22
	s_and_b32 s4, s4, exec_lo
	s_cselect_b32 s17, s11, 0
	s_cselect_b32 s16, s10, 56
	s_and_b32 vcc_lo, exec_lo, s5
	s_mov_b32 s4, -1
	s_cbranch_vccz .LBB11_1167
; %bb.1161:                             ;   in Loop: Header=BB11_1160 Depth=1
	s_andn2_b32 vcc_lo, exec_lo, s4
	s_mov_b64 s[4:5], s[6:7]
	s_cbranch_vccz .LBB11_1171
.LBB11_1162:                            ;   in Loop: Header=BB11_1160 Depth=1
	s_cmp_gt_u32 s22, 7
	s_cbranch_scc1 .LBB11_1172
.LBB11_1163:                            ;   in Loop: Header=BB11_1160 Depth=1
	v_mov_b32_e32 v13, 0
	v_mov_b32_e32 v14, 0
	s_cmp_eq_u32 s22, 0
	s_cbranch_scc1 .LBB11_1166
; %bb.1164:                             ;   in Loop: Header=BB11_1160 Depth=1
	s_mov_b64 s[18:19], 0
	s_mov_b64 s[20:21], 0
.LBB11_1165:                            ;   Parent Loop BB11_1160 Depth=1
                                        ; =>  This Inner Loop Header: Depth=2
	s_add_u32 s24, s4, s20
	s_addc_u32 s25, s5, s21
	s_add_u32 s20, s20, 1
	global_load_ubyte v4, v6, s[24:25]
	s_addc_u32 s21, s21, 0
	s_waitcnt vmcnt(0)
	v_and_b32_e32 v5, 0xffff, v4
	v_lshlrev_b64 v[4:5], s18, v[5:6]
	s_add_u32 s18, s18, 8
	s_addc_u32 s19, s19, 0
	s_cmp_lg_u32 s22, s20
	v_or_b32_e32 v13, v4, v13
	v_or_b32_e32 v14, v5, v14
	s_cbranch_scc1 .LBB11_1165
.LBB11_1166:                            ;   in Loop: Header=BB11_1160 Depth=1
	s_mov_b32 s23, 0
	s_cbranch_execz .LBB11_1173
	s_branch .LBB11_1174
.LBB11_1167:                            ;   in Loop: Header=BB11_1160 Depth=1
	v_mov_b32_e32 v11, 0
	v_mov_b32_e32 v12, 0
	s_cmp_eq_u64 s[10:11], 0
	s_mov_b64 s[4:5], 0
	s_cbranch_scc1 .LBB11_1170
; %bb.1168:                             ;   in Loop: Header=BB11_1160 Depth=1
	v_mov_b32_e32 v11, 0
	v_mov_b32_e32 v12, 0
	s_lshl_b64 s[18:19], s[16:17], 3
	s_mov_b64 s[20:21], s[6:7]
.LBB11_1169:                            ;   Parent Loop BB11_1160 Depth=1
                                        ; =>  This Inner Loop Header: Depth=2
	global_load_ubyte v4, v6, s[20:21]
	s_waitcnt vmcnt(0)
	v_and_b32_e32 v5, 0xffff, v4
	v_lshlrev_b64 v[4:5], s4, v[5:6]
	s_add_u32 s4, s4, 8
	s_addc_u32 s5, s5, 0
	s_add_u32 s20, s20, 1
	s_addc_u32 s21, s21, 0
	s_cmp_lg_u32 s18, s4
	v_or_b32_e32 v11, v4, v11
	v_or_b32_e32 v12, v5, v12
	s_cbranch_scc1 .LBB11_1169
.LBB11_1170:                            ;   in Loop: Header=BB11_1160 Depth=1
	s_mov_b32 s22, 0
	s_mov_b64 s[4:5], s[6:7]
	s_cbranch_execnz .LBB11_1162
.LBB11_1171:                            ;   in Loop: Header=BB11_1160 Depth=1
	global_load_dwordx2 v[11:12], v6, s[6:7]
	s_add_i32 s22, s16, -8
	s_add_u32 s4, s6, 8
	s_addc_u32 s5, s7, 0
	s_cmp_gt_u32 s22, 7
	s_cbranch_scc0 .LBB11_1163
.LBB11_1172:                            ;   in Loop: Header=BB11_1160 Depth=1
                                        ; implicit-def: $vgpr13_vgpr14
                                        ; implicit-def: $sgpr23
.LBB11_1173:                            ;   in Loop: Header=BB11_1160 Depth=1
	global_load_dwordx2 v[13:14], v6, s[4:5]
	s_add_i32 s23, s22, -8
	s_add_u32 s4, s4, 8
	s_addc_u32 s5, s5, 0
.LBB11_1174:                            ;   in Loop: Header=BB11_1160 Depth=1
	s_cmp_gt_u32 s23, 7
	s_cbranch_scc1 .LBB11_1179
; %bb.1175:                             ;   in Loop: Header=BB11_1160 Depth=1
	v_mov_b32_e32 v15, 0
	v_mov_b32_e32 v16, 0
	s_cmp_eq_u32 s23, 0
	s_cbranch_scc1 .LBB11_1178
; %bb.1176:                             ;   in Loop: Header=BB11_1160 Depth=1
	s_mov_b64 s[18:19], 0
	s_mov_b64 s[20:21], 0
.LBB11_1177:                            ;   Parent Loop BB11_1160 Depth=1
                                        ; =>  This Inner Loop Header: Depth=2
	s_add_u32 s24, s4, s20
	s_addc_u32 s25, s5, s21
	s_add_u32 s20, s20, 1
	global_load_ubyte v4, v6, s[24:25]
	s_addc_u32 s21, s21, 0
	s_waitcnt vmcnt(0)
	v_and_b32_e32 v5, 0xffff, v4
	v_lshlrev_b64 v[4:5], s18, v[5:6]
	s_add_u32 s18, s18, 8
	s_addc_u32 s19, s19, 0
	s_cmp_lg_u32 s23, s20
	v_or_b32_e32 v15, v4, v15
	v_or_b32_e32 v16, v5, v16
	s_cbranch_scc1 .LBB11_1177
.LBB11_1178:                            ;   in Loop: Header=BB11_1160 Depth=1
	s_mov_b32 s22, 0
	s_cbranch_execz .LBB11_1180
	s_branch .LBB11_1181
.LBB11_1179:                            ;   in Loop: Header=BB11_1160 Depth=1
                                        ; implicit-def: $sgpr22
.LBB11_1180:                            ;   in Loop: Header=BB11_1160 Depth=1
	global_load_dwordx2 v[15:16], v6, s[4:5]
	s_add_i32 s22, s23, -8
	s_add_u32 s4, s4, 8
	s_addc_u32 s5, s5, 0
.LBB11_1181:                            ;   in Loop: Header=BB11_1160 Depth=1
	s_cmp_gt_u32 s22, 7
	s_cbranch_scc1 .LBB11_1186
; %bb.1182:                             ;   in Loop: Header=BB11_1160 Depth=1
	v_mov_b32_e32 v17, 0
	v_mov_b32_e32 v18, 0
	s_cmp_eq_u32 s22, 0
	s_cbranch_scc1 .LBB11_1185
; %bb.1183:                             ;   in Loop: Header=BB11_1160 Depth=1
	s_mov_b64 s[18:19], 0
	s_mov_b64 s[20:21], 0
.LBB11_1184:                            ;   Parent Loop BB11_1160 Depth=1
                                        ; =>  This Inner Loop Header: Depth=2
	s_add_u32 s24, s4, s20
	s_addc_u32 s25, s5, s21
	s_add_u32 s20, s20, 1
	global_load_ubyte v4, v6, s[24:25]
	s_addc_u32 s21, s21, 0
	s_waitcnt vmcnt(0)
	v_and_b32_e32 v5, 0xffff, v4
	v_lshlrev_b64 v[4:5], s18, v[5:6]
	s_add_u32 s18, s18, 8
	s_addc_u32 s19, s19, 0
	s_cmp_lg_u32 s22, s20
	v_or_b32_e32 v17, v4, v17
	v_or_b32_e32 v18, v5, v18
	s_cbranch_scc1 .LBB11_1184
.LBB11_1185:                            ;   in Loop: Header=BB11_1160 Depth=1
	s_mov_b32 s23, 0
	s_cbranch_execz .LBB11_1187
	s_branch .LBB11_1188
.LBB11_1186:                            ;   in Loop: Header=BB11_1160 Depth=1
                                        ; implicit-def: $vgpr17_vgpr18
                                        ; implicit-def: $sgpr23
.LBB11_1187:                            ;   in Loop: Header=BB11_1160 Depth=1
	global_load_dwordx2 v[17:18], v6, s[4:5]
	s_add_i32 s23, s22, -8
	s_add_u32 s4, s4, 8
	s_addc_u32 s5, s5, 0
.LBB11_1188:                            ;   in Loop: Header=BB11_1160 Depth=1
	s_cmp_gt_u32 s23, 7
	s_cbranch_scc1 .LBB11_1193
; %bb.1189:                             ;   in Loop: Header=BB11_1160 Depth=1
	v_mov_b32_e32 v19, 0
	v_mov_b32_e32 v20, 0
	s_cmp_eq_u32 s23, 0
	s_cbranch_scc1 .LBB11_1192
; %bb.1190:                             ;   in Loop: Header=BB11_1160 Depth=1
	s_mov_b64 s[18:19], 0
	s_mov_b64 s[20:21], 0
.LBB11_1191:                            ;   Parent Loop BB11_1160 Depth=1
                                        ; =>  This Inner Loop Header: Depth=2
	s_add_u32 s24, s4, s20
	s_addc_u32 s25, s5, s21
	s_add_u32 s20, s20, 1
	global_load_ubyte v4, v6, s[24:25]
	s_addc_u32 s21, s21, 0
	s_waitcnt vmcnt(0)
	v_and_b32_e32 v5, 0xffff, v4
	v_lshlrev_b64 v[4:5], s18, v[5:6]
	s_add_u32 s18, s18, 8
	s_addc_u32 s19, s19, 0
	s_cmp_lg_u32 s23, s20
	v_or_b32_e32 v19, v4, v19
	v_or_b32_e32 v20, v5, v20
	s_cbranch_scc1 .LBB11_1191
.LBB11_1192:                            ;   in Loop: Header=BB11_1160 Depth=1
	s_mov_b32 s22, 0
	s_cbranch_execz .LBB11_1194
	s_branch .LBB11_1195
.LBB11_1193:                            ;   in Loop: Header=BB11_1160 Depth=1
                                        ; implicit-def: $sgpr22
.LBB11_1194:                            ;   in Loop: Header=BB11_1160 Depth=1
	global_load_dwordx2 v[19:20], v6, s[4:5]
	s_add_i32 s22, s23, -8
	s_add_u32 s4, s4, 8
	s_addc_u32 s5, s5, 0
.LBB11_1195:                            ;   in Loop: Header=BB11_1160 Depth=1
	s_cmp_gt_u32 s22, 7
	s_cbranch_scc1 .LBB11_1200
; %bb.1196:                             ;   in Loop: Header=BB11_1160 Depth=1
	v_mov_b32_e32 v21, 0
	v_mov_b32_e32 v22, 0
	s_cmp_eq_u32 s22, 0
	s_cbranch_scc1 .LBB11_1199
; %bb.1197:                             ;   in Loop: Header=BB11_1160 Depth=1
	s_mov_b64 s[18:19], 0
	s_mov_b64 s[20:21], 0
.LBB11_1198:                            ;   Parent Loop BB11_1160 Depth=1
                                        ; =>  This Inner Loop Header: Depth=2
	s_add_u32 s24, s4, s20
	s_addc_u32 s25, s5, s21
	s_add_u32 s20, s20, 1
	global_load_ubyte v4, v6, s[24:25]
	s_addc_u32 s21, s21, 0
	s_waitcnt vmcnt(0)
	v_and_b32_e32 v5, 0xffff, v4
	v_lshlrev_b64 v[4:5], s18, v[5:6]
	s_add_u32 s18, s18, 8
	s_addc_u32 s19, s19, 0
	s_cmp_lg_u32 s22, s20
	v_or_b32_e32 v21, v4, v21
	v_or_b32_e32 v22, v5, v22
	s_cbranch_scc1 .LBB11_1198
.LBB11_1199:                            ;   in Loop: Header=BB11_1160 Depth=1
	s_mov_b32 s23, 0
	s_cbranch_execz .LBB11_1201
	s_branch .LBB11_1202
.LBB11_1200:                            ;   in Loop: Header=BB11_1160 Depth=1
                                        ; implicit-def: $vgpr21_vgpr22
                                        ; implicit-def: $sgpr23
.LBB11_1201:                            ;   in Loop: Header=BB11_1160 Depth=1
	global_load_dwordx2 v[21:22], v6, s[4:5]
	s_add_i32 s23, s22, -8
	s_add_u32 s4, s4, 8
	s_addc_u32 s5, s5, 0
.LBB11_1202:                            ;   in Loop: Header=BB11_1160 Depth=1
	s_cmp_gt_u32 s23, 7
	s_cbranch_scc1 .LBB11_1207
; %bb.1203:                             ;   in Loop: Header=BB11_1160 Depth=1
	v_mov_b32_e32 v23, 0
	v_mov_b32_e32 v24, 0
	s_cmp_eq_u32 s23, 0
	s_cbranch_scc1 .LBB11_1206
; %bb.1204:                             ;   in Loop: Header=BB11_1160 Depth=1
	s_mov_b64 s[18:19], 0
	s_mov_b64 s[20:21], s[4:5]
.LBB11_1205:                            ;   Parent Loop BB11_1160 Depth=1
                                        ; =>  This Inner Loop Header: Depth=2
	global_load_ubyte v4, v6, s[20:21]
	s_add_i32 s23, s23, -1
	s_waitcnt vmcnt(0)
	v_and_b32_e32 v5, 0xffff, v4
	v_lshlrev_b64 v[4:5], s18, v[5:6]
	s_add_u32 s18, s18, 8
	s_addc_u32 s19, s19, 0
	s_add_u32 s20, s20, 1
	s_addc_u32 s21, s21, 0
	s_cmp_lg_u32 s23, 0
	v_or_b32_e32 v23, v4, v23
	v_or_b32_e32 v24, v5, v24
	s_cbranch_scc1 .LBB11_1205
.LBB11_1206:                            ;   in Loop: Header=BB11_1160 Depth=1
	s_cbranch_execz .LBB11_1208
	s_branch .LBB11_1209
.LBB11_1207:                            ;   in Loop: Header=BB11_1160 Depth=1
.LBB11_1208:                            ;   in Loop: Header=BB11_1160 Depth=1
	global_load_dwordx2 v[23:24], v6, s[4:5]
.LBB11_1209:                            ;   in Loop: Header=BB11_1160 Depth=1
	v_readfirstlane_b32 s4, v69
	s_waitcnt vmcnt(0)
	v_mov_b32_e32 v4, 0
	v_mov_b32_e32 v5, 0
	v_cmp_eq_u32_e64 s4, s4, v69
	s_and_saveexec_b32 s5, s4
	s_cbranch_execz .LBB11_1215
; %bb.1210:                             ;   in Loop: Header=BB11_1160 Depth=1
	global_load_dwordx2 v[27:28], v6, s[40:41] offset:24 glc dlc
	s_waitcnt vmcnt(0)
	buffer_gl1_inv
	buffer_gl0_inv
	s_clause 0x1
	global_load_dwordx2 v[4:5], v6, s[40:41] offset:40
	global_load_dwordx2 v[9:10], v6, s[40:41]
	s_mov_b32 s18, exec_lo
	s_waitcnt vmcnt(1)
	v_and_b32_e32 v5, v5, v28
	v_and_b32_e32 v4, v4, v27
	v_mul_lo_u32 v5, v5, 24
	v_mul_hi_u32 v25, v4, 24
	v_mul_lo_u32 v4, v4, 24
	v_add_nc_u32_e32 v5, v25, v5
	s_waitcnt vmcnt(0)
	v_add_co_u32 v4, vcc_lo, v9, v4
	v_add_co_ci_u32_e32 v5, vcc_lo, v10, v5, vcc_lo
	global_load_dwordx2 v[25:26], v[4:5], off glc dlc
	s_waitcnt vmcnt(0)
	global_atomic_cmpswap_x2 v[4:5], v6, v[25:28], s[40:41] offset:24 glc
	s_waitcnt vmcnt(0)
	buffer_gl1_inv
	buffer_gl0_inv
	v_cmpx_ne_u64_e64 v[4:5], v[27:28]
	s_cbranch_execz .LBB11_1214
; %bb.1211:                             ;   in Loop: Header=BB11_1160 Depth=1
	s_mov_b32 s19, 0
	.p2align	6
.LBB11_1212:                            ;   Parent Loop BB11_1160 Depth=1
                                        ; =>  This Inner Loop Header: Depth=2
	s_sleep 1
	s_clause 0x1
	global_load_dwordx2 v[9:10], v6, s[40:41] offset:40
	global_load_dwordx2 v[25:26], v6, s[40:41]
	v_mov_b32_e32 v28, v5
	v_mov_b32_e32 v27, v4
	s_waitcnt vmcnt(1)
	v_and_b32_e32 v4, v9, v27
	v_and_b32_e32 v9, v10, v28
	s_waitcnt vmcnt(0)
	v_mad_u64_u32 v[4:5], null, v4, 24, v[25:26]
	v_mad_u64_u32 v[9:10], null, v9, 24, v[5:6]
	v_mov_b32_e32 v5, v9
	global_load_dwordx2 v[25:26], v[4:5], off glc dlc
	s_waitcnt vmcnt(0)
	global_atomic_cmpswap_x2 v[4:5], v6, v[25:28], s[40:41] offset:24 glc
	s_waitcnt vmcnt(0)
	buffer_gl1_inv
	buffer_gl0_inv
	v_cmp_eq_u64_e32 vcc_lo, v[4:5], v[27:28]
	s_or_b32 s19, vcc_lo, s19
	s_andn2_b32 exec_lo, exec_lo, s19
	s_cbranch_execnz .LBB11_1212
; %bb.1213:                             ;   in Loop: Header=BB11_1160 Depth=1
	s_or_b32 exec_lo, exec_lo, s19
.LBB11_1214:                            ;   in Loop: Header=BB11_1160 Depth=1
	s_or_b32 exec_lo, exec_lo, s18
.LBB11_1215:                            ;   in Loop: Header=BB11_1160 Depth=1
	s_or_b32 exec_lo, exec_lo, s5
	s_clause 0x1
	global_load_dwordx2 v[9:10], v6, s[40:41] offset:40
	global_load_dwordx4 v[25:28], v6, s[40:41]
	v_readfirstlane_b32 s18, v4
	v_readfirstlane_b32 s19, v5
	s_mov_b32 s5, exec_lo
	s_waitcnt vmcnt(1)
	v_readfirstlane_b32 s20, v9
	v_readfirstlane_b32 s21, v10
	s_and_b64 s[20:21], s[18:19], s[20:21]
	s_mul_i32 s22, s21, 24
	s_mul_hi_u32 s23, s20, 24
	s_mul_i32 s24, s20, 24
	s_add_i32 s23, s23, s22
	s_waitcnt vmcnt(0)
	v_add_co_u32 v29, vcc_lo, v25, s24
	v_add_co_ci_u32_e32 v30, vcc_lo, s23, v26, vcc_lo
	s_and_saveexec_b32 s22, s4
	s_cbranch_execz .LBB11_1217
; %bb.1216:                             ;   in Loop: Header=BB11_1160 Depth=1
	v_mov_b32_e32 v5, s5
	global_store_dwordx4 v[29:30], v[5:8], off offset:8
.LBB11_1217:                            ;   in Loop: Header=BB11_1160 Depth=1
	s_or_b32 exec_lo, exec_lo, s22
	s_lshl_b64 s[20:21], s[20:21], 12
	v_cmp_gt_u64_e64 vcc_lo, s[10:11], 56
	v_or_b32_e32 v5, v2, v31
	v_add_co_u32 v27, s5, v27, s20
	v_add_co_ci_u32_e64 v28, s5, s21, v28, s5
	s_lshl_b32 s5, s16, 2
	v_or_b32_e32 v4, 0, v3
	v_cndmask_b32_e32 v2, v5, v2, vcc_lo
	s_add_i32 s5, s5, 28
	v_readfirstlane_b32 s20, v27
	s_and_b32 s5, s5, 0x1e0
	v_cndmask_b32_e32 v10, v4, v3, vcc_lo
	v_readfirstlane_b32 s21, v28
	v_and_or_b32 v9, 0xffffff1f, v2, s5
	global_store_dwordx4 v68, v[9:12], s[20:21]
	global_store_dwordx4 v68, v[13:16], s[20:21] offset:16
	global_store_dwordx4 v68, v[17:20], s[20:21] offset:32
	;; [unrolled: 1-line block ×3, first 2 shown]
	s_and_saveexec_b32 s5, s4
	s_cbranch_execz .LBB11_1225
; %bb.1218:                             ;   in Loop: Header=BB11_1160 Depth=1
	s_clause 0x1
	global_load_dwordx2 v[13:14], v6, s[40:41] offset:32 glc dlc
	global_load_dwordx2 v[2:3], v6, s[40:41] offset:40
	v_mov_b32_e32 v11, s18
	v_mov_b32_e32 v12, s19
	s_waitcnt vmcnt(0)
	v_readfirstlane_b32 s20, v2
	v_readfirstlane_b32 s21, v3
	s_and_b64 s[20:21], s[20:21], s[18:19]
	s_mul_i32 s21, s21, 24
	s_mul_hi_u32 s22, s20, 24
	s_mul_i32 s20, s20, 24
	s_add_i32 s22, s22, s21
	v_add_co_u32 v9, vcc_lo, v25, s20
	v_add_co_ci_u32_e32 v10, vcc_lo, s22, v26, vcc_lo
	s_mov_b32 s20, exec_lo
	global_store_dwordx2 v[9:10], v[13:14], off
	s_waitcnt_vscnt null, 0x0
	global_atomic_cmpswap_x2 v[4:5], v6, v[11:14], s[40:41] offset:32 glc
	s_waitcnt vmcnt(0)
	v_cmpx_ne_u64_e64 v[4:5], v[13:14]
	s_cbranch_execz .LBB11_1221
; %bb.1219:                             ;   in Loop: Header=BB11_1160 Depth=1
	s_mov_b32 s21, 0
.LBB11_1220:                            ;   Parent Loop BB11_1160 Depth=1
                                        ; =>  This Inner Loop Header: Depth=2
	v_mov_b32_e32 v2, s18
	v_mov_b32_e32 v3, s19
	s_sleep 1
	global_store_dwordx2 v[9:10], v[4:5], off
	s_waitcnt_vscnt null, 0x0
	global_atomic_cmpswap_x2 v[2:3], v6, v[2:5], s[40:41] offset:32 glc
	s_waitcnt vmcnt(0)
	v_cmp_eq_u64_e32 vcc_lo, v[2:3], v[4:5]
	v_mov_b32_e32 v5, v3
	v_mov_b32_e32 v4, v2
	s_or_b32 s21, vcc_lo, s21
	s_andn2_b32 exec_lo, exec_lo, s21
	s_cbranch_execnz .LBB11_1220
.LBB11_1221:                            ;   in Loop: Header=BB11_1160 Depth=1
	s_or_b32 exec_lo, exec_lo, s20
	global_load_dwordx2 v[2:3], v6, s[40:41] offset:16
	s_mov_b32 s21, exec_lo
	s_mov_b32 s20, exec_lo
	v_mbcnt_lo_u32_b32 v4, s21, 0
	v_cmpx_eq_u32_e32 0, v4
	s_cbranch_execz .LBB11_1223
; %bb.1222:                             ;   in Loop: Header=BB11_1160 Depth=1
	s_bcnt1_i32_b32 s21, s21
	v_mov_b32_e32 v5, s21
	s_waitcnt vmcnt(0)
	global_atomic_add_x2 v[2:3], v[5:6], off offset:8
.LBB11_1223:                            ;   in Loop: Header=BB11_1160 Depth=1
	s_or_b32 exec_lo, exec_lo, s20
	s_waitcnt vmcnt(0)
	global_load_dwordx2 v[9:10], v[2:3], off offset:16
	s_waitcnt vmcnt(0)
	v_cmp_eq_u64_e32 vcc_lo, 0, v[9:10]
	s_cbranch_vccnz .LBB11_1225
; %bb.1224:                             ;   in Loop: Header=BB11_1160 Depth=1
	global_load_dword v5, v[2:3], off offset:24
	s_waitcnt vmcnt(0)
	v_and_b32_e32 v2, 0x7fffff, v5
	s_waitcnt_vscnt null, 0x0
	global_store_dwordx2 v[9:10], v[5:6], off
	v_readfirstlane_b32 m0, v2
	s_sendmsg sendmsg(MSG_INTERRUPT)
.LBB11_1225:                            ;   in Loop: Header=BB11_1160 Depth=1
	s_or_b32 exec_lo, exec_lo, s5
	v_add_co_u32 v2, vcc_lo, v27, v68
	v_add_co_ci_u32_e32 v3, vcc_lo, 0, v28, vcc_lo
	s_branch .LBB11_1229
	.p2align	6
.LBB11_1226:                            ;   in Loop: Header=BB11_1229 Depth=2
	s_or_b32 exec_lo, exec_lo, s5
	v_readfirstlane_b32 s5, v4
	s_cmp_eq_u32 s5, 0
	s_cbranch_scc1 .LBB11_1228
; %bb.1227:                             ;   in Loop: Header=BB11_1229 Depth=2
	s_sleep 1
	s_cbranch_execnz .LBB11_1229
	s_branch .LBB11_1231
	.p2align	6
.LBB11_1228:                            ;   in Loop: Header=BB11_1160 Depth=1
	s_branch .LBB11_1231
.LBB11_1229:                            ;   Parent Loop BB11_1160 Depth=1
                                        ; =>  This Inner Loop Header: Depth=2
	v_mov_b32_e32 v4, 1
	s_and_saveexec_b32 s5, s4
	s_cbranch_execz .LBB11_1226
; %bb.1230:                             ;   in Loop: Header=BB11_1229 Depth=2
	global_load_dword v4, v[29:30], off offset:20 glc dlc
	s_waitcnt vmcnt(0)
	buffer_gl1_inv
	buffer_gl0_inv
	v_and_b32_e32 v4, 1, v4
	s_branch .LBB11_1226
.LBB11_1231:                            ;   in Loop: Header=BB11_1160 Depth=1
	global_load_dwordx4 v[2:5], v[2:3], off
	s_and_saveexec_b32 s5, s4
	s_cbranch_execz .LBB11_1159
; %bb.1232:                             ;   in Loop: Header=BB11_1160 Depth=1
	s_clause 0x2
	global_load_dwordx2 v[4:5], v6, s[40:41] offset:40
	global_load_dwordx2 v[13:14], v6, s[40:41] offset:24 glc dlc
	global_load_dwordx2 v[11:12], v6, s[40:41]
	s_waitcnt vmcnt(2)
	v_add_co_u32 v15, vcc_lo, v4, 1
	v_add_co_ci_u32_e32 v16, vcc_lo, 0, v5, vcc_lo
	v_add_co_u32 v9, vcc_lo, v15, s18
	v_add_co_ci_u32_e32 v10, vcc_lo, s19, v16, vcc_lo
	v_cmp_eq_u64_e32 vcc_lo, 0, v[9:10]
	v_cndmask_b32_e32 v10, v10, v16, vcc_lo
	v_cndmask_b32_e32 v9, v9, v15, vcc_lo
	v_and_b32_e32 v5, v10, v5
	v_and_b32_e32 v4, v9, v4
	v_mul_lo_u32 v5, v5, 24
	v_mul_hi_u32 v15, v4, 24
	v_mul_lo_u32 v4, v4, 24
	v_add_nc_u32_e32 v5, v15, v5
	s_waitcnt vmcnt(0)
	v_add_co_u32 v4, vcc_lo, v11, v4
	v_mov_b32_e32 v11, v13
	v_add_co_ci_u32_e32 v5, vcc_lo, v12, v5, vcc_lo
	v_mov_b32_e32 v12, v14
	global_store_dwordx2 v[4:5], v[13:14], off
	s_waitcnt_vscnt null, 0x0
	global_atomic_cmpswap_x2 v[11:12], v6, v[9:12], s[40:41] offset:24 glc
	s_waitcnt vmcnt(0)
	v_cmp_ne_u64_e32 vcc_lo, v[11:12], v[13:14]
	s_and_b32 exec_lo, exec_lo, vcc_lo
	s_cbranch_execz .LBB11_1159
; %bb.1233:                             ;   in Loop: Header=BB11_1160 Depth=1
	s_mov_b32 s4, 0
.LBB11_1234:                            ;   Parent Loop BB11_1160 Depth=1
                                        ; =>  This Inner Loop Header: Depth=2
	s_sleep 1
	global_store_dwordx2 v[4:5], v[11:12], off
	s_waitcnt_vscnt null, 0x0
	global_atomic_cmpswap_x2 v[13:14], v6, v[9:12], s[40:41] offset:24 glc
	s_waitcnt vmcnt(0)
	v_cmp_eq_u64_e32 vcc_lo, v[13:14], v[11:12]
	v_mov_b32_e32 v11, v13
	v_mov_b32_e32 v12, v14
	s_or_b32 s4, vcc_lo, s4
	s_andn2_b32 exec_lo, exec_lo, s4
	s_cbranch_execnz .LBB11_1234
	s_branch .LBB11_1159
.LBB11_1235:
	s_branch .LBB11_1264
.LBB11_1236:
                                        ; implicit-def: $vgpr2_vgpr3
	s_cbranch_execz .LBB11_1264
; %bb.1237:
	v_readfirstlane_b32 s4, v69
	v_mov_b32_e32 v8, 0
	v_mov_b32_e32 v9, 0
	v_cmp_eq_u32_e64 s4, s4, v69
	s_and_saveexec_b32 s5, s4
	s_cbranch_execz .LBB11_1243
; %bb.1238:
	s_waitcnt vmcnt(0)
	v_mov_b32_e32 v2, 0
	s_mov_b32 s6, exec_lo
	global_load_dwordx2 v[5:6], v2, s[40:41] offset:24 glc dlc
	s_waitcnt vmcnt(0)
	buffer_gl1_inv
	buffer_gl0_inv
	s_clause 0x1
	global_load_dwordx2 v[3:4], v2, s[40:41] offset:40
	global_load_dwordx2 v[7:8], v2, s[40:41]
	s_waitcnt vmcnt(1)
	v_and_b32_e32 v4, v4, v6
	v_and_b32_e32 v3, v3, v5
	v_mul_lo_u32 v4, v4, 24
	v_mul_hi_u32 v9, v3, 24
	v_mul_lo_u32 v3, v3, 24
	v_add_nc_u32_e32 v4, v9, v4
	s_waitcnt vmcnt(0)
	v_add_co_u32 v3, vcc_lo, v7, v3
	v_add_co_ci_u32_e32 v4, vcc_lo, v8, v4, vcc_lo
	global_load_dwordx2 v[3:4], v[3:4], off glc dlc
	s_waitcnt vmcnt(0)
	global_atomic_cmpswap_x2 v[8:9], v2, v[3:6], s[40:41] offset:24 glc
	s_waitcnt vmcnt(0)
	buffer_gl1_inv
	buffer_gl0_inv
	v_cmpx_ne_u64_e64 v[8:9], v[5:6]
	s_cbranch_execz .LBB11_1242
; %bb.1239:
	s_mov_b32 s7, 0
	.p2align	6
.LBB11_1240:                            ; =>This Inner Loop Header: Depth=1
	s_sleep 1
	s_clause 0x1
	global_load_dwordx2 v[3:4], v2, s[40:41] offset:40
	global_load_dwordx2 v[10:11], v2, s[40:41]
	v_mov_b32_e32 v5, v8
	v_mov_b32_e32 v6, v9
	s_waitcnt vmcnt(1)
	v_and_b32_e32 v3, v3, v5
	v_and_b32_e32 v4, v4, v6
	s_waitcnt vmcnt(0)
	v_mad_u64_u32 v[7:8], null, v3, 24, v[10:11]
	v_mov_b32_e32 v3, v8
	v_mad_u64_u32 v[3:4], null, v4, 24, v[3:4]
	v_mov_b32_e32 v8, v3
	global_load_dwordx2 v[3:4], v[7:8], off glc dlc
	s_waitcnt vmcnt(0)
	global_atomic_cmpswap_x2 v[8:9], v2, v[3:6], s[40:41] offset:24 glc
	s_waitcnt vmcnt(0)
	buffer_gl1_inv
	buffer_gl0_inv
	v_cmp_eq_u64_e32 vcc_lo, v[8:9], v[5:6]
	s_or_b32 s7, vcc_lo, s7
	s_andn2_b32 exec_lo, exec_lo, s7
	s_cbranch_execnz .LBB11_1240
; %bb.1241:
	s_or_b32 exec_lo, exec_lo, s7
.LBB11_1242:
	s_or_b32 exec_lo, exec_lo, s6
.LBB11_1243:
	s_or_b32 exec_lo, exec_lo, s5
	s_waitcnt vmcnt(0)
	v_mov_b32_e32 v2, 0
	v_readfirstlane_b32 s6, v8
	v_readfirstlane_b32 s7, v9
	s_mov_b32 s5, exec_lo
	s_clause 0x1
	global_load_dwordx2 v[10:11], v2, s[40:41] offset:40
	global_load_dwordx4 v[4:7], v2, s[40:41]
	s_waitcnt vmcnt(1)
	v_readfirstlane_b32 s10, v10
	v_readfirstlane_b32 s11, v11
	s_and_b64 s[10:11], s[6:7], s[10:11]
	s_mul_i32 s16, s11, 24
	s_mul_hi_u32 s17, s10, 24
	s_mul_i32 s18, s10, 24
	s_add_i32 s17, s17, s16
	s_waitcnt vmcnt(0)
	v_add_co_u32 v8, vcc_lo, v4, s18
	v_add_co_ci_u32_e32 v9, vcc_lo, s17, v5, vcc_lo
	s_and_saveexec_b32 s16, s4
	s_cbranch_execz .LBB11_1245
; %bb.1244:
	v_mov_b32_e32 v10, s5
	v_mov_b32_e32 v11, v2
	;; [unrolled: 1-line block ×4, first 2 shown]
	global_store_dwordx4 v[8:9], v[10:13], off offset:8
.LBB11_1245:
	s_or_b32 exec_lo, exec_lo, s16
	s_lshl_b64 s[10:11], s[10:11], 12
	s_mov_b32 s16, 0
	v_add_co_u32 v6, vcc_lo, v6, s10
	v_add_co_ci_u32_e32 v7, vcc_lo, s11, v7, vcc_lo
	s_mov_b32 s17, s16
	v_readfirstlane_b32 s10, v6
	v_add_co_u32 v6, vcc_lo, v6, v68
	s_mov_b32 s18, s16
	s_mov_b32 s19, s16
	v_and_or_b32 v0, 0xffffff1f, v0, 32
	v_mov_b32_e32 v3, v2
	v_readfirstlane_b32 s11, v7
	v_mov_b32_e32 v10, s16
	v_add_co_ci_u32_e32 v7, vcc_lo, 0, v7, vcc_lo
	v_mov_b32_e32 v11, s17
	v_mov_b32_e32 v12, s18
	;; [unrolled: 1-line block ×3, first 2 shown]
	global_store_dwordx4 v68, v[0:3], s[10:11]
	global_store_dwordx4 v68, v[10:13], s[10:11] offset:16
	global_store_dwordx4 v68, v[10:13], s[10:11] offset:32
	;; [unrolled: 1-line block ×3, first 2 shown]
	s_and_saveexec_b32 s5, s4
	s_cbranch_execz .LBB11_1253
; %bb.1246:
	v_mov_b32_e32 v10, 0
	v_mov_b32_e32 v11, s6
	;; [unrolled: 1-line block ×3, first 2 shown]
	s_clause 0x1
	global_load_dwordx2 v[13:14], v10, s[40:41] offset:32 glc dlc
	global_load_dwordx2 v[0:1], v10, s[40:41] offset:40
	s_waitcnt vmcnt(0)
	v_readfirstlane_b32 s10, v0
	v_readfirstlane_b32 s11, v1
	s_and_b64 s[10:11], s[10:11], s[6:7]
	s_mul_i32 s11, s11, 24
	s_mul_hi_u32 s16, s10, 24
	s_mul_i32 s10, s10, 24
	s_add_i32 s16, s16, s11
	v_add_co_u32 v4, vcc_lo, v4, s10
	v_add_co_ci_u32_e32 v5, vcc_lo, s16, v5, vcc_lo
	s_mov_b32 s10, exec_lo
	global_store_dwordx2 v[4:5], v[13:14], off
	s_waitcnt_vscnt null, 0x0
	global_atomic_cmpswap_x2 v[2:3], v10, v[11:14], s[40:41] offset:32 glc
	s_waitcnt vmcnt(0)
	v_cmpx_ne_u64_e64 v[2:3], v[13:14]
	s_cbranch_execz .LBB11_1249
; %bb.1247:
	s_mov_b32 s11, 0
.LBB11_1248:                            ; =>This Inner Loop Header: Depth=1
	v_mov_b32_e32 v0, s6
	v_mov_b32_e32 v1, s7
	s_sleep 1
	global_store_dwordx2 v[4:5], v[2:3], off
	s_waitcnt_vscnt null, 0x0
	global_atomic_cmpswap_x2 v[0:1], v10, v[0:3], s[40:41] offset:32 glc
	s_waitcnt vmcnt(0)
	v_cmp_eq_u64_e32 vcc_lo, v[0:1], v[2:3]
	v_mov_b32_e32 v3, v1
	v_mov_b32_e32 v2, v0
	s_or_b32 s11, vcc_lo, s11
	s_andn2_b32 exec_lo, exec_lo, s11
	s_cbranch_execnz .LBB11_1248
.LBB11_1249:
	s_or_b32 exec_lo, exec_lo, s10
	v_mov_b32_e32 v3, 0
	s_mov_b32 s11, exec_lo
	s_mov_b32 s10, exec_lo
	v_mbcnt_lo_u32_b32 v2, s11, 0
	global_load_dwordx2 v[0:1], v3, s[40:41] offset:16
	v_cmpx_eq_u32_e32 0, v2
	s_cbranch_execz .LBB11_1251
; %bb.1250:
	s_bcnt1_i32_b32 s11, s11
	v_mov_b32_e32 v2, s11
	s_waitcnt vmcnt(0)
	global_atomic_add_x2 v[0:1], v[2:3], off offset:8
.LBB11_1251:
	s_or_b32 exec_lo, exec_lo, s10
	s_waitcnt vmcnt(0)
	global_load_dwordx2 v[2:3], v[0:1], off offset:16
	s_waitcnt vmcnt(0)
	v_cmp_eq_u64_e32 vcc_lo, 0, v[2:3]
	s_cbranch_vccnz .LBB11_1253
; %bb.1252:
	global_load_dword v0, v[0:1], off offset:24
	v_mov_b32_e32 v1, 0
	s_waitcnt vmcnt(0)
	v_and_b32_e32 v4, 0x7fffff, v0
	s_waitcnt_vscnt null, 0x0
	global_store_dwordx2 v[2:3], v[0:1], off
	v_readfirstlane_b32 m0, v4
	s_sendmsg sendmsg(MSG_INTERRUPT)
.LBB11_1253:
	s_or_b32 exec_lo, exec_lo, s5
	s_branch .LBB11_1257
	.p2align	6
.LBB11_1254:                            ;   in Loop: Header=BB11_1257 Depth=1
	s_or_b32 exec_lo, exec_lo, s5
	v_readfirstlane_b32 s5, v0
	s_cmp_eq_u32 s5, 0
	s_cbranch_scc1 .LBB11_1256
; %bb.1255:                             ;   in Loop: Header=BB11_1257 Depth=1
	s_sleep 1
	s_cbranch_execnz .LBB11_1257
	s_branch .LBB11_1259
	.p2align	6
.LBB11_1256:
	s_branch .LBB11_1259
.LBB11_1257:                            ; =>This Inner Loop Header: Depth=1
	v_mov_b32_e32 v0, 1
	s_and_saveexec_b32 s5, s4
	s_cbranch_execz .LBB11_1254
; %bb.1258:                             ;   in Loop: Header=BB11_1257 Depth=1
	global_load_dword v0, v[8:9], off offset:20 glc dlc
	s_waitcnt vmcnt(0)
	buffer_gl1_inv
	buffer_gl0_inv
	v_and_b32_e32 v0, 1, v0
	s_branch .LBB11_1254
.LBB11_1259:
	global_load_dwordx2 v[2:3], v[6:7], off
	s_and_saveexec_b32 s5, s4
	s_cbranch_execz .LBB11_1263
; %bb.1260:
	v_mov_b32_e32 v8, 0
	s_clause 0x2
	global_load_dwordx2 v[0:1], v8, s[40:41] offset:40
	global_load_dwordx2 v[9:10], v8, s[40:41] offset:24 glc dlc
	global_load_dwordx2 v[6:7], v8, s[40:41]
	s_waitcnt vmcnt(2)
	v_add_co_u32 v11, vcc_lo, v0, 1
	v_add_co_ci_u32_e32 v12, vcc_lo, 0, v1, vcc_lo
	v_add_co_u32 v4, vcc_lo, v11, s6
	v_add_co_ci_u32_e32 v5, vcc_lo, s7, v12, vcc_lo
	v_cmp_eq_u64_e32 vcc_lo, 0, v[4:5]
	v_cndmask_b32_e32 v5, v5, v12, vcc_lo
	v_cndmask_b32_e32 v4, v4, v11, vcc_lo
	v_and_b32_e32 v1, v5, v1
	v_and_b32_e32 v0, v4, v0
	v_mul_lo_u32 v1, v1, 24
	v_mul_hi_u32 v11, v0, 24
	v_mul_lo_u32 v0, v0, 24
	v_add_nc_u32_e32 v1, v11, v1
	s_waitcnt vmcnt(0)
	v_add_co_u32 v0, vcc_lo, v6, v0
	v_mov_b32_e32 v6, v9
	v_add_co_ci_u32_e32 v1, vcc_lo, v7, v1, vcc_lo
	v_mov_b32_e32 v7, v10
	global_store_dwordx2 v[0:1], v[9:10], off
	s_waitcnt_vscnt null, 0x0
	global_atomic_cmpswap_x2 v[6:7], v8, v[4:7], s[40:41] offset:24 glc
	s_waitcnt vmcnt(0)
	v_cmp_ne_u64_e32 vcc_lo, v[6:7], v[9:10]
	s_and_b32 exec_lo, exec_lo, vcc_lo
	s_cbranch_execz .LBB11_1263
; %bb.1261:
	s_mov_b32 s4, 0
.LBB11_1262:                            ; =>This Inner Loop Header: Depth=1
	s_sleep 1
	global_store_dwordx2 v[0:1], v[6:7], off
	s_waitcnt_vscnt null, 0x0
	global_atomic_cmpswap_x2 v[9:10], v8, v[4:7], s[40:41] offset:24 glc
	s_waitcnt vmcnt(0)
	v_cmp_eq_u64_e32 vcc_lo, v[9:10], v[6:7]
	v_mov_b32_e32 v6, v9
	v_mov_b32_e32 v7, v10
	s_or_b32 s4, vcc_lo, s4
	s_andn2_b32 exec_lo, exec_lo, s4
	s_cbranch_execnz .LBB11_1262
.LBB11_1263:
	s_or_b32 exec_lo, exec_lo, s5
.LBB11_1264:
	v_readfirstlane_b32 s4, v69
	s_waitcnt vmcnt(0)
	v_mov_b32_e32 v0, 0
	v_mov_b32_e32 v1, 0
	v_cmp_eq_u32_e64 s4, s4, v69
	s_and_saveexec_b32 s5, s4
	s_cbranch_execz .LBB11_1270
; %bb.1265:
	v_mov_b32_e32 v4, 0
	s_mov_b32 s6, exec_lo
	global_load_dwordx2 v[7:8], v4, s[40:41] offset:24 glc dlc
	s_waitcnt vmcnt(0)
	buffer_gl1_inv
	buffer_gl0_inv
	s_clause 0x1
	global_load_dwordx2 v[0:1], v4, s[40:41] offset:40
	global_load_dwordx2 v[5:6], v4, s[40:41]
	s_waitcnt vmcnt(1)
	v_and_b32_e32 v1, v1, v8
	v_and_b32_e32 v0, v0, v7
	v_mul_lo_u32 v1, v1, 24
	v_mul_hi_u32 v9, v0, 24
	v_mul_lo_u32 v0, v0, 24
	v_add_nc_u32_e32 v1, v9, v1
	s_waitcnt vmcnt(0)
	v_add_co_u32 v0, vcc_lo, v5, v0
	v_add_co_ci_u32_e32 v1, vcc_lo, v6, v1, vcc_lo
	global_load_dwordx2 v[5:6], v[0:1], off glc dlc
	s_waitcnt vmcnt(0)
	global_atomic_cmpswap_x2 v[0:1], v4, v[5:8], s[40:41] offset:24 glc
	s_waitcnt vmcnt(0)
	buffer_gl1_inv
	buffer_gl0_inv
	v_cmpx_ne_u64_e64 v[0:1], v[7:8]
	s_cbranch_execz .LBB11_1269
; %bb.1266:
	s_mov_b32 s7, 0
	.p2align	6
.LBB11_1267:                            ; =>This Inner Loop Header: Depth=1
	s_sleep 1
	s_clause 0x1
	global_load_dwordx2 v[5:6], v4, s[40:41] offset:40
	global_load_dwordx2 v[9:10], v4, s[40:41]
	v_mov_b32_e32 v8, v1
	v_mov_b32_e32 v7, v0
	s_waitcnt vmcnt(1)
	v_and_b32_e32 v0, v5, v7
	v_and_b32_e32 v5, v6, v8
	s_waitcnt vmcnt(0)
	v_mad_u64_u32 v[0:1], null, v0, 24, v[9:10]
	v_mad_u64_u32 v[5:6], null, v5, 24, v[1:2]
	v_mov_b32_e32 v1, v5
	global_load_dwordx2 v[5:6], v[0:1], off glc dlc
	s_waitcnt vmcnt(0)
	global_atomic_cmpswap_x2 v[0:1], v4, v[5:8], s[40:41] offset:24 glc
	s_waitcnt vmcnt(0)
	buffer_gl1_inv
	buffer_gl0_inv
	v_cmp_eq_u64_e32 vcc_lo, v[0:1], v[7:8]
	s_or_b32 s7, vcc_lo, s7
	s_andn2_b32 exec_lo, exec_lo, s7
	s_cbranch_execnz .LBB11_1267
; %bb.1268:
	s_or_b32 exec_lo, exec_lo, s7
.LBB11_1269:
	s_or_b32 exec_lo, exec_lo, s6
.LBB11_1270:
	s_or_b32 exec_lo, exec_lo, s5
	v_mov_b32_e32 v5, 0
	v_readfirstlane_b32 s6, v0
	v_readfirstlane_b32 s7, v1
	s_mov_b32 s5, exec_lo
	s_clause 0x1
	global_load_dwordx2 v[10:11], v5, s[40:41] offset:40
	global_load_dwordx4 v[6:9], v5, s[40:41]
	s_waitcnt vmcnt(1)
	v_readfirstlane_b32 s10, v10
	v_readfirstlane_b32 s11, v11
	s_and_b64 s[10:11], s[6:7], s[10:11]
	s_mul_i32 s16, s11, 24
	s_mul_hi_u32 s17, s10, 24
	s_mul_i32 s18, s10, 24
	s_add_i32 s17, s17, s16
	s_waitcnt vmcnt(0)
	v_add_co_u32 v10, vcc_lo, v6, s18
	v_add_co_ci_u32_e32 v11, vcc_lo, s17, v7, vcc_lo
	s_and_saveexec_b32 s16, s4
	s_cbranch_execz .LBB11_1272
; %bb.1271:
	v_mov_b32_e32 v4, s5
	v_mov_b32_e32 v13, v5
	;; [unrolled: 1-line block ×5, first 2 shown]
	global_store_dwordx4 v[10:11], v[12:15], off offset:8
.LBB11_1272:
	s_or_b32 exec_lo, exec_lo, s16
	s_lshl_b64 s[10:11], s[10:11], 12
	s_mov_b32 s16, 0
	v_add_co_u32 v0, vcc_lo, v8, s10
	v_add_co_ci_u32_e32 v1, vcc_lo, s11, v9, vcc_lo
	s_mov_b32 s17, s16
	s_mov_b32 s18, s16
	;; [unrolled: 1-line block ×3, first 2 shown]
	v_and_or_b32 v2, 0xffffff1d, v2, 34
	v_mov_b32_e32 v4, 10
	v_readfirstlane_b32 s10, v0
	v_readfirstlane_b32 s11, v1
	v_mov_b32_e32 v12, s16
	v_mov_b32_e32 v13, s17
	;; [unrolled: 1-line block ×4, first 2 shown]
	global_store_dwordx4 v68, v[2:5], s[10:11]
	global_store_dwordx4 v68, v[12:15], s[10:11] offset:16
	global_store_dwordx4 v68, v[12:15], s[10:11] offset:32
	global_store_dwordx4 v68, v[12:15], s[10:11] offset:48
	s_and_saveexec_b32 s5, s4
	s_cbranch_execz .LBB11_1280
; %bb.1273:
	v_mov_b32_e32 v8, 0
	v_mov_b32_e32 v12, s6
	;; [unrolled: 1-line block ×3, first 2 shown]
	s_clause 0x1
	global_load_dwordx2 v[14:15], v8, s[40:41] offset:32 glc dlc
	global_load_dwordx2 v[0:1], v8, s[40:41] offset:40
	s_waitcnt vmcnt(0)
	v_readfirstlane_b32 s10, v0
	v_readfirstlane_b32 s11, v1
	s_and_b64 s[10:11], s[10:11], s[6:7]
	s_mul_i32 s11, s11, 24
	s_mul_hi_u32 s16, s10, 24
	s_mul_i32 s10, s10, 24
	s_add_i32 s16, s16, s11
	v_add_co_u32 v4, vcc_lo, v6, s10
	v_add_co_ci_u32_e32 v5, vcc_lo, s16, v7, vcc_lo
	s_mov_b32 s10, exec_lo
	global_store_dwordx2 v[4:5], v[14:15], off
	s_waitcnt_vscnt null, 0x0
	global_atomic_cmpswap_x2 v[2:3], v8, v[12:15], s[40:41] offset:32 glc
	s_waitcnt vmcnt(0)
	v_cmpx_ne_u64_e64 v[2:3], v[14:15]
	s_cbranch_execz .LBB11_1276
; %bb.1274:
	s_mov_b32 s11, 0
.LBB11_1275:                            ; =>This Inner Loop Header: Depth=1
	v_mov_b32_e32 v0, s6
	v_mov_b32_e32 v1, s7
	s_sleep 1
	global_store_dwordx2 v[4:5], v[2:3], off
	s_waitcnt_vscnt null, 0x0
	global_atomic_cmpswap_x2 v[0:1], v8, v[0:3], s[40:41] offset:32 glc
	s_waitcnt vmcnt(0)
	v_cmp_eq_u64_e32 vcc_lo, v[0:1], v[2:3]
	v_mov_b32_e32 v3, v1
	v_mov_b32_e32 v2, v0
	s_or_b32 s11, vcc_lo, s11
	s_andn2_b32 exec_lo, exec_lo, s11
	s_cbranch_execnz .LBB11_1275
.LBB11_1276:
	s_or_b32 exec_lo, exec_lo, s10
	v_mov_b32_e32 v3, 0
	s_mov_b32 s11, exec_lo
	s_mov_b32 s10, exec_lo
	v_mbcnt_lo_u32_b32 v2, s11, 0
	global_load_dwordx2 v[0:1], v3, s[40:41] offset:16
	v_cmpx_eq_u32_e32 0, v2
	s_cbranch_execz .LBB11_1278
; %bb.1277:
	s_bcnt1_i32_b32 s11, s11
	v_mov_b32_e32 v2, s11
	s_waitcnt vmcnt(0)
	global_atomic_add_x2 v[0:1], v[2:3], off offset:8
.LBB11_1278:
	s_or_b32 exec_lo, exec_lo, s10
	s_waitcnt vmcnt(0)
	global_load_dwordx2 v[2:3], v[0:1], off offset:16
	s_waitcnt vmcnt(0)
	v_cmp_eq_u64_e32 vcc_lo, 0, v[2:3]
	s_cbranch_vccnz .LBB11_1280
; %bb.1279:
	global_load_dword v0, v[0:1], off offset:24
	v_mov_b32_e32 v1, 0
	s_waitcnt vmcnt(0)
	v_and_b32_e32 v4, 0x7fffff, v0
	s_waitcnt_vscnt null, 0x0
	global_store_dwordx2 v[2:3], v[0:1], off
	v_readfirstlane_b32 m0, v4
	s_sendmsg sendmsg(MSG_INTERRUPT)
.LBB11_1280:
	s_or_b32 exec_lo, exec_lo, s5
	s_branch .LBB11_1284
	.p2align	6
.LBB11_1281:                            ;   in Loop: Header=BB11_1284 Depth=1
	s_or_b32 exec_lo, exec_lo, s5
	v_readfirstlane_b32 s5, v0
	s_cmp_eq_u32 s5, 0
	s_cbranch_scc1 .LBB11_1283
; %bb.1282:                             ;   in Loop: Header=BB11_1284 Depth=1
	s_sleep 1
	s_cbranch_execnz .LBB11_1284
	s_branch .LBB11_1286
	.p2align	6
.LBB11_1283:
	s_branch .LBB11_1286
.LBB11_1284:                            ; =>This Inner Loop Header: Depth=1
	v_mov_b32_e32 v0, 1
	s_and_saveexec_b32 s5, s4
	s_cbranch_execz .LBB11_1281
; %bb.1285:                             ;   in Loop: Header=BB11_1284 Depth=1
	global_load_dword v0, v[10:11], off offset:20 glc dlc
	s_waitcnt vmcnt(0)
	buffer_gl1_inv
	buffer_gl0_inv
	v_and_b32_e32 v0, 1, v0
	s_branch .LBB11_1281
.LBB11_1286:
	s_and_saveexec_b32 s5, s4
	s_cbranch_execz .LBB11_1290
; %bb.1287:
	v_mov_b32_e32 v6, 0
	s_clause 0x2
	global_load_dwordx2 v[2:3], v6, s[40:41] offset:40
	global_load_dwordx2 v[7:8], v6, s[40:41] offset:24 glc dlc
	global_load_dwordx2 v[4:5], v6, s[40:41]
	s_waitcnt vmcnt(2)
	v_add_co_u32 v9, vcc_lo, v2, 1
	v_add_co_ci_u32_e32 v10, vcc_lo, 0, v3, vcc_lo
	v_add_co_u32 v0, vcc_lo, v9, s6
	v_add_co_ci_u32_e32 v1, vcc_lo, s7, v10, vcc_lo
	v_cmp_eq_u64_e32 vcc_lo, 0, v[0:1]
	v_cndmask_b32_e32 v1, v1, v10, vcc_lo
	v_cndmask_b32_e32 v0, v0, v9, vcc_lo
	v_and_b32_e32 v3, v1, v3
	v_and_b32_e32 v2, v0, v2
	v_mul_lo_u32 v3, v3, 24
	v_mul_hi_u32 v9, v2, 24
	v_mul_lo_u32 v2, v2, 24
	v_add_nc_u32_e32 v3, v9, v3
	s_waitcnt vmcnt(0)
	v_add_co_u32 v4, vcc_lo, v4, v2
	v_mov_b32_e32 v2, v7
	v_add_co_ci_u32_e32 v5, vcc_lo, v5, v3, vcc_lo
	v_mov_b32_e32 v3, v8
	global_store_dwordx2 v[4:5], v[7:8], off
	s_waitcnt_vscnt null, 0x0
	global_atomic_cmpswap_x2 v[2:3], v6, v[0:3], s[40:41] offset:24 glc
	s_waitcnt vmcnt(0)
	v_cmp_ne_u64_e32 vcc_lo, v[2:3], v[7:8]
	s_and_b32 exec_lo, exec_lo, vcc_lo
	s_cbranch_execz .LBB11_1290
; %bb.1288:
	s_mov_b32 s4, 0
.LBB11_1289:                            ; =>This Inner Loop Header: Depth=1
	s_sleep 1
	global_store_dwordx2 v[4:5], v[2:3], off
	s_waitcnt_vscnt null, 0x0
	global_atomic_cmpswap_x2 v[7:8], v6, v[0:3], s[40:41] offset:24 glc
	s_waitcnt vmcnt(0)
	v_cmp_eq_u64_e32 vcc_lo, v[7:8], v[2:3]
	v_mov_b32_e32 v2, v7
	v_mov_b32_e32 v3, v8
	s_or_b32 s4, vcc_lo, s4
	s_andn2_b32 exec_lo, exec_lo, s4
	s_cbranch_execnz .LBB11_1289
.LBB11_1290:
	s_or_b32 exec_lo, exec_lo, s5
	v_readfirstlane_b32 s4, v69
	v_mov_b32_e32 v6, 0
	v_mov_b32_e32 v7, 0
	v_cmp_eq_u32_e64 s4, s4, v69
	s_and_saveexec_b32 s5, s4
	s_cbranch_execz .LBB11_1296
; %bb.1291:
	v_mov_b32_e32 v0, 0
	s_mov_b32 s6, exec_lo
	global_load_dwordx2 v[3:4], v0, s[40:41] offset:24 glc dlc
	s_waitcnt vmcnt(0)
	buffer_gl1_inv
	buffer_gl0_inv
	s_clause 0x1
	global_load_dwordx2 v[1:2], v0, s[40:41] offset:40
	global_load_dwordx2 v[5:6], v0, s[40:41]
	s_waitcnt vmcnt(1)
	v_and_b32_e32 v2, v2, v4
	v_and_b32_e32 v1, v1, v3
	v_mul_lo_u32 v2, v2, 24
	v_mul_hi_u32 v7, v1, 24
	v_mul_lo_u32 v1, v1, 24
	v_add_nc_u32_e32 v2, v7, v2
	s_waitcnt vmcnt(0)
	v_add_co_u32 v1, vcc_lo, v5, v1
	v_add_co_ci_u32_e32 v2, vcc_lo, v6, v2, vcc_lo
	global_load_dwordx2 v[1:2], v[1:2], off glc dlc
	s_waitcnt vmcnt(0)
	global_atomic_cmpswap_x2 v[6:7], v0, v[1:4], s[40:41] offset:24 glc
	s_waitcnt vmcnt(0)
	buffer_gl1_inv
	buffer_gl0_inv
	v_cmpx_ne_u64_e64 v[6:7], v[3:4]
	s_cbranch_execz .LBB11_1295
; %bb.1292:
	s_mov_b32 s7, 0
	.p2align	6
.LBB11_1293:                            ; =>This Inner Loop Header: Depth=1
	s_sleep 1
	s_clause 0x1
	global_load_dwordx2 v[1:2], v0, s[40:41] offset:40
	global_load_dwordx2 v[8:9], v0, s[40:41]
	v_mov_b32_e32 v3, v6
	v_mov_b32_e32 v4, v7
	s_waitcnt vmcnt(1)
	v_and_b32_e32 v1, v1, v3
	v_and_b32_e32 v2, v2, v4
	s_waitcnt vmcnt(0)
	v_mad_u64_u32 v[5:6], null, v1, 24, v[8:9]
	v_mov_b32_e32 v1, v6
	v_mad_u64_u32 v[1:2], null, v2, 24, v[1:2]
	v_mov_b32_e32 v6, v1
	global_load_dwordx2 v[1:2], v[5:6], off glc dlc
	s_waitcnt vmcnt(0)
	global_atomic_cmpswap_x2 v[6:7], v0, v[1:4], s[40:41] offset:24 glc
	s_waitcnt vmcnt(0)
	buffer_gl1_inv
	buffer_gl0_inv
	v_cmp_eq_u64_e32 vcc_lo, v[6:7], v[3:4]
	s_or_b32 s7, vcc_lo, s7
	s_andn2_b32 exec_lo, exec_lo, s7
	s_cbranch_execnz .LBB11_1293
; %bb.1294:
	s_or_b32 exec_lo, exec_lo, s7
.LBB11_1295:
	s_or_b32 exec_lo, exec_lo, s6
.LBB11_1296:
	s_or_b32 exec_lo, exec_lo, s5
	v_mov_b32_e32 v5, 0
	v_readfirstlane_b32 s6, v6
	v_readfirstlane_b32 s7, v7
	s_mov_b32 s5, exec_lo
	s_clause 0x1
	global_load_dwordx2 v[8:9], v5, s[40:41] offset:40
	global_load_dwordx4 v[0:3], v5, s[40:41]
	s_waitcnt vmcnt(1)
	v_readfirstlane_b32 s10, v8
	v_readfirstlane_b32 s11, v9
	s_and_b64 s[10:11], s[6:7], s[10:11]
	s_mul_i32 s16, s11, 24
	s_mul_hi_u32 s17, s10, 24
	s_mul_i32 s18, s10, 24
	s_add_i32 s17, s17, s16
	s_waitcnt vmcnt(0)
	v_add_co_u32 v8, vcc_lo, v0, s18
	v_add_co_ci_u32_e32 v9, vcc_lo, s17, v1, vcc_lo
	s_and_saveexec_b32 s16, s4
	s_cbranch_execz .LBB11_1298
; %bb.1297:
	v_mov_b32_e32 v4, s5
	v_mov_b32_e32 v6, 2
	;; [unrolled: 1-line block ×3, first 2 shown]
	global_store_dwordx4 v[8:9], v[4:7], off offset:8
.LBB11_1298:
	s_or_b32 exec_lo, exec_lo, s16
	s_lshl_b64 s[10:11], s[10:11], 12
	s_mov_b32 s16, 0
	v_add_co_u32 v2, vcc_lo, v2, s10
	v_add_co_ci_u32_e32 v3, vcc_lo, s11, v3, vcc_lo
	s_mov_b32 s17, s16
	v_add_co_u32 v10, vcc_lo, v2, v68
	s_mov_b32 s18, s16
	s_mov_b32 s19, s16
	v_mov_b32_e32 v4, 33
	v_mov_b32_e32 v6, v5
	v_mov_b32_e32 v7, v5
	v_readfirstlane_b32 s10, v2
	v_readfirstlane_b32 s11, v3
	v_mov_b32_e32 v12, s16
	v_add_co_ci_u32_e32 v11, vcc_lo, 0, v3, vcc_lo
	v_mov_b32_e32 v13, s17
	v_mov_b32_e32 v14, s18
	;; [unrolled: 1-line block ×3, first 2 shown]
	global_store_dwordx4 v68, v[4:7], s[10:11]
	global_store_dwordx4 v68, v[12:15], s[10:11] offset:16
	global_store_dwordx4 v68, v[12:15], s[10:11] offset:32
	;; [unrolled: 1-line block ×3, first 2 shown]
	s_and_saveexec_b32 s5, s4
	s_cbranch_execz .LBB11_1306
; %bb.1299:
	v_mov_b32_e32 v6, 0
	v_mov_b32_e32 v12, s6
	;; [unrolled: 1-line block ×3, first 2 shown]
	s_clause 0x1
	global_load_dwordx2 v[14:15], v6, s[40:41] offset:32 glc dlc
	global_load_dwordx2 v[2:3], v6, s[40:41] offset:40
	s_waitcnt vmcnt(0)
	v_readfirstlane_b32 s10, v2
	v_readfirstlane_b32 s11, v3
	s_and_b64 s[10:11], s[10:11], s[6:7]
	s_mul_i32 s11, s11, 24
	s_mul_hi_u32 s16, s10, 24
	s_mul_i32 s10, s10, 24
	s_add_i32 s16, s16, s11
	v_add_co_u32 v4, vcc_lo, v0, s10
	v_add_co_ci_u32_e32 v5, vcc_lo, s16, v1, vcc_lo
	s_mov_b32 s10, exec_lo
	global_store_dwordx2 v[4:5], v[14:15], off
	s_waitcnt_vscnt null, 0x0
	global_atomic_cmpswap_x2 v[2:3], v6, v[12:15], s[40:41] offset:32 glc
	s_waitcnt vmcnt(0)
	v_cmpx_ne_u64_e64 v[2:3], v[14:15]
	s_cbranch_execz .LBB11_1302
; %bb.1300:
	s_mov_b32 s11, 0
.LBB11_1301:                            ; =>This Inner Loop Header: Depth=1
	v_mov_b32_e32 v0, s6
	v_mov_b32_e32 v1, s7
	s_sleep 1
	global_store_dwordx2 v[4:5], v[2:3], off
	s_waitcnt_vscnt null, 0x0
	global_atomic_cmpswap_x2 v[0:1], v6, v[0:3], s[40:41] offset:32 glc
	s_waitcnt vmcnt(0)
	v_cmp_eq_u64_e32 vcc_lo, v[0:1], v[2:3]
	v_mov_b32_e32 v3, v1
	v_mov_b32_e32 v2, v0
	s_or_b32 s11, vcc_lo, s11
	s_andn2_b32 exec_lo, exec_lo, s11
	s_cbranch_execnz .LBB11_1301
.LBB11_1302:
	s_or_b32 exec_lo, exec_lo, s10
	v_mov_b32_e32 v3, 0
	s_mov_b32 s11, exec_lo
	s_mov_b32 s10, exec_lo
	v_mbcnt_lo_u32_b32 v2, s11, 0
	global_load_dwordx2 v[0:1], v3, s[40:41] offset:16
	v_cmpx_eq_u32_e32 0, v2
	s_cbranch_execz .LBB11_1304
; %bb.1303:
	s_bcnt1_i32_b32 s11, s11
	v_mov_b32_e32 v2, s11
	s_waitcnt vmcnt(0)
	global_atomic_add_x2 v[0:1], v[2:3], off offset:8
.LBB11_1304:
	s_or_b32 exec_lo, exec_lo, s10
	s_waitcnt vmcnt(0)
	global_load_dwordx2 v[2:3], v[0:1], off offset:16
	s_waitcnt vmcnt(0)
	v_cmp_eq_u64_e32 vcc_lo, 0, v[2:3]
	s_cbranch_vccnz .LBB11_1306
; %bb.1305:
	global_load_dword v0, v[0:1], off offset:24
	v_mov_b32_e32 v1, 0
	s_waitcnt vmcnt(0)
	v_and_b32_e32 v4, 0x7fffff, v0
	s_waitcnt_vscnt null, 0x0
	global_store_dwordx2 v[2:3], v[0:1], off
	v_readfirstlane_b32 m0, v4
	s_sendmsg sendmsg(MSG_INTERRUPT)
.LBB11_1306:
	s_or_b32 exec_lo, exec_lo, s5
	s_branch .LBB11_1310
	.p2align	6
.LBB11_1307:                            ;   in Loop: Header=BB11_1310 Depth=1
	s_or_b32 exec_lo, exec_lo, s5
	v_readfirstlane_b32 s5, v0
	s_cmp_eq_u32 s5, 0
	s_cbranch_scc1 .LBB11_1309
; %bb.1308:                             ;   in Loop: Header=BB11_1310 Depth=1
	s_sleep 1
	s_cbranch_execnz .LBB11_1310
	s_branch .LBB11_1312
	.p2align	6
.LBB11_1309:
	s_branch .LBB11_1312
.LBB11_1310:                            ; =>This Inner Loop Header: Depth=1
	v_mov_b32_e32 v0, 1
	s_and_saveexec_b32 s5, s4
	s_cbranch_execz .LBB11_1307
; %bb.1311:                             ;   in Loop: Header=BB11_1310 Depth=1
	global_load_dword v0, v[8:9], off offset:20 glc dlc
	s_waitcnt vmcnt(0)
	buffer_gl1_inv
	buffer_gl0_inv
	v_and_b32_e32 v0, 1, v0
	s_branch .LBB11_1307
.LBB11_1312:
	global_load_dwordx2 v[4:5], v[10:11], off
	s_and_saveexec_b32 s5, s4
	s_cbranch_execz .LBB11_1316
; %bb.1313:
	v_mov_b32_e32 v8, 0
	s_clause 0x2
	global_load_dwordx2 v[2:3], v8, s[40:41] offset:40
	global_load_dwordx2 v[9:10], v8, s[40:41] offset:24 glc dlc
	global_load_dwordx2 v[6:7], v8, s[40:41]
	s_waitcnt vmcnt(2)
	v_add_co_u32 v11, vcc_lo, v2, 1
	v_add_co_ci_u32_e32 v12, vcc_lo, 0, v3, vcc_lo
	v_add_co_u32 v0, vcc_lo, v11, s6
	v_add_co_ci_u32_e32 v1, vcc_lo, s7, v12, vcc_lo
	v_cmp_eq_u64_e32 vcc_lo, 0, v[0:1]
	v_cndmask_b32_e32 v1, v1, v12, vcc_lo
	v_cndmask_b32_e32 v0, v0, v11, vcc_lo
	v_and_b32_e32 v3, v1, v3
	v_and_b32_e32 v2, v0, v2
	v_mul_lo_u32 v3, v3, 24
	v_mul_hi_u32 v11, v2, 24
	v_mul_lo_u32 v2, v2, 24
	v_add_nc_u32_e32 v3, v11, v3
	s_waitcnt vmcnt(0)
	v_add_co_u32 v6, vcc_lo, v6, v2
	v_mov_b32_e32 v2, v9
	v_add_co_ci_u32_e32 v7, vcc_lo, v7, v3, vcc_lo
	v_mov_b32_e32 v3, v10
	global_store_dwordx2 v[6:7], v[9:10], off
	s_waitcnt_vscnt null, 0x0
	global_atomic_cmpswap_x2 v[2:3], v8, v[0:3], s[40:41] offset:24 glc
	s_waitcnt vmcnt(0)
	v_cmp_ne_u64_e32 vcc_lo, v[2:3], v[9:10]
	s_and_b32 exec_lo, exec_lo, vcc_lo
	s_cbranch_execz .LBB11_1316
; %bb.1314:
	s_mov_b32 s4, 0
.LBB11_1315:                            ; =>This Inner Loop Header: Depth=1
	s_sleep 1
	global_store_dwordx2 v[6:7], v[2:3], off
	s_waitcnt_vscnt null, 0x0
	global_atomic_cmpswap_x2 v[9:10], v8, v[0:3], s[40:41] offset:24 glc
	s_waitcnt vmcnt(0)
	v_cmp_eq_u64_e32 vcc_lo, v[9:10], v[2:3]
	v_mov_b32_e32 v2, v9
	v_mov_b32_e32 v3, v10
	s_or_b32 s4, vcc_lo, s4
	s_andn2_b32 exec_lo, exec_lo, s4
	s_cbranch_execnz .LBB11_1315
.LBB11_1316:
	s_or_b32 exec_lo, exec_lo, s5
	s_and_b32 vcc_lo, exec_lo, s15
	s_cbranch_vccz .LBB11_1395
; %bb.1317:
	s_waitcnt vmcnt(0)
	v_and_b32_e32 v28, 2, v4
	v_mov_b32_e32 v7, 0
	v_and_b32_e32 v0, -3, v4
	v_mov_b32_e32 v1, v5
	v_mov_b32_e32 v8, 2
	v_mov_b32_e32 v9, 1
	s_mov_b64 s[10:11], 3
	s_getpc_b64 s[6:7]
	s_add_u32 s6, s6, .str.5@rel32@lo+4
	s_addc_u32 s7, s7, .str.5@rel32@hi+12
	s_branch .LBB11_1319
.LBB11_1318:                            ;   in Loop: Header=BB11_1319 Depth=1
	s_or_b32 exec_lo, exec_lo, s5
	s_sub_u32 s10, s10, s16
	s_subb_u32 s11, s11, s17
	s_add_u32 s6, s6, s16
	s_addc_u32 s7, s7, s17
	s_cmp_lg_u64 s[10:11], 0
	s_cbranch_scc0 .LBB11_1394
.LBB11_1319:                            ; =>This Loop Header: Depth=1
                                        ;     Child Loop BB11_1328 Depth 2
                                        ;     Child Loop BB11_1324 Depth 2
	;; [unrolled: 1-line block ×11, first 2 shown]
	v_cmp_lt_u64_e64 s4, s[10:11], 56
	v_cmp_gt_u64_e64 s5, s[10:11], 7
                                        ; implicit-def: $vgpr2_vgpr3
                                        ; implicit-def: $sgpr15
	s_and_b32 s4, s4, exec_lo
	s_cselect_b32 s17, s11, 0
	s_cselect_b32 s16, s10, 56
	s_and_b32 vcc_lo, exec_lo, s5
	s_mov_b32 s4, -1
	s_cbranch_vccz .LBB11_1326
; %bb.1320:                             ;   in Loop: Header=BB11_1319 Depth=1
	s_andn2_b32 vcc_lo, exec_lo, s4
	s_mov_b64 s[4:5], s[6:7]
	s_cbranch_vccz .LBB11_1330
.LBB11_1321:                            ;   in Loop: Header=BB11_1319 Depth=1
	s_cmp_gt_u32 s15, 7
	s_cbranch_scc1 .LBB11_1331
.LBB11_1322:                            ;   in Loop: Header=BB11_1319 Depth=1
	v_mov_b32_e32 v10, 0
	v_mov_b32_e32 v11, 0
	s_cmp_eq_u32 s15, 0
	s_cbranch_scc1 .LBB11_1325
; %bb.1323:                             ;   in Loop: Header=BB11_1319 Depth=1
	s_mov_b64 s[18:19], 0
	s_mov_b64 s[20:21], 0
.LBB11_1324:                            ;   Parent Loop BB11_1319 Depth=1
                                        ; =>  This Inner Loop Header: Depth=2
	s_add_u32 s22, s4, s20
	s_addc_u32 s23, s5, s21
	s_add_u32 s20, s20, 1
	global_load_ubyte v6, v7, s[22:23]
	s_addc_u32 s21, s21, 0
	s_waitcnt vmcnt(0)
	v_and_b32_e32 v6, 0xffff, v6
	v_lshlrev_b64 v[12:13], s18, v[6:7]
	s_add_u32 s18, s18, 8
	s_addc_u32 s19, s19, 0
	s_cmp_lg_u32 s15, s20
	v_or_b32_e32 v10, v12, v10
	v_or_b32_e32 v11, v13, v11
	s_cbranch_scc1 .LBB11_1324
.LBB11_1325:                            ;   in Loop: Header=BB11_1319 Depth=1
	s_mov_b32 s22, 0
	s_cbranch_execz .LBB11_1332
	s_branch .LBB11_1333
.LBB11_1326:                            ;   in Loop: Header=BB11_1319 Depth=1
	s_waitcnt vmcnt(0)
	v_mov_b32_e32 v2, 0
	v_mov_b32_e32 v3, 0
	s_cmp_eq_u64 s[10:11], 0
	s_mov_b64 s[4:5], 0
	s_cbranch_scc1 .LBB11_1329
; %bb.1327:                             ;   in Loop: Header=BB11_1319 Depth=1
	v_mov_b32_e32 v2, 0
	v_mov_b32_e32 v3, 0
	s_lshl_b64 s[18:19], s[16:17], 3
	s_mov_b64 s[20:21], s[6:7]
.LBB11_1328:                            ;   Parent Loop BB11_1319 Depth=1
                                        ; =>  This Inner Loop Header: Depth=2
	global_load_ubyte v6, v7, s[20:21]
	s_waitcnt vmcnt(0)
	v_and_b32_e32 v6, 0xffff, v6
	v_lshlrev_b64 v[10:11], s4, v[6:7]
	s_add_u32 s4, s4, 8
	s_addc_u32 s5, s5, 0
	s_add_u32 s20, s20, 1
	s_addc_u32 s21, s21, 0
	s_cmp_lg_u32 s18, s4
	v_or_b32_e32 v2, v10, v2
	v_or_b32_e32 v3, v11, v3
	s_cbranch_scc1 .LBB11_1328
.LBB11_1329:                            ;   in Loop: Header=BB11_1319 Depth=1
	s_mov_b32 s15, 0
	s_mov_b64 s[4:5], s[6:7]
	s_cbranch_execnz .LBB11_1321
.LBB11_1330:                            ;   in Loop: Header=BB11_1319 Depth=1
	global_load_dwordx2 v[2:3], v7, s[6:7]
	s_add_i32 s15, s16, -8
	s_add_u32 s4, s6, 8
	s_addc_u32 s5, s7, 0
	s_cmp_gt_u32 s15, 7
	s_cbranch_scc0 .LBB11_1322
.LBB11_1331:                            ;   in Loop: Header=BB11_1319 Depth=1
                                        ; implicit-def: $vgpr10_vgpr11
                                        ; implicit-def: $sgpr22
.LBB11_1332:                            ;   in Loop: Header=BB11_1319 Depth=1
	global_load_dwordx2 v[10:11], v7, s[4:5]
	s_add_i32 s22, s15, -8
	s_add_u32 s4, s4, 8
	s_addc_u32 s5, s5, 0
.LBB11_1333:                            ;   in Loop: Header=BB11_1319 Depth=1
	s_cmp_gt_u32 s22, 7
	s_cbranch_scc1 .LBB11_1338
; %bb.1334:                             ;   in Loop: Header=BB11_1319 Depth=1
	v_mov_b32_e32 v12, 0
	v_mov_b32_e32 v13, 0
	s_cmp_eq_u32 s22, 0
	s_cbranch_scc1 .LBB11_1337
; %bb.1335:                             ;   in Loop: Header=BB11_1319 Depth=1
	s_mov_b64 s[18:19], 0
	s_mov_b64 s[20:21], 0
.LBB11_1336:                            ;   Parent Loop BB11_1319 Depth=1
                                        ; =>  This Inner Loop Header: Depth=2
	s_add_u32 s24, s4, s20
	s_addc_u32 s25, s5, s21
	s_add_u32 s20, s20, 1
	global_load_ubyte v6, v7, s[24:25]
	s_addc_u32 s21, s21, 0
	s_waitcnt vmcnt(0)
	v_and_b32_e32 v6, 0xffff, v6
	v_lshlrev_b64 v[14:15], s18, v[6:7]
	s_add_u32 s18, s18, 8
	s_addc_u32 s19, s19, 0
	s_cmp_lg_u32 s22, s20
	v_or_b32_e32 v12, v14, v12
	v_or_b32_e32 v13, v15, v13
	s_cbranch_scc1 .LBB11_1336
.LBB11_1337:                            ;   in Loop: Header=BB11_1319 Depth=1
	s_mov_b32 s15, 0
	s_cbranch_execz .LBB11_1339
	s_branch .LBB11_1340
.LBB11_1338:                            ;   in Loop: Header=BB11_1319 Depth=1
                                        ; implicit-def: $sgpr15
.LBB11_1339:                            ;   in Loop: Header=BB11_1319 Depth=1
	global_load_dwordx2 v[12:13], v7, s[4:5]
	s_add_i32 s15, s22, -8
	s_add_u32 s4, s4, 8
	s_addc_u32 s5, s5, 0
.LBB11_1340:                            ;   in Loop: Header=BB11_1319 Depth=1
	s_cmp_gt_u32 s15, 7
	s_cbranch_scc1 .LBB11_1345
; %bb.1341:                             ;   in Loop: Header=BB11_1319 Depth=1
	v_mov_b32_e32 v14, 0
	v_mov_b32_e32 v15, 0
	s_cmp_eq_u32 s15, 0
	s_cbranch_scc1 .LBB11_1344
; %bb.1342:                             ;   in Loop: Header=BB11_1319 Depth=1
	s_mov_b64 s[18:19], 0
	s_mov_b64 s[20:21], 0
.LBB11_1343:                            ;   Parent Loop BB11_1319 Depth=1
                                        ; =>  This Inner Loop Header: Depth=2
	s_add_u32 s22, s4, s20
	s_addc_u32 s23, s5, s21
	s_add_u32 s20, s20, 1
	global_load_ubyte v6, v7, s[22:23]
	s_addc_u32 s21, s21, 0
	s_waitcnt vmcnt(0)
	v_and_b32_e32 v6, 0xffff, v6
	v_lshlrev_b64 v[16:17], s18, v[6:7]
	s_add_u32 s18, s18, 8
	s_addc_u32 s19, s19, 0
	s_cmp_lg_u32 s15, s20
	v_or_b32_e32 v14, v16, v14
	v_or_b32_e32 v15, v17, v15
	s_cbranch_scc1 .LBB11_1343
.LBB11_1344:                            ;   in Loop: Header=BB11_1319 Depth=1
	s_mov_b32 s22, 0
	s_cbranch_execz .LBB11_1346
	s_branch .LBB11_1347
.LBB11_1345:                            ;   in Loop: Header=BB11_1319 Depth=1
                                        ; implicit-def: $vgpr14_vgpr15
                                        ; implicit-def: $sgpr22
.LBB11_1346:                            ;   in Loop: Header=BB11_1319 Depth=1
	global_load_dwordx2 v[14:15], v7, s[4:5]
	s_add_i32 s22, s15, -8
	s_add_u32 s4, s4, 8
	s_addc_u32 s5, s5, 0
.LBB11_1347:                            ;   in Loop: Header=BB11_1319 Depth=1
	s_cmp_gt_u32 s22, 7
	s_cbranch_scc1 .LBB11_1352
; %bb.1348:                             ;   in Loop: Header=BB11_1319 Depth=1
	v_mov_b32_e32 v16, 0
	v_mov_b32_e32 v17, 0
	s_cmp_eq_u32 s22, 0
	s_cbranch_scc1 .LBB11_1351
; %bb.1349:                             ;   in Loop: Header=BB11_1319 Depth=1
	s_mov_b64 s[18:19], 0
	s_mov_b64 s[20:21], 0
.LBB11_1350:                            ;   Parent Loop BB11_1319 Depth=1
                                        ; =>  This Inner Loop Header: Depth=2
	s_add_u32 s24, s4, s20
	s_addc_u32 s25, s5, s21
	s_add_u32 s20, s20, 1
	global_load_ubyte v6, v7, s[24:25]
	s_addc_u32 s21, s21, 0
	s_waitcnt vmcnt(0)
	v_and_b32_e32 v6, 0xffff, v6
	v_lshlrev_b64 v[18:19], s18, v[6:7]
	s_add_u32 s18, s18, 8
	s_addc_u32 s19, s19, 0
	s_cmp_lg_u32 s22, s20
	v_or_b32_e32 v16, v18, v16
	v_or_b32_e32 v17, v19, v17
	s_cbranch_scc1 .LBB11_1350
.LBB11_1351:                            ;   in Loop: Header=BB11_1319 Depth=1
	s_mov_b32 s15, 0
	s_cbranch_execz .LBB11_1353
	s_branch .LBB11_1354
.LBB11_1352:                            ;   in Loop: Header=BB11_1319 Depth=1
                                        ; implicit-def: $sgpr15
.LBB11_1353:                            ;   in Loop: Header=BB11_1319 Depth=1
	global_load_dwordx2 v[16:17], v7, s[4:5]
	s_add_i32 s15, s22, -8
	s_add_u32 s4, s4, 8
	s_addc_u32 s5, s5, 0
.LBB11_1354:                            ;   in Loop: Header=BB11_1319 Depth=1
	s_cmp_gt_u32 s15, 7
	s_cbranch_scc1 .LBB11_1359
; %bb.1355:                             ;   in Loop: Header=BB11_1319 Depth=1
	v_mov_b32_e32 v18, 0
	v_mov_b32_e32 v19, 0
	s_cmp_eq_u32 s15, 0
	s_cbranch_scc1 .LBB11_1358
; %bb.1356:                             ;   in Loop: Header=BB11_1319 Depth=1
	s_mov_b64 s[18:19], 0
	s_mov_b64 s[20:21], 0
.LBB11_1357:                            ;   Parent Loop BB11_1319 Depth=1
                                        ; =>  This Inner Loop Header: Depth=2
	s_add_u32 s22, s4, s20
	s_addc_u32 s23, s5, s21
	s_add_u32 s20, s20, 1
	global_load_ubyte v6, v7, s[22:23]
	s_addc_u32 s21, s21, 0
	s_waitcnt vmcnt(0)
	v_and_b32_e32 v6, 0xffff, v6
	v_lshlrev_b64 v[20:21], s18, v[6:7]
	s_add_u32 s18, s18, 8
	s_addc_u32 s19, s19, 0
	s_cmp_lg_u32 s15, s20
	v_or_b32_e32 v18, v20, v18
	v_or_b32_e32 v19, v21, v19
	s_cbranch_scc1 .LBB11_1357
.LBB11_1358:                            ;   in Loop: Header=BB11_1319 Depth=1
	s_mov_b32 s22, 0
	s_cbranch_execz .LBB11_1360
	s_branch .LBB11_1361
.LBB11_1359:                            ;   in Loop: Header=BB11_1319 Depth=1
                                        ; implicit-def: $vgpr18_vgpr19
                                        ; implicit-def: $sgpr22
.LBB11_1360:                            ;   in Loop: Header=BB11_1319 Depth=1
	global_load_dwordx2 v[18:19], v7, s[4:5]
	s_add_i32 s22, s15, -8
	s_add_u32 s4, s4, 8
	s_addc_u32 s5, s5, 0
.LBB11_1361:                            ;   in Loop: Header=BB11_1319 Depth=1
	s_cmp_gt_u32 s22, 7
	s_cbranch_scc1 .LBB11_1366
; %bb.1362:                             ;   in Loop: Header=BB11_1319 Depth=1
	v_mov_b32_e32 v20, 0
	v_mov_b32_e32 v21, 0
	s_cmp_eq_u32 s22, 0
	s_cbranch_scc1 .LBB11_1365
; %bb.1363:                             ;   in Loop: Header=BB11_1319 Depth=1
	s_mov_b64 s[18:19], 0
	s_mov_b64 s[20:21], s[4:5]
.LBB11_1364:                            ;   Parent Loop BB11_1319 Depth=1
                                        ; =>  This Inner Loop Header: Depth=2
	global_load_ubyte v6, v7, s[20:21]
	s_add_i32 s22, s22, -1
	s_waitcnt vmcnt(0)
	v_and_b32_e32 v6, 0xffff, v6
	v_lshlrev_b64 v[22:23], s18, v[6:7]
	s_add_u32 s18, s18, 8
	s_addc_u32 s19, s19, 0
	s_add_u32 s20, s20, 1
	s_addc_u32 s21, s21, 0
	s_cmp_lg_u32 s22, 0
	v_or_b32_e32 v20, v22, v20
	v_or_b32_e32 v21, v23, v21
	s_cbranch_scc1 .LBB11_1364
.LBB11_1365:                            ;   in Loop: Header=BB11_1319 Depth=1
	s_cbranch_execz .LBB11_1367
	s_branch .LBB11_1368
.LBB11_1366:                            ;   in Loop: Header=BB11_1319 Depth=1
.LBB11_1367:                            ;   in Loop: Header=BB11_1319 Depth=1
	global_load_dwordx2 v[20:21], v7, s[4:5]
.LBB11_1368:                            ;   in Loop: Header=BB11_1319 Depth=1
	v_readfirstlane_b32 s4, v69
	v_mov_b32_e32 v26, 0
	v_mov_b32_e32 v27, 0
	v_cmp_eq_u32_e64 s4, s4, v69
	s_and_saveexec_b32 s5, s4
	s_cbranch_execz .LBB11_1374
; %bb.1369:                             ;   in Loop: Header=BB11_1319 Depth=1
	global_load_dwordx2 v[24:25], v7, s[40:41] offset:24 glc dlc
	s_waitcnt vmcnt(0)
	buffer_gl1_inv
	buffer_gl0_inv
	s_clause 0x1
	global_load_dwordx2 v[22:23], v7, s[40:41] offset:40
	global_load_dwordx2 v[26:27], v7, s[40:41]
	s_mov_b32 s15, exec_lo
	s_waitcnt vmcnt(1)
	v_and_b32_e32 v6, v23, v25
	v_and_b32_e32 v22, v22, v24
	v_mul_lo_u32 v6, v6, 24
	v_mul_hi_u32 v23, v22, 24
	v_mul_lo_u32 v22, v22, 24
	v_add_nc_u32_e32 v6, v23, v6
	s_waitcnt vmcnt(0)
	v_add_co_u32 v22, vcc_lo, v26, v22
	v_add_co_ci_u32_e32 v23, vcc_lo, v27, v6, vcc_lo
	global_load_dwordx2 v[22:23], v[22:23], off glc dlc
	s_waitcnt vmcnt(0)
	global_atomic_cmpswap_x2 v[26:27], v7, v[22:25], s[40:41] offset:24 glc
	s_waitcnt vmcnt(0)
	buffer_gl1_inv
	buffer_gl0_inv
	v_cmpx_ne_u64_e64 v[26:27], v[24:25]
	s_cbranch_execz .LBB11_1373
; %bb.1370:                             ;   in Loop: Header=BB11_1319 Depth=1
	s_mov_b32 s18, 0
	.p2align	6
.LBB11_1371:                            ;   Parent Loop BB11_1319 Depth=1
                                        ; =>  This Inner Loop Header: Depth=2
	s_sleep 1
	s_clause 0x1
	global_load_dwordx2 v[22:23], v7, s[40:41] offset:40
	global_load_dwordx2 v[29:30], v7, s[40:41]
	v_mov_b32_e32 v24, v26
	v_mov_b32_e32 v25, v27
	s_waitcnt vmcnt(1)
	v_and_b32_e32 v6, v22, v24
	v_and_b32_e32 v22, v23, v25
	s_waitcnt vmcnt(0)
	v_mad_u64_u32 v[26:27], null, v6, 24, v[29:30]
	v_mov_b32_e32 v6, v27
	v_mad_u64_u32 v[22:23], null, v22, 24, v[6:7]
	v_mov_b32_e32 v27, v22
	global_load_dwordx2 v[22:23], v[26:27], off glc dlc
	s_waitcnt vmcnt(0)
	global_atomic_cmpswap_x2 v[26:27], v7, v[22:25], s[40:41] offset:24 glc
	s_waitcnt vmcnt(0)
	buffer_gl1_inv
	buffer_gl0_inv
	v_cmp_eq_u64_e32 vcc_lo, v[26:27], v[24:25]
	s_or_b32 s18, vcc_lo, s18
	s_andn2_b32 exec_lo, exec_lo, s18
	s_cbranch_execnz .LBB11_1371
; %bb.1372:                             ;   in Loop: Header=BB11_1319 Depth=1
	s_or_b32 exec_lo, exec_lo, s18
.LBB11_1373:                            ;   in Loop: Header=BB11_1319 Depth=1
	s_or_b32 exec_lo, exec_lo, s15
.LBB11_1374:                            ;   in Loop: Header=BB11_1319 Depth=1
	s_or_b32 exec_lo, exec_lo, s5
	s_clause 0x1
	global_load_dwordx2 v[29:30], v7, s[40:41] offset:40
	global_load_dwordx4 v[22:25], v7, s[40:41]
	v_readfirstlane_b32 s18, v26
	v_readfirstlane_b32 s19, v27
	s_mov_b32 s5, exec_lo
	s_waitcnt vmcnt(1)
	v_readfirstlane_b32 s20, v29
	v_readfirstlane_b32 s21, v30
	s_and_b64 s[20:21], s[18:19], s[20:21]
	s_mul_i32 s15, s21, 24
	s_mul_hi_u32 s22, s20, 24
	s_mul_i32 s23, s20, 24
	s_add_i32 s22, s22, s15
	s_waitcnt vmcnt(0)
	v_add_co_u32 v26, vcc_lo, v22, s23
	v_add_co_ci_u32_e32 v27, vcc_lo, s22, v23, vcc_lo
	s_and_saveexec_b32 s15, s4
	s_cbranch_execz .LBB11_1376
; %bb.1375:                             ;   in Loop: Header=BB11_1319 Depth=1
	v_mov_b32_e32 v6, s5
	global_store_dwordx4 v[26:27], v[6:9], off offset:8
.LBB11_1376:                            ;   in Loop: Header=BB11_1319 Depth=1
	s_or_b32 exec_lo, exec_lo, s15
	s_lshl_b64 s[20:21], s[20:21], 12
	v_cmp_gt_u64_e64 vcc_lo, s[10:11], 56
	v_or_b32_e32 v29, v0, v28
	v_add_co_u32 v24, s5, v24, s20
	v_add_co_ci_u32_e64 v25, s5, s21, v25, s5
	s_lshl_b32 s5, s16, 2
	v_or_b32_e32 v6, 0, v1
	v_cndmask_b32_e32 v0, v29, v0, vcc_lo
	s_add_i32 s5, s5, 28
	v_readfirstlane_b32 s20, v24
	s_and_b32 s5, s5, 0x1e0
	v_cndmask_b32_e32 v1, v6, v1, vcc_lo
	v_readfirstlane_b32 s21, v25
	v_and_or_b32 v0, 0xffffff1f, v0, s5
	global_store_dwordx4 v68, v[0:3], s[20:21]
	global_store_dwordx4 v68, v[10:13], s[20:21] offset:16
	global_store_dwordx4 v68, v[14:17], s[20:21] offset:32
	;; [unrolled: 1-line block ×3, first 2 shown]
	s_and_saveexec_b32 s5, s4
	s_cbranch_execz .LBB11_1384
; %bb.1377:                             ;   in Loop: Header=BB11_1319 Depth=1
	s_clause 0x1
	global_load_dwordx2 v[14:15], v7, s[40:41] offset:32 glc dlc
	global_load_dwordx2 v[0:1], v7, s[40:41] offset:40
	v_mov_b32_e32 v12, s18
	v_mov_b32_e32 v13, s19
	s_waitcnt vmcnt(0)
	v_readfirstlane_b32 s20, v0
	v_readfirstlane_b32 s21, v1
	s_and_b64 s[20:21], s[20:21], s[18:19]
	s_mul_i32 s15, s21, 24
	s_mul_hi_u32 s21, s20, 24
	s_mul_i32 s20, s20, 24
	s_add_i32 s21, s21, s15
	v_add_co_u32 v10, vcc_lo, v22, s20
	v_add_co_ci_u32_e32 v11, vcc_lo, s21, v23, vcc_lo
	s_mov_b32 s15, exec_lo
	global_store_dwordx2 v[10:11], v[14:15], off
	s_waitcnt_vscnt null, 0x0
	global_atomic_cmpswap_x2 v[2:3], v7, v[12:15], s[40:41] offset:32 glc
	s_waitcnt vmcnt(0)
	v_cmpx_ne_u64_e64 v[2:3], v[14:15]
	s_cbranch_execz .LBB11_1380
; %bb.1378:                             ;   in Loop: Header=BB11_1319 Depth=1
	s_mov_b32 s20, 0
.LBB11_1379:                            ;   Parent Loop BB11_1319 Depth=1
                                        ; =>  This Inner Loop Header: Depth=2
	v_mov_b32_e32 v0, s18
	v_mov_b32_e32 v1, s19
	s_sleep 1
	global_store_dwordx2 v[10:11], v[2:3], off
	s_waitcnt_vscnt null, 0x0
	global_atomic_cmpswap_x2 v[0:1], v7, v[0:3], s[40:41] offset:32 glc
	s_waitcnt vmcnt(0)
	v_cmp_eq_u64_e32 vcc_lo, v[0:1], v[2:3]
	v_mov_b32_e32 v3, v1
	v_mov_b32_e32 v2, v0
	s_or_b32 s20, vcc_lo, s20
	s_andn2_b32 exec_lo, exec_lo, s20
	s_cbranch_execnz .LBB11_1379
.LBB11_1380:                            ;   in Loop: Header=BB11_1319 Depth=1
	s_or_b32 exec_lo, exec_lo, s15
	global_load_dwordx2 v[0:1], v7, s[40:41] offset:16
	s_mov_b32 s20, exec_lo
	s_mov_b32 s15, exec_lo
	v_mbcnt_lo_u32_b32 v2, s20, 0
	v_cmpx_eq_u32_e32 0, v2
	s_cbranch_execz .LBB11_1382
; %bb.1381:                             ;   in Loop: Header=BB11_1319 Depth=1
	s_bcnt1_i32_b32 s20, s20
	v_mov_b32_e32 v6, s20
	s_waitcnt vmcnt(0)
	global_atomic_add_x2 v[0:1], v[6:7], off offset:8
.LBB11_1382:                            ;   in Loop: Header=BB11_1319 Depth=1
	s_or_b32 exec_lo, exec_lo, s15
	s_waitcnt vmcnt(0)
	global_load_dwordx2 v[2:3], v[0:1], off offset:16
	s_waitcnt vmcnt(0)
	v_cmp_eq_u64_e32 vcc_lo, 0, v[2:3]
	s_cbranch_vccnz .LBB11_1384
; %bb.1383:                             ;   in Loop: Header=BB11_1319 Depth=1
	global_load_dword v6, v[0:1], off offset:24
	s_waitcnt vmcnt(0)
	v_and_b32_e32 v0, 0x7fffff, v6
	s_waitcnt_vscnt null, 0x0
	global_store_dwordx2 v[2:3], v[6:7], off
	v_readfirstlane_b32 m0, v0
	s_sendmsg sendmsg(MSG_INTERRUPT)
.LBB11_1384:                            ;   in Loop: Header=BB11_1319 Depth=1
	s_or_b32 exec_lo, exec_lo, s5
	v_add_co_u32 v0, vcc_lo, v24, v68
	v_add_co_ci_u32_e32 v1, vcc_lo, 0, v25, vcc_lo
	s_branch .LBB11_1388
	.p2align	6
.LBB11_1385:                            ;   in Loop: Header=BB11_1388 Depth=2
	s_or_b32 exec_lo, exec_lo, s5
	v_readfirstlane_b32 s5, v2
	s_cmp_eq_u32 s5, 0
	s_cbranch_scc1 .LBB11_1387
; %bb.1386:                             ;   in Loop: Header=BB11_1388 Depth=2
	s_sleep 1
	s_cbranch_execnz .LBB11_1388
	s_branch .LBB11_1390
	.p2align	6
.LBB11_1387:                            ;   in Loop: Header=BB11_1319 Depth=1
	s_branch .LBB11_1390
.LBB11_1388:                            ;   Parent Loop BB11_1319 Depth=1
                                        ; =>  This Inner Loop Header: Depth=2
	v_mov_b32_e32 v2, 1
	s_and_saveexec_b32 s5, s4
	s_cbranch_execz .LBB11_1385
; %bb.1389:                             ;   in Loop: Header=BB11_1388 Depth=2
	global_load_dword v2, v[26:27], off offset:20 glc dlc
	s_waitcnt vmcnt(0)
	buffer_gl1_inv
	buffer_gl0_inv
	v_and_b32_e32 v2, 1, v2
	s_branch .LBB11_1385
.LBB11_1390:                            ;   in Loop: Header=BB11_1319 Depth=1
	global_load_dwordx4 v[0:3], v[0:1], off
	s_and_saveexec_b32 s5, s4
	s_cbranch_execz .LBB11_1318
; %bb.1391:                             ;   in Loop: Header=BB11_1319 Depth=1
	s_clause 0x2
	global_load_dwordx2 v[2:3], v7, s[40:41] offset:40
	global_load_dwordx2 v[14:15], v7, s[40:41] offset:24 glc dlc
	global_load_dwordx2 v[12:13], v7, s[40:41]
	s_waitcnt vmcnt(2)
	v_add_co_u32 v6, vcc_lo, v2, 1
	v_add_co_ci_u32_e32 v16, vcc_lo, 0, v3, vcc_lo
	v_add_co_u32 v10, vcc_lo, v6, s18
	v_add_co_ci_u32_e32 v11, vcc_lo, s19, v16, vcc_lo
	v_cmp_eq_u64_e32 vcc_lo, 0, v[10:11]
	v_cndmask_b32_e32 v11, v11, v16, vcc_lo
	v_cndmask_b32_e32 v10, v10, v6, vcc_lo
	v_and_b32_e32 v3, v11, v3
	v_and_b32_e32 v2, v10, v2
	v_mul_lo_u32 v3, v3, 24
	v_mul_hi_u32 v6, v2, 24
	v_mul_lo_u32 v2, v2, 24
	v_add_nc_u32_e32 v3, v6, v3
	s_waitcnt vmcnt(0)
	v_add_co_u32 v2, vcc_lo, v12, v2
	v_mov_b32_e32 v12, v14
	v_add_co_ci_u32_e32 v3, vcc_lo, v13, v3, vcc_lo
	v_mov_b32_e32 v13, v15
	global_store_dwordx2 v[2:3], v[14:15], off
	s_waitcnt_vscnt null, 0x0
	global_atomic_cmpswap_x2 v[12:13], v7, v[10:13], s[40:41] offset:24 glc
	s_waitcnt vmcnt(0)
	v_cmp_ne_u64_e32 vcc_lo, v[12:13], v[14:15]
	s_and_b32 exec_lo, exec_lo, vcc_lo
	s_cbranch_execz .LBB11_1318
; %bb.1392:                             ;   in Loop: Header=BB11_1319 Depth=1
	s_mov_b32 s4, 0
.LBB11_1393:                            ;   Parent Loop BB11_1319 Depth=1
                                        ; =>  This Inner Loop Header: Depth=2
	s_sleep 1
	global_store_dwordx2 v[2:3], v[12:13], off
	s_waitcnt_vscnt null, 0x0
	global_atomic_cmpswap_x2 v[14:15], v7, v[10:13], s[40:41] offset:24 glc
	s_waitcnt vmcnt(0)
	v_cmp_eq_u64_e32 vcc_lo, v[14:15], v[12:13]
	v_mov_b32_e32 v12, v14
	v_mov_b32_e32 v13, v15
	s_or_b32 s4, vcc_lo, s4
	s_andn2_b32 exec_lo, exec_lo, s4
	s_cbranch_execnz .LBB11_1393
	s_branch .LBB11_1318
.LBB11_1394:
	s_branch .LBB11_1423
.LBB11_1395:
                                        ; implicit-def: $vgpr0_vgpr1
	s_cbranch_execz .LBB11_1423
; %bb.1396:
	v_readfirstlane_b32 s4, v69
	v_mov_b32_e32 v7, 0
	v_mov_b32_e32 v8, 0
	v_cmp_eq_u32_e64 s4, s4, v69
	s_and_saveexec_b32 s5, s4
	s_cbranch_execz .LBB11_1402
; %bb.1397:
	s_waitcnt vmcnt(0)
	v_mov_b32_e32 v0, 0
	s_mov_b32 s6, exec_lo
	global_load_dwordx2 v[9:10], v0, s[40:41] offset:24 glc dlc
	s_waitcnt vmcnt(0)
	buffer_gl1_inv
	buffer_gl0_inv
	s_clause 0x1
	global_load_dwordx2 v[1:2], v0, s[40:41] offset:40
	global_load_dwordx2 v[6:7], v0, s[40:41]
	s_waitcnt vmcnt(1)
	v_and_b32_e32 v2, v2, v10
	v_and_b32_e32 v1, v1, v9
	v_mul_lo_u32 v2, v2, 24
	v_mul_hi_u32 v3, v1, 24
	v_mul_lo_u32 v1, v1, 24
	v_add_nc_u32_e32 v2, v3, v2
	s_waitcnt vmcnt(0)
	v_add_co_u32 v1, vcc_lo, v6, v1
	v_add_co_ci_u32_e32 v2, vcc_lo, v7, v2, vcc_lo
	global_load_dwordx2 v[7:8], v[1:2], off glc dlc
	s_waitcnt vmcnt(0)
	global_atomic_cmpswap_x2 v[7:8], v0, v[7:10], s[40:41] offset:24 glc
	s_waitcnt vmcnt(0)
	buffer_gl1_inv
	buffer_gl0_inv
	v_cmpx_ne_u64_e64 v[7:8], v[9:10]
	s_cbranch_execz .LBB11_1401
; %bb.1398:
	s_mov_b32 s7, 0
	.p2align	6
.LBB11_1399:                            ; =>This Inner Loop Header: Depth=1
	s_sleep 1
	s_clause 0x1
	global_load_dwordx2 v[1:2], v0, s[40:41] offset:40
	global_load_dwordx2 v[11:12], v0, s[40:41]
	v_mov_b32_e32 v10, v8
	v_mov_b32_e32 v9, v7
	s_waitcnt vmcnt(1)
	v_and_b32_e32 v1, v1, v9
	v_and_b32_e32 v2, v2, v10
	s_waitcnt vmcnt(0)
	v_mad_u64_u32 v[6:7], null, v1, 24, v[11:12]
	v_mov_b32_e32 v1, v7
	v_mad_u64_u32 v[1:2], null, v2, 24, v[1:2]
	v_mov_b32_e32 v7, v1
	global_load_dwordx2 v[7:8], v[6:7], off glc dlc
	s_waitcnt vmcnt(0)
	global_atomic_cmpswap_x2 v[7:8], v0, v[7:10], s[40:41] offset:24 glc
	s_waitcnt vmcnt(0)
	buffer_gl1_inv
	buffer_gl0_inv
	v_cmp_eq_u64_e32 vcc_lo, v[7:8], v[9:10]
	s_or_b32 s7, vcc_lo, s7
	s_andn2_b32 exec_lo, exec_lo, s7
	s_cbranch_execnz .LBB11_1399
; %bb.1400:
	s_or_b32 exec_lo, exec_lo, s7
.LBB11_1401:
	s_or_b32 exec_lo, exec_lo, s6
.LBB11_1402:
	s_or_b32 exec_lo, exec_lo, s5
	v_mov_b32_e32 v6, 0
	v_readfirstlane_b32 s6, v7
	v_readfirstlane_b32 s7, v8
	s_mov_b32 s5, exec_lo
	s_clause 0x1
	global_load_dwordx2 v[9:10], v6, s[40:41] offset:40
	global_load_dwordx4 v[0:3], v6, s[40:41]
	s_waitcnt vmcnt(1)
	v_readfirstlane_b32 s10, v9
	v_readfirstlane_b32 s11, v10
	s_and_b64 s[10:11], s[6:7], s[10:11]
	s_mul_i32 s15, s11, 24
	s_mul_hi_u32 s16, s10, 24
	s_mul_i32 s17, s10, 24
	s_add_i32 s16, s16, s15
	s_waitcnt vmcnt(0)
	v_add_co_u32 v8, vcc_lo, v0, s17
	v_add_co_ci_u32_e32 v9, vcc_lo, s16, v1, vcc_lo
	s_and_saveexec_b32 s15, s4
	s_cbranch_execz .LBB11_1404
; %bb.1403:
	v_mov_b32_e32 v10, s5
	v_mov_b32_e32 v11, v6
	;; [unrolled: 1-line block ×4, first 2 shown]
	global_store_dwordx4 v[8:9], v[10:13], off offset:8
.LBB11_1404:
	s_or_b32 exec_lo, exec_lo, s15
	s_lshl_b64 s[10:11], s[10:11], 12
	s_mov_b32 s16, 0
	v_add_co_u32 v2, vcc_lo, v2, s10
	v_add_co_ci_u32_e32 v3, vcc_lo, s11, v3, vcc_lo
	s_mov_b32 s17, s16
	v_add_co_u32 v10, vcc_lo, v2, v68
	s_mov_b32 s18, s16
	s_mov_b32 s19, s16
	v_and_or_b32 v4, 0xffffff1f, v4, 32
	v_mov_b32_e32 v7, v6
	v_readfirstlane_b32 s10, v2
	v_readfirstlane_b32 s11, v3
	v_mov_b32_e32 v12, s16
	v_add_co_ci_u32_e32 v11, vcc_lo, 0, v3, vcc_lo
	v_mov_b32_e32 v13, s17
	v_mov_b32_e32 v14, s18
	;; [unrolled: 1-line block ×3, first 2 shown]
	global_store_dwordx4 v68, v[4:7], s[10:11]
	global_store_dwordx4 v68, v[12:15], s[10:11] offset:16
	global_store_dwordx4 v68, v[12:15], s[10:11] offset:32
	;; [unrolled: 1-line block ×3, first 2 shown]
	s_and_saveexec_b32 s5, s4
	s_cbranch_execz .LBB11_1412
; %bb.1405:
	v_mov_b32_e32 v6, 0
	v_mov_b32_e32 v12, s6
	;; [unrolled: 1-line block ×3, first 2 shown]
	s_clause 0x1
	global_load_dwordx2 v[14:15], v6, s[40:41] offset:32 glc dlc
	global_load_dwordx2 v[2:3], v6, s[40:41] offset:40
	s_waitcnt vmcnt(0)
	v_readfirstlane_b32 s10, v2
	v_readfirstlane_b32 s11, v3
	s_and_b64 s[10:11], s[10:11], s[6:7]
	s_mul_i32 s11, s11, 24
	s_mul_hi_u32 s15, s10, 24
	s_mul_i32 s10, s10, 24
	s_add_i32 s15, s15, s11
	v_add_co_u32 v4, vcc_lo, v0, s10
	v_add_co_ci_u32_e32 v5, vcc_lo, s15, v1, vcc_lo
	s_mov_b32 s10, exec_lo
	global_store_dwordx2 v[4:5], v[14:15], off
	s_waitcnt_vscnt null, 0x0
	global_atomic_cmpswap_x2 v[2:3], v6, v[12:15], s[40:41] offset:32 glc
	s_waitcnt vmcnt(0)
	v_cmpx_ne_u64_e64 v[2:3], v[14:15]
	s_cbranch_execz .LBB11_1408
; %bb.1406:
	s_mov_b32 s11, 0
.LBB11_1407:                            ; =>This Inner Loop Header: Depth=1
	v_mov_b32_e32 v0, s6
	v_mov_b32_e32 v1, s7
	s_sleep 1
	global_store_dwordx2 v[4:5], v[2:3], off
	s_waitcnt_vscnt null, 0x0
	global_atomic_cmpswap_x2 v[0:1], v6, v[0:3], s[40:41] offset:32 glc
	s_waitcnt vmcnt(0)
	v_cmp_eq_u64_e32 vcc_lo, v[0:1], v[2:3]
	v_mov_b32_e32 v3, v1
	v_mov_b32_e32 v2, v0
	s_or_b32 s11, vcc_lo, s11
	s_andn2_b32 exec_lo, exec_lo, s11
	s_cbranch_execnz .LBB11_1407
.LBB11_1408:
	s_or_b32 exec_lo, exec_lo, s10
	v_mov_b32_e32 v3, 0
	s_mov_b32 s11, exec_lo
	s_mov_b32 s10, exec_lo
	v_mbcnt_lo_u32_b32 v2, s11, 0
	global_load_dwordx2 v[0:1], v3, s[40:41] offset:16
	v_cmpx_eq_u32_e32 0, v2
	s_cbranch_execz .LBB11_1410
; %bb.1409:
	s_bcnt1_i32_b32 s11, s11
	v_mov_b32_e32 v2, s11
	s_waitcnt vmcnt(0)
	global_atomic_add_x2 v[0:1], v[2:3], off offset:8
.LBB11_1410:
	s_or_b32 exec_lo, exec_lo, s10
	s_waitcnt vmcnt(0)
	global_load_dwordx2 v[2:3], v[0:1], off offset:16
	s_waitcnt vmcnt(0)
	v_cmp_eq_u64_e32 vcc_lo, 0, v[2:3]
	s_cbranch_vccnz .LBB11_1412
; %bb.1411:
	global_load_dword v0, v[0:1], off offset:24
	v_mov_b32_e32 v1, 0
	s_waitcnt vmcnt(0)
	v_and_b32_e32 v4, 0x7fffff, v0
	s_waitcnt_vscnt null, 0x0
	global_store_dwordx2 v[2:3], v[0:1], off
	v_readfirstlane_b32 m0, v4
	s_sendmsg sendmsg(MSG_INTERRUPT)
.LBB11_1412:
	s_or_b32 exec_lo, exec_lo, s5
	s_branch .LBB11_1416
	.p2align	6
.LBB11_1413:                            ;   in Loop: Header=BB11_1416 Depth=1
	s_or_b32 exec_lo, exec_lo, s5
	v_readfirstlane_b32 s5, v0
	s_cmp_eq_u32 s5, 0
	s_cbranch_scc1 .LBB11_1415
; %bb.1414:                             ;   in Loop: Header=BB11_1416 Depth=1
	s_sleep 1
	s_cbranch_execnz .LBB11_1416
	s_branch .LBB11_1418
	.p2align	6
.LBB11_1415:
	s_branch .LBB11_1418
.LBB11_1416:                            ; =>This Inner Loop Header: Depth=1
	v_mov_b32_e32 v0, 1
	s_and_saveexec_b32 s5, s4
	s_cbranch_execz .LBB11_1413
; %bb.1417:                             ;   in Loop: Header=BB11_1416 Depth=1
	global_load_dword v0, v[8:9], off offset:20 glc dlc
	s_waitcnt vmcnt(0)
	buffer_gl1_inv
	buffer_gl0_inv
	v_and_b32_e32 v0, 1, v0
	s_branch .LBB11_1413
.LBB11_1418:
	global_load_dwordx2 v[0:1], v[10:11], off
	s_and_saveexec_b32 s5, s4
	s_cbranch_execz .LBB11_1422
; %bb.1419:
	v_mov_b32_e32 v8, 0
	s_clause 0x2
	global_load_dwordx2 v[4:5], v8, s[40:41] offset:40
	global_load_dwordx2 v[9:10], v8, s[40:41] offset:24 glc dlc
	global_load_dwordx2 v[6:7], v8, s[40:41]
	s_waitcnt vmcnt(2)
	v_add_co_u32 v11, vcc_lo, v4, 1
	v_add_co_ci_u32_e32 v12, vcc_lo, 0, v5, vcc_lo
	v_add_co_u32 v2, vcc_lo, v11, s6
	v_add_co_ci_u32_e32 v3, vcc_lo, s7, v12, vcc_lo
	v_cmp_eq_u64_e32 vcc_lo, 0, v[2:3]
	v_cndmask_b32_e32 v3, v3, v12, vcc_lo
	v_cndmask_b32_e32 v2, v2, v11, vcc_lo
	v_and_b32_e32 v5, v3, v5
	v_and_b32_e32 v4, v2, v4
	v_mul_lo_u32 v5, v5, 24
	v_mul_hi_u32 v11, v4, 24
	v_mul_lo_u32 v4, v4, 24
	v_add_nc_u32_e32 v5, v11, v5
	s_waitcnt vmcnt(0)
	v_add_co_u32 v6, vcc_lo, v6, v4
	v_mov_b32_e32 v4, v9
	v_add_co_ci_u32_e32 v7, vcc_lo, v7, v5, vcc_lo
	v_mov_b32_e32 v5, v10
	global_store_dwordx2 v[6:7], v[9:10], off
	s_waitcnt_vscnt null, 0x0
	global_atomic_cmpswap_x2 v[4:5], v8, v[2:5], s[40:41] offset:24 glc
	s_waitcnt vmcnt(0)
	v_cmp_ne_u64_e32 vcc_lo, v[4:5], v[9:10]
	s_and_b32 exec_lo, exec_lo, vcc_lo
	s_cbranch_execz .LBB11_1422
; %bb.1420:
	s_mov_b32 s4, 0
.LBB11_1421:                            ; =>This Inner Loop Header: Depth=1
	s_sleep 1
	global_store_dwordx2 v[6:7], v[4:5], off
	s_waitcnt_vscnt null, 0x0
	global_atomic_cmpswap_x2 v[9:10], v8, v[2:5], s[40:41] offset:24 glc
	s_waitcnt vmcnt(0)
	v_cmp_eq_u64_e32 vcc_lo, v[9:10], v[4:5]
	v_mov_b32_e32 v4, v9
	v_mov_b32_e32 v5, v10
	s_or_b32 s4, vcc_lo, s4
	s_andn2_b32 exec_lo, exec_lo, s4
	s_cbranch_execnz .LBB11_1421
.LBB11_1422:
	s_or_b32 exec_lo, exec_lo, s5
.LBB11_1423:
	s_getpc_b64 s[6:7]
	s_add_u32 s6, s6, .str.2@rel32@lo+4
	s_addc_u32 s7, s7, .str.2@rel32@hi+12
	s_cmp_lg_u64 s[6:7], 0
	s_cbranch_scc0 .LBB11_1502
; %bb.1424:
	s_waitcnt vmcnt(0)
	v_and_b32_e32 v6, -3, v0
	v_mov_b32_e32 v7, v1
	v_mov_b32_e32 v3, 0
	;; [unrolled: 1-line block ×4, first 2 shown]
	s_mov_b64 s[10:11], 13
	s_branch .LBB11_1426
.LBB11_1425:                            ;   in Loop: Header=BB11_1426 Depth=1
	s_or_b32 exec_lo, exec_lo, s5
	s_sub_u32 s10, s10, s16
	s_subb_u32 s11, s11, s17
	s_add_u32 s6, s6, s16
	s_addc_u32 s7, s7, s17
	s_cmp_lg_u64 s[10:11], 0
	s_cbranch_scc0 .LBB11_1501
.LBB11_1426:                            ; =>This Loop Header: Depth=1
                                        ;     Child Loop BB11_1435 Depth 2
                                        ;     Child Loop BB11_1431 Depth 2
	;; [unrolled: 1-line block ×11, first 2 shown]
	v_cmp_lt_u64_e64 s4, s[10:11], 56
	v_cmp_gt_u64_e64 s5, s[10:11], 7
                                        ; implicit-def: $sgpr15
	s_and_b32 s4, s4, exec_lo
	s_cselect_b32 s17, s11, 0
	s_cselect_b32 s16, s10, 56
	s_and_b32 vcc_lo, exec_lo, s5
	s_mov_b32 s4, -1
	s_cbranch_vccz .LBB11_1433
; %bb.1427:                             ;   in Loop: Header=BB11_1426 Depth=1
	s_andn2_b32 vcc_lo, exec_lo, s4
	s_mov_b64 s[4:5], s[6:7]
	s_cbranch_vccz .LBB11_1437
.LBB11_1428:                            ;   in Loop: Header=BB11_1426 Depth=1
	s_cmp_gt_u32 s15, 7
	s_cbranch_scc1 .LBB11_1438
.LBB11_1429:                            ;   in Loop: Header=BB11_1426 Depth=1
	v_mov_b32_e32 v10, 0
	v_mov_b32_e32 v11, 0
	s_cmp_eq_u32 s15, 0
	s_cbranch_scc1 .LBB11_1432
; %bb.1430:                             ;   in Loop: Header=BB11_1426 Depth=1
	s_mov_b64 s[18:19], 0
	s_mov_b64 s[20:21], 0
.LBB11_1431:                            ;   Parent Loop BB11_1426 Depth=1
                                        ; =>  This Inner Loop Header: Depth=2
	s_add_u32 s22, s4, s20
	s_addc_u32 s23, s5, s21
	s_add_u32 s20, s20, 1
	global_load_ubyte v2, v3, s[22:23]
	s_addc_u32 s21, s21, 0
	s_waitcnt vmcnt(0)
	v_and_b32_e32 v2, 0xffff, v2
	v_lshlrev_b64 v[12:13], s18, v[2:3]
	s_add_u32 s18, s18, 8
	s_addc_u32 s19, s19, 0
	s_cmp_lg_u32 s15, s20
	v_or_b32_e32 v10, v12, v10
	v_or_b32_e32 v11, v13, v11
	s_cbranch_scc1 .LBB11_1431
.LBB11_1432:                            ;   in Loop: Header=BB11_1426 Depth=1
	s_mov_b32 s22, 0
	s_cbranch_execz .LBB11_1439
	s_branch .LBB11_1440
.LBB11_1433:                            ;   in Loop: Header=BB11_1426 Depth=1
	s_waitcnt vmcnt(0)
	v_mov_b32_e32 v8, 0
	v_mov_b32_e32 v9, 0
	s_cmp_eq_u64 s[10:11], 0
	s_mov_b64 s[4:5], 0
	s_cbranch_scc1 .LBB11_1436
; %bb.1434:                             ;   in Loop: Header=BB11_1426 Depth=1
	v_mov_b32_e32 v8, 0
	v_mov_b32_e32 v9, 0
	s_lshl_b64 s[18:19], s[16:17], 3
	s_mov_b64 s[20:21], s[6:7]
.LBB11_1435:                            ;   Parent Loop BB11_1426 Depth=1
                                        ; =>  This Inner Loop Header: Depth=2
	global_load_ubyte v2, v3, s[20:21]
	s_waitcnt vmcnt(0)
	v_and_b32_e32 v2, 0xffff, v2
	v_lshlrev_b64 v[10:11], s4, v[2:3]
	s_add_u32 s4, s4, 8
	s_addc_u32 s5, s5, 0
	s_add_u32 s20, s20, 1
	s_addc_u32 s21, s21, 0
	s_cmp_lg_u32 s18, s4
	v_or_b32_e32 v8, v10, v8
	v_or_b32_e32 v9, v11, v9
	s_cbranch_scc1 .LBB11_1435
.LBB11_1436:                            ;   in Loop: Header=BB11_1426 Depth=1
	s_mov_b32 s15, 0
	s_mov_b64 s[4:5], s[6:7]
	s_cbranch_execnz .LBB11_1428
.LBB11_1437:                            ;   in Loop: Header=BB11_1426 Depth=1
	global_load_dwordx2 v[8:9], v3, s[6:7]
	s_add_i32 s15, s16, -8
	s_add_u32 s4, s6, 8
	s_addc_u32 s5, s7, 0
	s_cmp_gt_u32 s15, 7
	s_cbranch_scc0 .LBB11_1429
.LBB11_1438:                            ;   in Loop: Header=BB11_1426 Depth=1
                                        ; implicit-def: $vgpr10_vgpr11
                                        ; implicit-def: $sgpr22
.LBB11_1439:                            ;   in Loop: Header=BB11_1426 Depth=1
	global_load_dwordx2 v[10:11], v3, s[4:5]
	s_add_i32 s22, s15, -8
	s_add_u32 s4, s4, 8
	s_addc_u32 s5, s5, 0
.LBB11_1440:                            ;   in Loop: Header=BB11_1426 Depth=1
	s_cmp_gt_u32 s22, 7
	s_cbranch_scc1 .LBB11_1445
; %bb.1441:                             ;   in Loop: Header=BB11_1426 Depth=1
	v_mov_b32_e32 v12, 0
	v_mov_b32_e32 v13, 0
	s_cmp_eq_u32 s22, 0
	s_cbranch_scc1 .LBB11_1444
; %bb.1442:                             ;   in Loop: Header=BB11_1426 Depth=1
	s_mov_b64 s[18:19], 0
	s_mov_b64 s[20:21], 0
.LBB11_1443:                            ;   Parent Loop BB11_1426 Depth=1
                                        ; =>  This Inner Loop Header: Depth=2
	s_add_u32 s24, s4, s20
	s_addc_u32 s25, s5, s21
	s_add_u32 s20, s20, 1
	global_load_ubyte v2, v3, s[24:25]
	s_addc_u32 s21, s21, 0
	s_waitcnt vmcnt(0)
	v_and_b32_e32 v2, 0xffff, v2
	v_lshlrev_b64 v[14:15], s18, v[2:3]
	s_add_u32 s18, s18, 8
	s_addc_u32 s19, s19, 0
	s_cmp_lg_u32 s22, s20
	v_or_b32_e32 v12, v14, v12
	v_or_b32_e32 v13, v15, v13
	s_cbranch_scc1 .LBB11_1443
.LBB11_1444:                            ;   in Loop: Header=BB11_1426 Depth=1
	s_mov_b32 s15, 0
	s_cbranch_execz .LBB11_1446
	s_branch .LBB11_1447
.LBB11_1445:                            ;   in Loop: Header=BB11_1426 Depth=1
                                        ; implicit-def: $sgpr15
.LBB11_1446:                            ;   in Loop: Header=BB11_1426 Depth=1
	global_load_dwordx2 v[12:13], v3, s[4:5]
	s_add_i32 s15, s22, -8
	s_add_u32 s4, s4, 8
	s_addc_u32 s5, s5, 0
.LBB11_1447:                            ;   in Loop: Header=BB11_1426 Depth=1
	s_cmp_gt_u32 s15, 7
	s_cbranch_scc1 .LBB11_1452
; %bb.1448:                             ;   in Loop: Header=BB11_1426 Depth=1
	v_mov_b32_e32 v14, 0
	v_mov_b32_e32 v15, 0
	s_cmp_eq_u32 s15, 0
	s_cbranch_scc1 .LBB11_1451
; %bb.1449:                             ;   in Loop: Header=BB11_1426 Depth=1
	s_mov_b64 s[18:19], 0
	s_mov_b64 s[20:21], 0
.LBB11_1450:                            ;   Parent Loop BB11_1426 Depth=1
                                        ; =>  This Inner Loop Header: Depth=2
	s_add_u32 s22, s4, s20
	s_addc_u32 s23, s5, s21
	s_add_u32 s20, s20, 1
	global_load_ubyte v2, v3, s[22:23]
	s_addc_u32 s21, s21, 0
	s_waitcnt vmcnt(0)
	v_and_b32_e32 v2, 0xffff, v2
	v_lshlrev_b64 v[16:17], s18, v[2:3]
	s_add_u32 s18, s18, 8
	s_addc_u32 s19, s19, 0
	s_cmp_lg_u32 s15, s20
	v_or_b32_e32 v14, v16, v14
	v_or_b32_e32 v15, v17, v15
	s_cbranch_scc1 .LBB11_1450
.LBB11_1451:                            ;   in Loop: Header=BB11_1426 Depth=1
	s_mov_b32 s22, 0
	s_cbranch_execz .LBB11_1453
	s_branch .LBB11_1454
.LBB11_1452:                            ;   in Loop: Header=BB11_1426 Depth=1
                                        ; implicit-def: $vgpr14_vgpr15
                                        ; implicit-def: $sgpr22
.LBB11_1453:                            ;   in Loop: Header=BB11_1426 Depth=1
	global_load_dwordx2 v[14:15], v3, s[4:5]
	s_add_i32 s22, s15, -8
	s_add_u32 s4, s4, 8
	s_addc_u32 s5, s5, 0
.LBB11_1454:                            ;   in Loop: Header=BB11_1426 Depth=1
	s_cmp_gt_u32 s22, 7
	s_cbranch_scc1 .LBB11_1459
; %bb.1455:                             ;   in Loop: Header=BB11_1426 Depth=1
	v_mov_b32_e32 v16, 0
	v_mov_b32_e32 v17, 0
	s_cmp_eq_u32 s22, 0
	s_cbranch_scc1 .LBB11_1458
; %bb.1456:                             ;   in Loop: Header=BB11_1426 Depth=1
	s_mov_b64 s[18:19], 0
	s_mov_b64 s[20:21], 0
.LBB11_1457:                            ;   Parent Loop BB11_1426 Depth=1
                                        ; =>  This Inner Loop Header: Depth=2
	s_add_u32 s24, s4, s20
	s_addc_u32 s25, s5, s21
	s_add_u32 s20, s20, 1
	global_load_ubyte v2, v3, s[24:25]
	s_addc_u32 s21, s21, 0
	s_waitcnt vmcnt(0)
	v_and_b32_e32 v2, 0xffff, v2
	v_lshlrev_b64 v[18:19], s18, v[2:3]
	s_add_u32 s18, s18, 8
	s_addc_u32 s19, s19, 0
	s_cmp_lg_u32 s22, s20
	v_or_b32_e32 v16, v18, v16
	v_or_b32_e32 v17, v19, v17
	s_cbranch_scc1 .LBB11_1457
.LBB11_1458:                            ;   in Loop: Header=BB11_1426 Depth=1
	s_mov_b32 s15, 0
	s_cbranch_execz .LBB11_1460
	s_branch .LBB11_1461
.LBB11_1459:                            ;   in Loop: Header=BB11_1426 Depth=1
                                        ; implicit-def: $sgpr15
.LBB11_1460:                            ;   in Loop: Header=BB11_1426 Depth=1
	global_load_dwordx2 v[16:17], v3, s[4:5]
	s_add_i32 s15, s22, -8
	s_add_u32 s4, s4, 8
	s_addc_u32 s5, s5, 0
.LBB11_1461:                            ;   in Loop: Header=BB11_1426 Depth=1
	s_cmp_gt_u32 s15, 7
	s_cbranch_scc1 .LBB11_1466
; %bb.1462:                             ;   in Loop: Header=BB11_1426 Depth=1
	v_mov_b32_e32 v18, 0
	v_mov_b32_e32 v19, 0
	s_cmp_eq_u32 s15, 0
	s_cbranch_scc1 .LBB11_1465
; %bb.1463:                             ;   in Loop: Header=BB11_1426 Depth=1
	s_mov_b64 s[18:19], 0
	s_mov_b64 s[20:21], 0
.LBB11_1464:                            ;   Parent Loop BB11_1426 Depth=1
                                        ; =>  This Inner Loop Header: Depth=2
	s_add_u32 s22, s4, s20
	s_addc_u32 s23, s5, s21
	s_add_u32 s20, s20, 1
	global_load_ubyte v2, v3, s[22:23]
	s_addc_u32 s21, s21, 0
	s_waitcnt vmcnt(0)
	v_and_b32_e32 v2, 0xffff, v2
	v_lshlrev_b64 v[20:21], s18, v[2:3]
	s_add_u32 s18, s18, 8
	s_addc_u32 s19, s19, 0
	s_cmp_lg_u32 s15, s20
	v_or_b32_e32 v18, v20, v18
	v_or_b32_e32 v19, v21, v19
	s_cbranch_scc1 .LBB11_1464
.LBB11_1465:                            ;   in Loop: Header=BB11_1426 Depth=1
	s_mov_b32 s22, 0
	s_cbranch_execz .LBB11_1467
	s_branch .LBB11_1468
.LBB11_1466:                            ;   in Loop: Header=BB11_1426 Depth=1
                                        ; implicit-def: $vgpr18_vgpr19
                                        ; implicit-def: $sgpr22
.LBB11_1467:                            ;   in Loop: Header=BB11_1426 Depth=1
	global_load_dwordx2 v[18:19], v3, s[4:5]
	s_add_i32 s22, s15, -8
	s_add_u32 s4, s4, 8
	s_addc_u32 s5, s5, 0
.LBB11_1468:                            ;   in Loop: Header=BB11_1426 Depth=1
	s_cmp_gt_u32 s22, 7
	s_cbranch_scc1 .LBB11_1473
; %bb.1469:                             ;   in Loop: Header=BB11_1426 Depth=1
	v_mov_b32_e32 v20, 0
	v_mov_b32_e32 v21, 0
	s_cmp_eq_u32 s22, 0
	s_cbranch_scc1 .LBB11_1472
; %bb.1470:                             ;   in Loop: Header=BB11_1426 Depth=1
	s_mov_b64 s[18:19], 0
	s_mov_b64 s[20:21], s[4:5]
.LBB11_1471:                            ;   Parent Loop BB11_1426 Depth=1
                                        ; =>  This Inner Loop Header: Depth=2
	global_load_ubyte v2, v3, s[20:21]
	s_add_i32 s22, s22, -1
	s_waitcnt vmcnt(0)
	v_and_b32_e32 v2, 0xffff, v2
	v_lshlrev_b64 v[22:23], s18, v[2:3]
	s_add_u32 s18, s18, 8
	s_addc_u32 s19, s19, 0
	s_add_u32 s20, s20, 1
	s_addc_u32 s21, s21, 0
	s_cmp_lg_u32 s22, 0
	v_or_b32_e32 v20, v22, v20
	v_or_b32_e32 v21, v23, v21
	s_cbranch_scc1 .LBB11_1471
.LBB11_1472:                            ;   in Loop: Header=BB11_1426 Depth=1
	s_cbranch_execz .LBB11_1474
	s_branch .LBB11_1475
.LBB11_1473:                            ;   in Loop: Header=BB11_1426 Depth=1
.LBB11_1474:                            ;   in Loop: Header=BB11_1426 Depth=1
	global_load_dwordx2 v[20:21], v3, s[4:5]
.LBB11_1475:                            ;   in Loop: Header=BB11_1426 Depth=1
	v_readfirstlane_b32 s4, v69
	v_mov_b32_e32 v26, 0
	v_mov_b32_e32 v27, 0
	v_cmp_eq_u32_e64 s4, s4, v69
	s_and_saveexec_b32 s5, s4
	s_cbranch_execz .LBB11_1481
; %bb.1476:                             ;   in Loop: Header=BB11_1426 Depth=1
	global_load_dwordx2 v[24:25], v3, s[40:41] offset:24 glc dlc
	s_waitcnt vmcnt(0)
	buffer_gl1_inv
	buffer_gl0_inv
	s_clause 0x1
	global_load_dwordx2 v[22:23], v3, s[40:41] offset:40
	global_load_dwordx2 v[26:27], v3, s[40:41]
	s_mov_b32 s15, exec_lo
	s_waitcnt vmcnt(1)
	v_and_b32_e32 v2, v23, v25
	v_and_b32_e32 v22, v22, v24
	v_mul_lo_u32 v2, v2, 24
	v_mul_hi_u32 v23, v22, 24
	v_mul_lo_u32 v22, v22, 24
	v_add_nc_u32_e32 v2, v23, v2
	s_waitcnt vmcnt(0)
	v_add_co_u32 v22, vcc_lo, v26, v22
	v_add_co_ci_u32_e32 v23, vcc_lo, v27, v2, vcc_lo
	global_load_dwordx2 v[22:23], v[22:23], off glc dlc
	s_waitcnt vmcnt(0)
	global_atomic_cmpswap_x2 v[26:27], v3, v[22:25], s[40:41] offset:24 glc
	s_waitcnt vmcnt(0)
	buffer_gl1_inv
	buffer_gl0_inv
	v_cmpx_ne_u64_e64 v[26:27], v[24:25]
	s_cbranch_execz .LBB11_1480
; %bb.1477:                             ;   in Loop: Header=BB11_1426 Depth=1
	s_mov_b32 s18, 0
	.p2align	6
.LBB11_1478:                            ;   Parent Loop BB11_1426 Depth=1
                                        ; =>  This Inner Loop Header: Depth=2
	s_sleep 1
	s_clause 0x1
	global_load_dwordx2 v[22:23], v3, s[40:41] offset:40
	global_load_dwordx2 v[28:29], v3, s[40:41]
	v_mov_b32_e32 v24, v26
	v_mov_b32_e32 v25, v27
	s_waitcnt vmcnt(1)
	v_and_b32_e32 v2, v22, v24
	v_and_b32_e32 v22, v23, v25
	s_waitcnt vmcnt(0)
	v_mad_u64_u32 v[26:27], null, v2, 24, v[28:29]
	v_mov_b32_e32 v2, v27
	v_mad_u64_u32 v[22:23], null, v22, 24, v[2:3]
	v_mov_b32_e32 v27, v22
	global_load_dwordx2 v[22:23], v[26:27], off glc dlc
	s_waitcnt vmcnt(0)
	global_atomic_cmpswap_x2 v[26:27], v3, v[22:25], s[40:41] offset:24 glc
	s_waitcnt vmcnt(0)
	buffer_gl1_inv
	buffer_gl0_inv
	v_cmp_eq_u64_e32 vcc_lo, v[26:27], v[24:25]
	s_or_b32 s18, vcc_lo, s18
	s_andn2_b32 exec_lo, exec_lo, s18
	s_cbranch_execnz .LBB11_1478
; %bb.1479:                             ;   in Loop: Header=BB11_1426 Depth=1
	s_or_b32 exec_lo, exec_lo, s18
.LBB11_1480:                            ;   in Loop: Header=BB11_1426 Depth=1
	s_or_b32 exec_lo, exec_lo, s15
.LBB11_1481:                            ;   in Loop: Header=BB11_1426 Depth=1
	s_or_b32 exec_lo, exec_lo, s5
	s_clause 0x1
	global_load_dwordx2 v[28:29], v3, s[40:41] offset:40
	global_load_dwordx4 v[22:25], v3, s[40:41]
	v_readfirstlane_b32 s18, v26
	v_readfirstlane_b32 s19, v27
	s_mov_b32 s5, exec_lo
	s_waitcnt vmcnt(1)
	v_readfirstlane_b32 s20, v28
	v_readfirstlane_b32 s21, v29
	s_and_b64 s[20:21], s[18:19], s[20:21]
	s_mul_i32 s15, s21, 24
	s_mul_hi_u32 s22, s20, 24
	s_mul_i32 s23, s20, 24
	s_add_i32 s22, s22, s15
	s_waitcnt vmcnt(0)
	v_add_co_u32 v26, vcc_lo, v22, s23
	v_add_co_ci_u32_e32 v27, vcc_lo, s22, v23, vcc_lo
	s_and_saveexec_b32 s15, s4
	s_cbranch_execz .LBB11_1483
; %bb.1482:                             ;   in Loop: Header=BB11_1426 Depth=1
	v_mov_b32_e32 v2, s5
	global_store_dwordx4 v[26:27], v[2:5], off offset:8
.LBB11_1483:                            ;   in Loop: Header=BB11_1426 Depth=1
	s_or_b32 exec_lo, exec_lo, s15
	s_lshl_b64 s[20:21], s[20:21], 12
	v_or_b32_e32 v2, 2, v6
	v_add_co_u32 v24, vcc_lo, v24, s20
	v_add_co_ci_u32_e32 v25, vcc_lo, s21, v25, vcc_lo
	v_cmp_gt_u64_e64 vcc_lo, s[10:11], 56
	s_lshl_b32 s5, s16, 2
	v_readfirstlane_b32 s20, v24
	s_add_i32 s5, s5, 28
	v_readfirstlane_b32 s21, v25
	s_and_b32 s5, s5, 0x1e0
	v_cndmask_b32_e32 v2, v2, v6, vcc_lo
	v_and_or_b32 v6, 0xffffff1f, v2, s5
	global_store_dwordx4 v68, v[10:13], s[20:21] offset:16
	global_store_dwordx4 v68, v[6:9], s[20:21]
	global_store_dwordx4 v68, v[14:17], s[20:21] offset:32
	global_store_dwordx4 v68, v[18:21], s[20:21] offset:48
	s_and_saveexec_b32 s5, s4
	s_cbranch_execz .LBB11_1491
; %bb.1484:                             ;   in Loop: Header=BB11_1426 Depth=1
	s_clause 0x1
	global_load_dwordx2 v[14:15], v3, s[40:41] offset:32 glc dlc
	global_load_dwordx2 v[6:7], v3, s[40:41] offset:40
	v_mov_b32_e32 v12, s18
	v_mov_b32_e32 v13, s19
	s_waitcnt vmcnt(0)
	v_readfirstlane_b32 s20, v6
	v_readfirstlane_b32 s21, v7
	s_and_b64 s[20:21], s[20:21], s[18:19]
	s_mul_i32 s15, s21, 24
	s_mul_hi_u32 s21, s20, 24
	s_mul_i32 s20, s20, 24
	s_add_i32 s21, s21, s15
	v_add_co_u32 v10, vcc_lo, v22, s20
	v_add_co_ci_u32_e32 v11, vcc_lo, s21, v23, vcc_lo
	s_mov_b32 s15, exec_lo
	global_store_dwordx2 v[10:11], v[14:15], off
	s_waitcnt_vscnt null, 0x0
	global_atomic_cmpswap_x2 v[8:9], v3, v[12:15], s[40:41] offset:32 glc
	s_waitcnt vmcnt(0)
	v_cmpx_ne_u64_e64 v[8:9], v[14:15]
	s_cbranch_execz .LBB11_1487
; %bb.1485:                             ;   in Loop: Header=BB11_1426 Depth=1
	s_mov_b32 s20, 0
.LBB11_1486:                            ;   Parent Loop BB11_1426 Depth=1
                                        ; =>  This Inner Loop Header: Depth=2
	v_mov_b32_e32 v6, s18
	v_mov_b32_e32 v7, s19
	s_sleep 1
	global_store_dwordx2 v[10:11], v[8:9], off
	s_waitcnt_vscnt null, 0x0
	global_atomic_cmpswap_x2 v[6:7], v3, v[6:9], s[40:41] offset:32 glc
	s_waitcnt vmcnt(0)
	v_cmp_eq_u64_e32 vcc_lo, v[6:7], v[8:9]
	v_mov_b32_e32 v9, v7
	v_mov_b32_e32 v8, v6
	s_or_b32 s20, vcc_lo, s20
	s_andn2_b32 exec_lo, exec_lo, s20
	s_cbranch_execnz .LBB11_1486
.LBB11_1487:                            ;   in Loop: Header=BB11_1426 Depth=1
	s_or_b32 exec_lo, exec_lo, s15
	global_load_dwordx2 v[6:7], v3, s[40:41] offset:16
	s_mov_b32 s20, exec_lo
	s_mov_b32 s15, exec_lo
	v_mbcnt_lo_u32_b32 v2, s20, 0
	v_cmpx_eq_u32_e32 0, v2
	s_cbranch_execz .LBB11_1489
; %bb.1488:                             ;   in Loop: Header=BB11_1426 Depth=1
	s_bcnt1_i32_b32 s20, s20
	v_mov_b32_e32 v2, s20
	s_waitcnt vmcnt(0)
	global_atomic_add_x2 v[6:7], v[2:3], off offset:8
.LBB11_1489:                            ;   in Loop: Header=BB11_1426 Depth=1
	s_or_b32 exec_lo, exec_lo, s15
	s_waitcnt vmcnt(0)
	global_load_dwordx2 v[8:9], v[6:7], off offset:16
	s_waitcnt vmcnt(0)
	v_cmp_eq_u64_e32 vcc_lo, 0, v[8:9]
	s_cbranch_vccnz .LBB11_1491
; %bb.1490:                             ;   in Loop: Header=BB11_1426 Depth=1
	global_load_dword v2, v[6:7], off offset:24
	s_waitcnt vmcnt(0)
	v_and_b32_e32 v6, 0x7fffff, v2
	s_waitcnt_vscnt null, 0x0
	global_store_dwordx2 v[8:9], v[2:3], off
	v_readfirstlane_b32 m0, v6
	s_sendmsg sendmsg(MSG_INTERRUPT)
.LBB11_1491:                            ;   in Loop: Header=BB11_1426 Depth=1
	s_or_b32 exec_lo, exec_lo, s5
	v_add_co_u32 v6, vcc_lo, v24, v68
	v_add_co_ci_u32_e32 v7, vcc_lo, 0, v25, vcc_lo
	s_branch .LBB11_1495
	.p2align	6
.LBB11_1492:                            ;   in Loop: Header=BB11_1495 Depth=2
	s_or_b32 exec_lo, exec_lo, s5
	v_readfirstlane_b32 s5, v2
	s_cmp_eq_u32 s5, 0
	s_cbranch_scc1 .LBB11_1494
; %bb.1493:                             ;   in Loop: Header=BB11_1495 Depth=2
	s_sleep 1
	s_cbranch_execnz .LBB11_1495
	s_branch .LBB11_1497
	.p2align	6
.LBB11_1494:                            ;   in Loop: Header=BB11_1426 Depth=1
	s_branch .LBB11_1497
.LBB11_1495:                            ;   Parent Loop BB11_1426 Depth=1
                                        ; =>  This Inner Loop Header: Depth=2
	v_mov_b32_e32 v2, 1
	s_and_saveexec_b32 s5, s4
	s_cbranch_execz .LBB11_1492
; %bb.1496:                             ;   in Loop: Header=BB11_1495 Depth=2
	global_load_dword v2, v[26:27], off offset:20 glc dlc
	s_waitcnt vmcnt(0)
	buffer_gl1_inv
	buffer_gl0_inv
	v_and_b32_e32 v2, 1, v2
	s_branch .LBB11_1492
.LBB11_1497:                            ;   in Loop: Header=BB11_1426 Depth=1
	global_load_dwordx4 v[6:9], v[6:7], off
	s_and_saveexec_b32 s5, s4
	s_cbranch_execz .LBB11_1425
; %bb.1498:                             ;   in Loop: Header=BB11_1426 Depth=1
	s_clause 0x2
	global_load_dwordx2 v[10:11], v3, s[40:41] offset:40
	global_load_dwordx2 v[14:15], v3, s[40:41] offset:24 glc dlc
	global_load_dwordx2 v[12:13], v3, s[40:41]
	s_waitcnt vmcnt(2)
	v_add_co_u32 v2, vcc_lo, v10, 1
	v_add_co_ci_u32_e32 v16, vcc_lo, 0, v11, vcc_lo
	v_add_co_u32 v8, vcc_lo, v2, s18
	v_add_co_ci_u32_e32 v9, vcc_lo, s19, v16, vcc_lo
	v_cmp_eq_u64_e32 vcc_lo, 0, v[8:9]
	v_cndmask_b32_e32 v9, v9, v16, vcc_lo
	v_cndmask_b32_e32 v8, v8, v2, vcc_lo
	v_and_b32_e32 v2, v9, v11
	v_and_b32_e32 v10, v8, v10
	v_mul_lo_u32 v2, v2, 24
	v_mul_hi_u32 v11, v10, 24
	v_mul_lo_u32 v10, v10, 24
	v_add_nc_u32_e32 v2, v11, v2
	s_waitcnt vmcnt(0)
	v_add_co_u32 v12, vcc_lo, v12, v10
	v_mov_b32_e32 v10, v14
	v_mov_b32_e32 v11, v15
	v_add_co_ci_u32_e32 v13, vcc_lo, v13, v2, vcc_lo
	global_store_dwordx2 v[12:13], v[14:15], off
	s_waitcnt_vscnt null, 0x0
	global_atomic_cmpswap_x2 v[10:11], v3, v[8:11], s[40:41] offset:24 glc
	s_waitcnt vmcnt(0)
	v_cmp_ne_u64_e32 vcc_lo, v[10:11], v[14:15]
	s_and_b32 exec_lo, exec_lo, vcc_lo
	s_cbranch_execz .LBB11_1425
; %bb.1499:                             ;   in Loop: Header=BB11_1426 Depth=1
	s_mov_b32 s4, 0
.LBB11_1500:                            ;   Parent Loop BB11_1426 Depth=1
                                        ; =>  This Inner Loop Header: Depth=2
	s_sleep 1
	global_store_dwordx2 v[12:13], v[10:11], off
	s_waitcnt_vscnt null, 0x0
	global_atomic_cmpswap_x2 v[14:15], v3, v[8:11], s[40:41] offset:24 glc
	s_waitcnt vmcnt(0)
	v_cmp_eq_u64_e32 vcc_lo, v[14:15], v[10:11]
	v_mov_b32_e32 v10, v14
	v_mov_b32_e32 v11, v15
	s_or_b32 s4, vcc_lo, s4
	s_andn2_b32 exec_lo, exec_lo, s4
	s_cbranch_execnz .LBB11_1500
	s_branch .LBB11_1425
.LBB11_1501:
	s_mov_b32 s4, 0
	s_branch .LBB11_1503
.LBB11_1502:
	s_mov_b32 s4, -1
.LBB11_1503:
	s_mov_b32 s45, s12
	s_mov_b32 s46, s13
	;; [unrolled: 1-line block ×3, first 2 shown]
	s_and_b32 vcc_lo, exec_lo, s4
	s_cbranch_vccz .LBB11_1531
; %bb.1504:
	v_readfirstlane_b32 s4, v69
	s_waitcnt vmcnt(0)
	v_mov_b32_e32 v8, 0
	v_mov_b32_e32 v9, 0
	v_cmp_eq_u32_e64 s4, s4, v69
	s_and_saveexec_b32 s5, s4
	s_cbranch_execz .LBB11_1510
; %bb.1505:
	v_mov_b32_e32 v2, 0
	s_mov_b32 s6, exec_lo
	global_load_dwordx2 v[5:6], v2, s[40:41] offset:24 glc dlc
	s_waitcnt vmcnt(0)
	buffer_gl1_inv
	buffer_gl0_inv
	s_clause 0x1
	global_load_dwordx2 v[3:4], v2, s[40:41] offset:40
	global_load_dwordx2 v[7:8], v2, s[40:41]
	s_waitcnt vmcnt(1)
	v_and_b32_e32 v4, v4, v6
	v_and_b32_e32 v3, v3, v5
	v_mul_lo_u32 v4, v4, 24
	v_mul_hi_u32 v9, v3, 24
	v_mul_lo_u32 v3, v3, 24
	v_add_nc_u32_e32 v4, v9, v4
	s_waitcnt vmcnt(0)
	v_add_co_u32 v3, vcc_lo, v7, v3
	v_add_co_ci_u32_e32 v4, vcc_lo, v8, v4, vcc_lo
	global_load_dwordx2 v[3:4], v[3:4], off glc dlc
	s_waitcnt vmcnt(0)
	global_atomic_cmpswap_x2 v[8:9], v2, v[3:6], s[40:41] offset:24 glc
	s_waitcnt vmcnt(0)
	buffer_gl1_inv
	buffer_gl0_inv
	v_cmpx_ne_u64_e64 v[8:9], v[5:6]
	s_cbranch_execz .LBB11_1509
; %bb.1506:
	s_mov_b32 s7, 0
	.p2align	6
.LBB11_1507:                            ; =>This Inner Loop Header: Depth=1
	s_sleep 1
	s_clause 0x1
	global_load_dwordx2 v[3:4], v2, s[40:41] offset:40
	global_load_dwordx2 v[10:11], v2, s[40:41]
	v_mov_b32_e32 v5, v8
	v_mov_b32_e32 v6, v9
	s_waitcnt vmcnt(1)
	v_and_b32_e32 v3, v3, v5
	v_and_b32_e32 v4, v4, v6
	s_waitcnt vmcnt(0)
	v_mad_u64_u32 v[7:8], null, v3, 24, v[10:11]
	v_mov_b32_e32 v3, v8
	v_mad_u64_u32 v[3:4], null, v4, 24, v[3:4]
	v_mov_b32_e32 v8, v3
	global_load_dwordx2 v[3:4], v[7:8], off glc dlc
	s_waitcnt vmcnt(0)
	global_atomic_cmpswap_x2 v[8:9], v2, v[3:6], s[40:41] offset:24 glc
	s_waitcnt vmcnt(0)
	buffer_gl1_inv
	buffer_gl0_inv
	v_cmp_eq_u64_e32 vcc_lo, v[8:9], v[5:6]
	s_or_b32 s7, vcc_lo, s7
	s_andn2_b32 exec_lo, exec_lo, s7
	s_cbranch_execnz .LBB11_1507
; %bb.1508:
	s_or_b32 exec_lo, exec_lo, s7
.LBB11_1509:
	s_or_b32 exec_lo, exec_lo, s6
.LBB11_1510:
	s_or_b32 exec_lo, exec_lo, s5
	v_mov_b32_e32 v2, 0
	v_readfirstlane_b32 s6, v8
	v_readfirstlane_b32 s7, v9
	s_mov_b32 s5, exec_lo
	s_clause 0x1
	global_load_dwordx2 v[10:11], v2, s[40:41] offset:40
	global_load_dwordx4 v[4:7], v2, s[40:41]
	s_waitcnt vmcnt(1)
	v_readfirstlane_b32 s10, v10
	v_readfirstlane_b32 s11, v11
	s_and_b64 s[10:11], s[6:7], s[10:11]
	s_mul_i32 s12, s11, 24
	s_mul_hi_u32 s13, s10, 24
	s_mul_i32 s14, s10, 24
	s_add_i32 s13, s13, s12
	s_waitcnt vmcnt(0)
	v_add_co_u32 v8, vcc_lo, v4, s14
	v_add_co_ci_u32_e32 v9, vcc_lo, s13, v5, vcc_lo
	s_and_saveexec_b32 s12, s4
	s_cbranch_execz .LBB11_1512
; %bb.1511:
	v_mov_b32_e32 v10, s5
	v_mov_b32_e32 v11, v2
	;; [unrolled: 1-line block ×4, first 2 shown]
	global_store_dwordx4 v[8:9], v[10:13], off offset:8
.LBB11_1512:
	s_or_b32 exec_lo, exec_lo, s12
	s_lshl_b64 s[10:11], s[10:11], 12
	s_mov_b32 s12, 0
	v_add_co_u32 v6, vcc_lo, v6, s10
	v_add_co_ci_u32_e32 v7, vcc_lo, s11, v7, vcc_lo
	s_mov_b32 s13, s12
	s_mov_b32 s14, s12
	;; [unrolled: 1-line block ×3, first 2 shown]
	v_and_or_b32 v0, 0xffffff1d, v0, 34
	v_mov_b32_e32 v3, v2
	v_readfirstlane_b32 s10, v6
	v_readfirstlane_b32 s11, v7
	v_mov_b32_e32 v10, s12
	v_mov_b32_e32 v11, s13
	;; [unrolled: 1-line block ×4, first 2 shown]
	global_store_dwordx4 v68, v[0:3], s[10:11]
	global_store_dwordx4 v68, v[10:13], s[10:11] offset:16
	global_store_dwordx4 v68, v[10:13], s[10:11] offset:32
	;; [unrolled: 1-line block ×3, first 2 shown]
	s_and_saveexec_b32 s5, s4
	s_cbranch_execz .LBB11_1520
; %bb.1513:
	v_mov_b32_e32 v6, 0
	v_mov_b32_e32 v10, s6
	;; [unrolled: 1-line block ×3, first 2 shown]
	s_clause 0x1
	global_load_dwordx2 v[12:13], v6, s[40:41] offset:32 glc dlc
	global_load_dwordx2 v[0:1], v6, s[40:41] offset:40
	s_waitcnt vmcnt(0)
	v_readfirstlane_b32 s10, v0
	v_readfirstlane_b32 s11, v1
	s_and_b64 s[10:11], s[10:11], s[6:7]
	s_mul_i32 s11, s11, 24
	s_mul_hi_u32 s12, s10, 24
	s_mul_i32 s10, s10, 24
	s_add_i32 s12, s12, s11
	v_add_co_u32 v4, vcc_lo, v4, s10
	v_add_co_ci_u32_e32 v5, vcc_lo, s12, v5, vcc_lo
	s_mov_b32 s10, exec_lo
	global_store_dwordx2 v[4:5], v[12:13], off
	s_waitcnt_vscnt null, 0x0
	global_atomic_cmpswap_x2 v[2:3], v6, v[10:13], s[40:41] offset:32 glc
	s_waitcnt vmcnt(0)
	v_cmpx_ne_u64_e64 v[2:3], v[12:13]
	s_cbranch_execz .LBB11_1516
; %bb.1514:
	s_mov_b32 s11, 0
.LBB11_1515:                            ; =>This Inner Loop Header: Depth=1
	v_mov_b32_e32 v0, s6
	v_mov_b32_e32 v1, s7
	s_sleep 1
	global_store_dwordx2 v[4:5], v[2:3], off
	s_waitcnt_vscnt null, 0x0
	global_atomic_cmpswap_x2 v[0:1], v6, v[0:3], s[40:41] offset:32 glc
	s_waitcnt vmcnt(0)
	v_cmp_eq_u64_e32 vcc_lo, v[0:1], v[2:3]
	v_mov_b32_e32 v3, v1
	v_mov_b32_e32 v2, v0
	s_or_b32 s11, vcc_lo, s11
	s_andn2_b32 exec_lo, exec_lo, s11
	s_cbranch_execnz .LBB11_1515
.LBB11_1516:
	s_or_b32 exec_lo, exec_lo, s10
	v_mov_b32_e32 v3, 0
	s_mov_b32 s11, exec_lo
	s_mov_b32 s10, exec_lo
	v_mbcnt_lo_u32_b32 v2, s11, 0
	global_load_dwordx2 v[0:1], v3, s[40:41] offset:16
	v_cmpx_eq_u32_e32 0, v2
	s_cbranch_execz .LBB11_1518
; %bb.1517:
	s_bcnt1_i32_b32 s11, s11
	v_mov_b32_e32 v2, s11
	s_waitcnt vmcnt(0)
	global_atomic_add_x2 v[0:1], v[2:3], off offset:8
.LBB11_1518:
	s_or_b32 exec_lo, exec_lo, s10
	s_waitcnt vmcnt(0)
	global_load_dwordx2 v[2:3], v[0:1], off offset:16
	s_waitcnt vmcnt(0)
	v_cmp_eq_u64_e32 vcc_lo, 0, v[2:3]
	s_cbranch_vccnz .LBB11_1520
; %bb.1519:
	global_load_dword v0, v[0:1], off offset:24
	v_mov_b32_e32 v1, 0
	s_waitcnt vmcnt(0)
	v_and_b32_e32 v4, 0x7fffff, v0
	s_waitcnt_vscnt null, 0x0
	global_store_dwordx2 v[2:3], v[0:1], off
	v_readfirstlane_b32 m0, v4
	s_sendmsg sendmsg(MSG_INTERRUPT)
.LBB11_1520:
	s_or_b32 exec_lo, exec_lo, s5
	s_branch .LBB11_1524
	.p2align	6
.LBB11_1521:                            ;   in Loop: Header=BB11_1524 Depth=1
	s_or_b32 exec_lo, exec_lo, s5
	v_readfirstlane_b32 s5, v0
	s_cmp_eq_u32 s5, 0
	s_cbranch_scc1 .LBB11_1523
; %bb.1522:                             ;   in Loop: Header=BB11_1524 Depth=1
	s_sleep 1
	s_cbranch_execnz .LBB11_1524
	s_branch .LBB11_1526
	.p2align	6
.LBB11_1523:
	s_branch .LBB11_1526
.LBB11_1524:                            ; =>This Inner Loop Header: Depth=1
	v_mov_b32_e32 v0, 1
	s_and_saveexec_b32 s5, s4
	s_cbranch_execz .LBB11_1521
; %bb.1525:                             ;   in Loop: Header=BB11_1524 Depth=1
	global_load_dword v0, v[8:9], off offset:20 glc dlc
	s_waitcnt vmcnt(0)
	buffer_gl1_inv
	buffer_gl0_inv
	v_and_b32_e32 v0, 1, v0
	s_branch .LBB11_1521
.LBB11_1526:
	s_and_saveexec_b32 s5, s4
	s_cbranch_execz .LBB11_1530
; %bb.1527:
	v_mov_b32_e32 v6, 0
	s_clause 0x2
	global_load_dwordx2 v[2:3], v6, s[40:41] offset:40
	global_load_dwordx2 v[7:8], v6, s[40:41] offset:24 glc dlc
	global_load_dwordx2 v[4:5], v6, s[40:41]
	s_waitcnt vmcnt(2)
	v_add_co_u32 v9, vcc_lo, v2, 1
	v_add_co_ci_u32_e32 v10, vcc_lo, 0, v3, vcc_lo
	v_add_co_u32 v0, vcc_lo, v9, s6
	v_add_co_ci_u32_e32 v1, vcc_lo, s7, v10, vcc_lo
	v_cmp_eq_u64_e32 vcc_lo, 0, v[0:1]
	v_cndmask_b32_e32 v1, v1, v10, vcc_lo
	v_cndmask_b32_e32 v0, v0, v9, vcc_lo
	v_and_b32_e32 v3, v1, v3
	v_and_b32_e32 v2, v0, v2
	v_mul_lo_u32 v3, v3, 24
	v_mul_hi_u32 v9, v2, 24
	v_mul_lo_u32 v2, v2, 24
	v_add_nc_u32_e32 v3, v9, v3
	s_waitcnt vmcnt(0)
	v_add_co_u32 v4, vcc_lo, v4, v2
	v_mov_b32_e32 v2, v7
	v_add_co_ci_u32_e32 v5, vcc_lo, v5, v3, vcc_lo
	v_mov_b32_e32 v3, v8
	global_store_dwordx2 v[4:5], v[7:8], off
	s_waitcnt_vscnt null, 0x0
	global_atomic_cmpswap_x2 v[2:3], v6, v[0:3], s[40:41] offset:24 glc
	s_waitcnt vmcnt(0)
	v_cmp_ne_u64_e32 vcc_lo, v[2:3], v[7:8]
	s_and_b32 exec_lo, exec_lo, vcc_lo
	s_cbranch_execz .LBB11_1530
; %bb.1528:
	s_mov_b32 s4, 0
.LBB11_1529:                            ; =>This Inner Loop Header: Depth=1
	s_sleep 1
	global_store_dwordx2 v[4:5], v[2:3], off
	s_waitcnt_vscnt null, 0x0
	global_atomic_cmpswap_x2 v[7:8], v6, v[0:3], s[40:41] offset:24 glc
	s_waitcnt vmcnt(0)
	v_cmp_eq_u64_e32 vcc_lo, v[7:8], v[2:3]
	v_mov_b32_e32 v2, v7
	v_mov_b32_e32 v3, v8
	s_or_b32 s4, vcc_lo, s4
	s_andn2_b32 exec_lo, exec_lo, s4
	s_cbranch_execnz .LBB11_1529
.LBB11_1530:
	s_or_b32 exec_lo, exec_lo, s5
.LBB11_1531:
	s_getpc_b64 s[4:5]
	s_add_u32 s4, s4, .str@rel32@lo+4
	s_addc_u32 s5, s5, .str@rel32@hi+12
	s_waitcnt vmcnt(0)
	v_mov_b32_e32 v0, s4
	v_mov_b32_e32 v1, s5
	s_mov_b64 s[22:23], src_private_base
	s_getpc_b64 s[48:49]
	s_add_u32 s48, s48, _ZNK8migraphx13basic_printerIZNS_4coutEvEUlT_E_ElsEPKc@rel32@lo+4
	s_addc_u32 s49, s49, _ZNK8migraphx13basic_printerIZNS_4coutEvEUlT_E_ElsEPKc@rel32@hi+12
	s_mov_b64 s[38:39], s[8:9]
	s_swappc_b64 s[30:31], s[48:49]
	s_getpc_b64 s[4:5]
	s_add_u32 s4, s4, .str.3@rel32@lo+4
	s_addc_u32 s5, s5, .str.3@rel32@hi+12
	v_mov_b32_e32 v0, s4
	v_mov_b32_e32 v1, s5
	s_mov_b64 s[8:9], s[38:39]
	s_swappc_b64 s[30:31], s[48:49]
	v_lshrrev_b32_e64 v0, 5, s33
	v_mov_b32_e32 v1, s23
	s_mov_b64 s[8:9], s[38:39]
	s_getpc_b64 s[4:5]
	s_add_u32 s4, s4, _ZN8migraphx4testlsIKNS_13basic_printerIZNS_4coutEvEUlT_E_EEEERS3_S7_RKNS0_10expressionINS0_14lhs_expressionIRNS_5arrayIiLj2EEENS0_3nopEEESC_NS0_5equalEEE@rel32@lo+4
	s_addc_u32 s5, s5, _ZN8migraphx4testlsIKNS_13basic_printerIZNS_4coutEvEUlT_E_EEEERS3_S7_RKNS0_10expressionINS0_14lhs_expressionIRNS_5arrayIiLj2EEENS0_3nopEEESC_NS0_5equalEEE@rel32@hi+12
	v_add_nc_u32_e32 v0, 24, v0
	s_swappc_b64 s[30:31], s[4:5]
	s_getpc_b64 s[4:5]
	s_add_u32 s4, s4, .str.4@rel32@lo+4
	s_addc_u32 s5, s5, .str.4@rel32@hi+12
	v_mov_b32_e32 v0, s4
	v_mov_b32_e32 v1, s5
	s_mov_b64 s[8:9], s[38:39]
	s_mov_b64 s[22:23], s[38:39]
	s_swappc_b64 s[30:31], s[48:49]
	v_readfirstlane_b32 s4, v69
	v_mov_b32_e32 v6, 0
	v_mov_b32_e32 v7, 0
	v_cmp_eq_u32_e64 s4, s4, v69
	s_and_saveexec_b32 s5, s4
	s_mov_b32 s14, s47
	s_mov_b32 s13, s46
	;; [unrolled: 1-line block ×3, first 2 shown]
	s_cbranch_execz .LBB11_1537
; %bb.1532:
	v_mov_b32_e32 v0, 0
	s_mov_b32 s6, exec_lo
	global_load_dwordx2 v[3:4], v0, s[40:41] offset:24 glc dlc
	s_waitcnt vmcnt(0)
	buffer_gl1_inv
	buffer_gl0_inv
	s_clause 0x1
	global_load_dwordx2 v[1:2], v0, s[40:41] offset:40
	global_load_dwordx2 v[5:6], v0, s[40:41]
	s_waitcnt vmcnt(1)
	v_and_b32_e32 v2, v2, v4
	v_and_b32_e32 v1, v1, v3
	v_mul_lo_u32 v2, v2, 24
	v_mul_hi_u32 v7, v1, 24
	v_mul_lo_u32 v1, v1, 24
	v_add_nc_u32_e32 v2, v7, v2
	s_waitcnt vmcnt(0)
	v_add_co_u32 v1, vcc_lo, v5, v1
	v_add_co_ci_u32_e32 v2, vcc_lo, v6, v2, vcc_lo
	global_load_dwordx2 v[1:2], v[1:2], off glc dlc
	s_waitcnt vmcnt(0)
	global_atomic_cmpswap_x2 v[6:7], v0, v[1:4], s[40:41] offset:24 glc
	s_waitcnt vmcnt(0)
	buffer_gl1_inv
	buffer_gl0_inv
	v_cmpx_ne_u64_e64 v[6:7], v[3:4]
	s_cbranch_execz .LBB11_1536
; %bb.1533:
	s_mov_b32 s7, 0
	.p2align	6
.LBB11_1534:                            ; =>This Inner Loop Header: Depth=1
	s_sleep 1
	s_clause 0x1
	global_load_dwordx2 v[1:2], v0, s[40:41] offset:40
	global_load_dwordx2 v[8:9], v0, s[40:41]
	v_mov_b32_e32 v3, v6
	v_mov_b32_e32 v4, v7
	s_waitcnt vmcnt(1)
	v_and_b32_e32 v1, v1, v3
	v_and_b32_e32 v2, v2, v4
	s_waitcnt vmcnt(0)
	v_mad_u64_u32 v[5:6], null, v1, 24, v[8:9]
	v_mov_b32_e32 v1, v6
	v_mad_u64_u32 v[1:2], null, v2, 24, v[1:2]
	v_mov_b32_e32 v6, v1
	global_load_dwordx2 v[1:2], v[5:6], off glc dlc
	s_waitcnt vmcnt(0)
	global_atomic_cmpswap_x2 v[6:7], v0, v[1:4], s[40:41] offset:24 glc
	s_waitcnt vmcnt(0)
	buffer_gl1_inv
	buffer_gl0_inv
	v_cmp_eq_u64_e32 vcc_lo, v[6:7], v[3:4]
	s_or_b32 s7, vcc_lo, s7
	s_andn2_b32 exec_lo, exec_lo, s7
	s_cbranch_execnz .LBB11_1534
; %bb.1535:
	s_or_b32 exec_lo, exec_lo, s7
.LBB11_1536:
	s_or_b32 exec_lo, exec_lo, s6
.LBB11_1537:
	s_or_b32 exec_lo, exec_lo, s5
	v_mov_b32_e32 v5, 0
	v_readfirstlane_b32 s6, v6
	v_readfirstlane_b32 s7, v7
	s_mov_b32 s5, exec_lo
	s_clause 0x1
	global_load_dwordx2 v[8:9], v5, s[40:41] offset:40
	global_load_dwordx4 v[0:3], v5, s[40:41]
	s_waitcnt vmcnt(1)
	v_readfirstlane_b32 s8, v8
	v_readfirstlane_b32 s9, v9
	s_and_b64 s[8:9], s[6:7], s[8:9]
	s_mul_i32 s10, s9, 24
	s_mul_hi_u32 s11, s8, 24
	s_mul_i32 s15, s8, 24
	s_add_i32 s11, s11, s10
	s_waitcnt vmcnt(0)
	v_add_co_u32 v8, vcc_lo, v0, s15
	v_add_co_ci_u32_e32 v9, vcc_lo, s11, v1, vcc_lo
	s_and_saveexec_b32 s10, s4
	s_cbranch_execz .LBB11_1539
; %bb.1538:
	v_mov_b32_e32 v4, s5
	v_mov_b32_e32 v6, 2
	v_mov_b32_e32 v7, 1
	global_store_dwordx4 v[8:9], v[4:7], off offset:8
.LBB11_1539:
	s_or_b32 exec_lo, exec_lo, s10
	s_lshl_b64 s[8:9], s[8:9], 12
	v_mov_b32_e32 v4, 33
	v_add_co_u32 v2, vcc_lo, v2, s8
	v_add_co_ci_u32_e32 v3, vcc_lo, s9, v3, vcc_lo
	s_mov_b32 s8, 0
	v_add_co_u32 v10, vcc_lo, v2, v68
	s_mov_b32 s11, s8
	s_mov_b32 s9, s8
	;; [unrolled: 1-line block ×3, first 2 shown]
	v_mov_b32_e32 v6, v5
	v_mov_b32_e32 v7, v5
	v_readfirstlane_b32 s16, v2
	v_readfirstlane_b32 s17, v3
	v_mov_b32_e32 v15, s11
	v_add_co_ci_u32_e32 v11, vcc_lo, 0, v3, vcc_lo
	v_mov_b32_e32 v14, s10
	v_mov_b32_e32 v13, s9
	;; [unrolled: 1-line block ×3, first 2 shown]
	global_store_dwordx4 v68, v[4:7], s[16:17]
	global_store_dwordx4 v68, v[12:15], s[16:17] offset:16
	global_store_dwordx4 v68, v[12:15], s[16:17] offset:32
	;; [unrolled: 1-line block ×3, first 2 shown]
	s_and_saveexec_b32 s5, s4
	s_mov_b64 s[8:9], s[22:23]
	s_cbranch_execz .LBB11_1547
; %bb.1540:
	v_mov_b32_e32 v6, 0
	v_mov_b32_e32 v12, s6
	;; [unrolled: 1-line block ×3, first 2 shown]
	s_clause 0x1
	global_load_dwordx2 v[14:15], v6, s[40:41] offset:32 glc dlc
	global_load_dwordx2 v[2:3], v6, s[40:41] offset:40
	s_waitcnt vmcnt(0)
	v_readfirstlane_b32 s10, v2
	v_readfirstlane_b32 s11, v3
	s_and_b64 s[10:11], s[10:11], s[6:7]
	s_mul_i32 s11, s11, 24
	s_mul_hi_u32 s15, s10, 24
	s_mul_i32 s10, s10, 24
	s_add_i32 s15, s15, s11
	v_add_co_u32 v4, vcc_lo, v0, s10
	v_add_co_ci_u32_e32 v5, vcc_lo, s15, v1, vcc_lo
	s_mov_b32 s10, exec_lo
	global_store_dwordx2 v[4:5], v[14:15], off
	s_waitcnt_vscnt null, 0x0
	global_atomic_cmpswap_x2 v[2:3], v6, v[12:15], s[40:41] offset:32 glc
	s_waitcnt vmcnt(0)
	v_cmpx_ne_u64_e64 v[2:3], v[14:15]
	s_cbranch_execz .LBB11_1543
; %bb.1541:
	s_mov_b32 s11, 0
.LBB11_1542:                            ; =>This Inner Loop Header: Depth=1
	v_mov_b32_e32 v0, s6
	v_mov_b32_e32 v1, s7
	s_sleep 1
	global_store_dwordx2 v[4:5], v[2:3], off
	s_waitcnt_vscnt null, 0x0
	global_atomic_cmpswap_x2 v[0:1], v6, v[0:3], s[40:41] offset:32 glc
	s_waitcnt vmcnt(0)
	v_cmp_eq_u64_e32 vcc_lo, v[0:1], v[2:3]
	v_mov_b32_e32 v3, v1
	v_mov_b32_e32 v2, v0
	s_or_b32 s11, vcc_lo, s11
	s_andn2_b32 exec_lo, exec_lo, s11
	s_cbranch_execnz .LBB11_1542
.LBB11_1543:
	s_or_b32 exec_lo, exec_lo, s10
	v_mov_b32_e32 v3, 0
	s_mov_b32 s11, exec_lo
	s_mov_b32 s10, exec_lo
	v_mbcnt_lo_u32_b32 v2, s11, 0
	global_load_dwordx2 v[0:1], v3, s[40:41] offset:16
	v_cmpx_eq_u32_e32 0, v2
	s_cbranch_execz .LBB11_1545
; %bb.1544:
	s_bcnt1_i32_b32 s11, s11
	v_mov_b32_e32 v2, s11
	s_waitcnt vmcnt(0)
	global_atomic_add_x2 v[0:1], v[2:3], off offset:8
.LBB11_1545:
	s_or_b32 exec_lo, exec_lo, s10
	s_waitcnt vmcnt(0)
	global_load_dwordx2 v[2:3], v[0:1], off offset:16
	s_waitcnt vmcnt(0)
	v_cmp_eq_u64_e32 vcc_lo, 0, v[2:3]
	s_cbranch_vccnz .LBB11_1547
; %bb.1546:
	global_load_dword v0, v[0:1], off offset:24
	v_mov_b32_e32 v1, 0
	s_waitcnt vmcnt(0)
	v_and_b32_e32 v4, 0x7fffff, v0
	s_waitcnt_vscnt null, 0x0
	global_store_dwordx2 v[2:3], v[0:1], off
	v_readfirstlane_b32 m0, v4
	s_sendmsg sendmsg(MSG_INTERRUPT)
.LBB11_1547:
	s_or_b32 exec_lo, exec_lo, s5
	s_branch .LBB11_1551
	.p2align	6
.LBB11_1548:                            ;   in Loop: Header=BB11_1551 Depth=1
	s_or_b32 exec_lo, exec_lo, s5
	v_readfirstlane_b32 s5, v0
	s_cmp_eq_u32 s5, 0
	s_cbranch_scc1 .LBB11_1550
; %bb.1549:                             ;   in Loop: Header=BB11_1551 Depth=1
	s_sleep 1
	s_cbranch_execnz .LBB11_1551
	s_branch .LBB11_1553
	.p2align	6
.LBB11_1550:
	s_branch .LBB11_1553
.LBB11_1551:                            ; =>This Inner Loop Header: Depth=1
	v_mov_b32_e32 v0, 1
	s_and_saveexec_b32 s5, s4
	s_cbranch_execz .LBB11_1548
; %bb.1552:                             ;   in Loop: Header=BB11_1551 Depth=1
	global_load_dword v0, v[8:9], off offset:20 glc dlc
	s_waitcnt vmcnt(0)
	buffer_gl1_inv
	buffer_gl0_inv
	v_and_b32_e32 v0, 1, v0
	s_branch .LBB11_1548
.LBB11_1553:
	global_load_dwordx2 v[0:1], v[10:11], off
	s_and_saveexec_b32 s5, s4
	s_cbranch_execz .LBB11_1557
; %bb.1554:
	v_mov_b32_e32 v8, 0
	s_clause 0x2
	global_load_dwordx2 v[4:5], v8, s[40:41] offset:40
	global_load_dwordx2 v[9:10], v8, s[40:41] offset:24 glc dlc
	global_load_dwordx2 v[6:7], v8, s[40:41]
	s_waitcnt vmcnt(2)
	v_add_co_u32 v11, vcc_lo, v4, 1
	v_add_co_ci_u32_e32 v12, vcc_lo, 0, v5, vcc_lo
	v_add_co_u32 v2, vcc_lo, v11, s6
	v_add_co_ci_u32_e32 v3, vcc_lo, s7, v12, vcc_lo
	v_cmp_eq_u64_e32 vcc_lo, 0, v[2:3]
	v_cndmask_b32_e32 v3, v3, v12, vcc_lo
	v_cndmask_b32_e32 v2, v2, v11, vcc_lo
	v_and_b32_e32 v5, v3, v5
	v_and_b32_e32 v4, v2, v4
	v_mul_lo_u32 v5, v5, 24
	v_mul_hi_u32 v11, v4, 24
	v_mul_lo_u32 v4, v4, 24
	v_add_nc_u32_e32 v5, v11, v5
	s_waitcnt vmcnt(0)
	v_add_co_u32 v6, vcc_lo, v6, v4
	v_mov_b32_e32 v4, v9
	v_add_co_ci_u32_e32 v7, vcc_lo, v7, v5, vcc_lo
	v_mov_b32_e32 v5, v10
	global_store_dwordx2 v[6:7], v[9:10], off
	s_waitcnt_vscnt null, 0x0
	global_atomic_cmpswap_x2 v[4:5], v8, v[2:5], s[40:41] offset:24 glc
	s_waitcnt vmcnt(0)
	v_cmp_ne_u64_e32 vcc_lo, v[4:5], v[9:10]
	s_and_b32 exec_lo, exec_lo, vcc_lo
	s_cbranch_execz .LBB11_1557
; %bb.1555:
	s_mov_b32 s4, 0
.LBB11_1556:                            ; =>This Inner Loop Header: Depth=1
	s_sleep 1
	global_store_dwordx2 v[6:7], v[4:5], off
	s_waitcnt_vscnt null, 0x0
	global_atomic_cmpswap_x2 v[9:10], v8, v[2:5], s[40:41] offset:24 glc
	s_waitcnt vmcnt(0)
	v_cmp_eq_u64_e32 vcc_lo, v[9:10], v[4:5]
	v_mov_b32_e32 v4, v9
	v_mov_b32_e32 v5, v10
	s_or_b32 s4, vcc_lo, s4
	s_andn2_b32 exec_lo, exec_lo, s4
	s_cbranch_execnz .LBB11_1556
.LBB11_1557:
	s_or_b32 exec_lo, exec_lo, s5
	s_and_b32 vcc_lo, exec_lo, s44
	s_cbranch_vccz .LBB11_1636
; %bb.1558:
	s_waitcnt vmcnt(0)
	v_and_b32_e32 v31, 2, v0
	v_mov_b32_e32 v6, 0
	v_and_b32_e32 v2, -3, v0
	v_mov_b32_e32 v3, v1
	v_mov_b32_e32 v7, 2
	;; [unrolled: 1-line block ×3, first 2 shown]
	s_mov_b64 s[10:11], 3
	s_getpc_b64 s[6:7]
	s_add_u32 s6, s6, .str.6@rel32@lo+4
	s_addc_u32 s7, s7, .str.6@rel32@hi+12
	s_branch .LBB11_1560
.LBB11_1559:                            ;   in Loop: Header=BB11_1560 Depth=1
	s_or_b32 exec_lo, exec_lo, s5
	s_sub_u32 s10, s10, s16
	s_subb_u32 s11, s11, s17
	s_add_u32 s6, s6, s16
	s_addc_u32 s7, s7, s17
	s_cmp_lg_u64 s[10:11], 0
	s_cbranch_scc0 .LBB11_1635
.LBB11_1560:                            ; =>This Loop Header: Depth=1
                                        ;     Child Loop BB11_1569 Depth 2
                                        ;     Child Loop BB11_1565 Depth 2
	;; [unrolled: 1-line block ×11, first 2 shown]
	v_cmp_lt_u64_e64 s4, s[10:11], 56
	v_cmp_gt_u64_e64 s5, s[10:11], 7
                                        ; implicit-def: $vgpr11_vgpr12
                                        ; implicit-def: $sgpr15
	s_and_b32 s4, s4, exec_lo
	s_cselect_b32 s17, s11, 0
	s_cselect_b32 s16, s10, 56
	s_and_b32 vcc_lo, exec_lo, s5
	s_mov_b32 s4, -1
	s_cbranch_vccz .LBB11_1567
; %bb.1561:                             ;   in Loop: Header=BB11_1560 Depth=1
	s_andn2_b32 vcc_lo, exec_lo, s4
	s_mov_b64 s[4:5], s[6:7]
	s_cbranch_vccz .LBB11_1571
.LBB11_1562:                            ;   in Loop: Header=BB11_1560 Depth=1
	s_cmp_gt_u32 s15, 7
	s_cbranch_scc1 .LBB11_1572
.LBB11_1563:                            ;   in Loop: Header=BB11_1560 Depth=1
	v_mov_b32_e32 v13, 0
	v_mov_b32_e32 v14, 0
	s_cmp_eq_u32 s15, 0
	s_cbranch_scc1 .LBB11_1566
; %bb.1564:                             ;   in Loop: Header=BB11_1560 Depth=1
	s_mov_b64 s[18:19], 0
	s_mov_b64 s[20:21], 0
.LBB11_1565:                            ;   Parent Loop BB11_1560 Depth=1
                                        ; =>  This Inner Loop Header: Depth=2
	s_add_u32 s22, s4, s20
	s_addc_u32 s23, s5, s21
	s_add_u32 s20, s20, 1
	global_load_ubyte v4, v6, s[22:23]
	s_addc_u32 s21, s21, 0
	s_waitcnt vmcnt(0)
	v_and_b32_e32 v5, 0xffff, v4
	v_lshlrev_b64 v[4:5], s18, v[5:6]
	s_add_u32 s18, s18, 8
	s_addc_u32 s19, s19, 0
	s_cmp_lg_u32 s15, s20
	v_or_b32_e32 v13, v4, v13
	v_or_b32_e32 v14, v5, v14
	s_cbranch_scc1 .LBB11_1565
.LBB11_1566:                            ;   in Loop: Header=BB11_1560 Depth=1
	s_mov_b32 s22, 0
	s_cbranch_execz .LBB11_1573
	s_branch .LBB11_1574
.LBB11_1567:                            ;   in Loop: Header=BB11_1560 Depth=1
	v_mov_b32_e32 v11, 0
	v_mov_b32_e32 v12, 0
	s_cmp_eq_u64 s[10:11], 0
	s_mov_b64 s[4:5], 0
	s_cbranch_scc1 .LBB11_1570
; %bb.1568:                             ;   in Loop: Header=BB11_1560 Depth=1
	v_mov_b32_e32 v11, 0
	v_mov_b32_e32 v12, 0
	s_lshl_b64 s[18:19], s[16:17], 3
	s_mov_b64 s[20:21], s[6:7]
.LBB11_1569:                            ;   Parent Loop BB11_1560 Depth=1
                                        ; =>  This Inner Loop Header: Depth=2
	global_load_ubyte v4, v6, s[20:21]
	s_waitcnt vmcnt(0)
	v_and_b32_e32 v5, 0xffff, v4
	v_lshlrev_b64 v[4:5], s4, v[5:6]
	s_add_u32 s4, s4, 8
	s_addc_u32 s5, s5, 0
	s_add_u32 s20, s20, 1
	s_addc_u32 s21, s21, 0
	s_cmp_lg_u32 s18, s4
	v_or_b32_e32 v11, v4, v11
	v_or_b32_e32 v12, v5, v12
	s_cbranch_scc1 .LBB11_1569
.LBB11_1570:                            ;   in Loop: Header=BB11_1560 Depth=1
	s_mov_b32 s15, 0
	s_mov_b64 s[4:5], s[6:7]
	s_cbranch_execnz .LBB11_1562
.LBB11_1571:                            ;   in Loop: Header=BB11_1560 Depth=1
	global_load_dwordx2 v[11:12], v6, s[6:7]
	s_add_i32 s15, s16, -8
	s_add_u32 s4, s6, 8
	s_addc_u32 s5, s7, 0
	s_cmp_gt_u32 s15, 7
	s_cbranch_scc0 .LBB11_1563
.LBB11_1572:                            ;   in Loop: Header=BB11_1560 Depth=1
                                        ; implicit-def: $vgpr13_vgpr14
                                        ; implicit-def: $sgpr22
.LBB11_1573:                            ;   in Loop: Header=BB11_1560 Depth=1
	global_load_dwordx2 v[13:14], v6, s[4:5]
	s_add_i32 s22, s15, -8
	s_add_u32 s4, s4, 8
	s_addc_u32 s5, s5, 0
.LBB11_1574:                            ;   in Loop: Header=BB11_1560 Depth=1
	s_cmp_gt_u32 s22, 7
	s_cbranch_scc1 .LBB11_1579
; %bb.1575:                             ;   in Loop: Header=BB11_1560 Depth=1
	v_mov_b32_e32 v15, 0
	v_mov_b32_e32 v16, 0
	s_cmp_eq_u32 s22, 0
	s_cbranch_scc1 .LBB11_1578
; %bb.1576:                             ;   in Loop: Header=BB11_1560 Depth=1
	s_mov_b64 s[18:19], 0
	s_mov_b64 s[20:21], 0
.LBB11_1577:                            ;   Parent Loop BB11_1560 Depth=1
                                        ; =>  This Inner Loop Header: Depth=2
	s_add_u32 s24, s4, s20
	s_addc_u32 s25, s5, s21
	s_add_u32 s20, s20, 1
	global_load_ubyte v4, v6, s[24:25]
	s_addc_u32 s21, s21, 0
	s_waitcnt vmcnt(0)
	v_and_b32_e32 v5, 0xffff, v4
	v_lshlrev_b64 v[4:5], s18, v[5:6]
	s_add_u32 s18, s18, 8
	s_addc_u32 s19, s19, 0
	s_cmp_lg_u32 s22, s20
	v_or_b32_e32 v15, v4, v15
	v_or_b32_e32 v16, v5, v16
	s_cbranch_scc1 .LBB11_1577
.LBB11_1578:                            ;   in Loop: Header=BB11_1560 Depth=1
	s_mov_b32 s15, 0
	s_cbranch_execz .LBB11_1580
	s_branch .LBB11_1581
.LBB11_1579:                            ;   in Loop: Header=BB11_1560 Depth=1
                                        ; implicit-def: $sgpr15
.LBB11_1580:                            ;   in Loop: Header=BB11_1560 Depth=1
	global_load_dwordx2 v[15:16], v6, s[4:5]
	s_add_i32 s15, s22, -8
	s_add_u32 s4, s4, 8
	s_addc_u32 s5, s5, 0
.LBB11_1581:                            ;   in Loop: Header=BB11_1560 Depth=1
	s_cmp_gt_u32 s15, 7
	s_cbranch_scc1 .LBB11_1586
; %bb.1582:                             ;   in Loop: Header=BB11_1560 Depth=1
	v_mov_b32_e32 v17, 0
	v_mov_b32_e32 v18, 0
	s_cmp_eq_u32 s15, 0
	s_cbranch_scc1 .LBB11_1585
; %bb.1583:                             ;   in Loop: Header=BB11_1560 Depth=1
	s_mov_b64 s[18:19], 0
	s_mov_b64 s[20:21], 0
.LBB11_1584:                            ;   Parent Loop BB11_1560 Depth=1
                                        ; =>  This Inner Loop Header: Depth=2
	s_add_u32 s22, s4, s20
	s_addc_u32 s23, s5, s21
	s_add_u32 s20, s20, 1
	global_load_ubyte v4, v6, s[22:23]
	s_addc_u32 s21, s21, 0
	s_waitcnt vmcnt(0)
	v_and_b32_e32 v5, 0xffff, v4
	v_lshlrev_b64 v[4:5], s18, v[5:6]
	s_add_u32 s18, s18, 8
	s_addc_u32 s19, s19, 0
	s_cmp_lg_u32 s15, s20
	v_or_b32_e32 v17, v4, v17
	v_or_b32_e32 v18, v5, v18
	s_cbranch_scc1 .LBB11_1584
.LBB11_1585:                            ;   in Loop: Header=BB11_1560 Depth=1
	s_mov_b32 s22, 0
	s_cbranch_execz .LBB11_1587
	s_branch .LBB11_1588
.LBB11_1586:                            ;   in Loop: Header=BB11_1560 Depth=1
                                        ; implicit-def: $vgpr17_vgpr18
                                        ; implicit-def: $sgpr22
.LBB11_1587:                            ;   in Loop: Header=BB11_1560 Depth=1
	global_load_dwordx2 v[17:18], v6, s[4:5]
	s_add_i32 s22, s15, -8
	s_add_u32 s4, s4, 8
	s_addc_u32 s5, s5, 0
.LBB11_1588:                            ;   in Loop: Header=BB11_1560 Depth=1
	s_cmp_gt_u32 s22, 7
	s_cbranch_scc1 .LBB11_1593
; %bb.1589:                             ;   in Loop: Header=BB11_1560 Depth=1
	v_mov_b32_e32 v19, 0
	v_mov_b32_e32 v20, 0
	s_cmp_eq_u32 s22, 0
	s_cbranch_scc1 .LBB11_1592
; %bb.1590:                             ;   in Loop: Header=BB11_1560 Depth=1
	s_mov_b64 s[18:19], 0
	s_mov_b64 s[20:21], 0
.LBB11_1591:                            ;   Parent Loop BB11_1560 Depth=1
                                        ; =>  This Inner Loop Header: Depth=2
	s_add_u32 s24, s4, s20
	s_addc_u32 s25, s5, s21
	s_add_u32 s20, s20, 1
	global_load_ubyte v4, v6, s[24:25]
	s_addc_u32 s21, s21, 0
	s_waitcnt vmcnt(0)
	v_and_b32_e32 v5, 0xffff, v4
	v_lshlrev_b64 v[4:5], s18, v[5:6]
	s_add_u32 s18, s18, 8
	s_addc_u32 s19, s19, 0
	s_cmp_lg_u32 s22, s20
	v_or_b32_e32 v19, v4, v19
	v_or_b32_e32 v20, v5, v20
	s_cbranch_scc1 .LBB11_1591
.LBB11_1592:                            ;   in Loop: Header=BB11_1560 Depth=1
	s_mov_b32 s15, 0
	s_cbranch_execz .LBB11_1594
	s_branch .LBB11_1595
.LBB11_1593:                            ;   in Loop: Header=BB11_1560 Depth=1
                                        ; implicit-def: $sgpr15
.LBB11_1594:                            ;   in Loop: Header=BB11_1560 Depth=1
	global_load_dwordx2 v[19:20], v6, s[4:5]
	s_add_i32 s15, s22, -8
	s_add_u32 s4, s4, 8
	s_addc_u32 s5, s5, 0
.LBB11_1595:                            ;   in Loop: Header=BB11_1560 Depth=1
	s_cmp_gt_u32 s15, 7
	s_cbranch_scc1 .LBB11_1600
; %bb.1596:                             ;   in Loop: Header=BB11_1560 Depth=1
	v_mov_b32_e32 v21, 0
	v_mov_b32_e32 v22, 0
	s_cmp_eq_u32 s15, 0
	s_cbranch_scc1 .LBB11_1599
; %bb.1597:                             ;   in Loop: Header=BB11_1560 Depth=1
	s_mov_b64 s[18:19], 0
	s_mov_b64 s[20:21], 0
.LBB11_1598:                            ;   Parent Loop BB11_1560 Depth=1
                                        ; =>  This Inner Loop Header: Depth=2
	s_add_u32 s22, s4, s20
	s_addc_u32 s23, s5, s21
	s_add_u32 s20, s20, 1
	global_load_ubyte v4, v6, s[22:23]
	s_addc_u32 s21, s21, 0
	s_waitcnt vmcnt(0)
	v_and_b32_e32 v5, 0xffff, v4
	v_lshlrev_b64 v[4:5], s18, v[5:6]
	s_add_u32 s18, s18, 8
	s_addc_u32 s19, s19, 0
	s_cmp_lg_u32 s15, s20
	v_or_b32_e32 v21, v4, v21
	v_or_b32_e32 v22, v5, v22
	s_cbranch_scc1 .LBB11_1598
.LBB11_1599:                            ;   in Loop: Header=BB11_1560 Depth=1
	s_mov_b32 s22, 0
	s_cbranch_execz .LBB11_1601
	s_branch .LBB11_1602
.LBB11_1600:                            ;   in Loop: Header=BB11_1560 Depth=1
                                        ; implicit-def: $vgpr21_vgpr22
                                        ; implicit-def: $sgpr22
.LBB11_1601:                            ;   in Loop: Header=BB11_1560 Depth=1
	global_load_dwordx2 v[21:22], v6, s[4:5]
	s_add_i32 s22, s15, -8
	s_add_u32 s4, s4, 8
	s_addc_u32 s5, s5, 0
.LBB11_1602:                            ;   in Loop: Header=BB11_1560 Depth=1
	s_cmp_gt_u32 s22, 7
	s_cbranch_scc1 .LBB11_1607
; %bb.1603:                             ;   in Loop: Header=BB11_1560 Depth=1
	v_mov_b32_e32 v23, 0
	v_mov_b32_e32 v24, 0
	s_cmp_eq_u32 s22, 0
	s_cbranch_scc1 .LBB11_1606
; %bb.1604:                             ;   in Loop: Header=BB11_1560 Depth=1
	s_mov_b64 s[18:19], 0
	s_mov_b64 s[20:21], s[4:5]
.LBB11_1605:                            ;   Parent Loop BB11_1560 Depth=1
                                        ; =>  This Inner Loop Header: Depth=2
	global_load_ubyte v4, v6, s[20:21]
	s_add_i32 s22, s22, -1
	s_waitcnt vmcnt(0)
	v_and_b32_e32 v5, 0xffff, v4
	v_lshlrev_b64 v[4:5], s18, v[5:6]
	s_add_u32 s18, s18, 8
	s_addc_u32 s19, s19, 0
	s_add_u32 s20, s20, 1
	s_addc_u32 s21, s21, 0
	s_cmp_lg_u32 s22, 0
	v_or_b32_e32 v23, v4, v23
	v_or_b32_e32 v24, v5, v24
	s_cbranch_scc1 .LBB11_1605
.LBB11_1606:                            ;   in Loop: Header=BB11_1560 Depth=1
	s_cbranch_execz .LBB11_1608
	s_branch .LBB11_1609
.LBB11_1607:                            ;   in Loop: Header=BB11_1560 Depth=1
.LBB11_1608:                            ;   in Loop: Header=BB11_1560 Depth=1
	global_load_dwordx2 v[23:24], v6, s[4:5]
.LBB11_1609:                            ;   in Loop: Header=BB11_1560 Depth=1
	v_readfirstlane_b32 s4, v69
	s_waitcnt vmcnt(0)
	v_mov_b32_e32 v4, 0
	v_mov_b32_e32 v5, 0
	v_cmp_eq_u32_e64 s4, s4, v69
	s_and_saveexec_b32 s5, s4
	s_cbranch_execz .LBB11_1615
; %bb.1610:                             ;   in Loop: Header=BB11_1560 Depth=1
	global_load_dwordx2 v[27:28], v6, s[40:41] offset:24 glc dlc
	s_waitcnt vmcnt(0)
	buffer_gl1_inv
	buffer_gl0_inv
	s_clause 0x1
	global_load_dwordx2 v[4:5], v6, s[40:41] offset:40
	global_load_dwordx2 v[9:10], v6, s[40:41]
	s_mov_b32 s15, exec_lo
	s_waitcnt vmcnt(1)
	v_and_b32_e32 v5, v5, v28
	v_and_b32_e32 v4, v4, v27
	v_mul_lo_u32 v5, v5, 24
	v_mul_hi_u32 v25, v4, 24
	v_mul_lo_u32 v4, v4, 24
	v_add_nc_u32_e32 v5, v25, v5
	s_waitcnt vmcnt(0)
	v_add_co_u32 v4, vcc_lo, v9, v4
	v_add_co_ci_u32_e32 v5, vcc_lo, v10, v5, vcc_lo
	global_load_dwordx2 v[25:26], v[4:5], off glc dlc
	s_waitcnt vmcnt(0)
	global_atomic_cmpswap_x2 v[4:5], v6, v[25:28], s[40:41] offset:24 glc
	s_waitcnt vmcnt(0)
	buffer_gl1_inv
	buffer_gl0_inv
	v_cmpx_ne_u64_e64 v[4:5], v[27:28]
	s_cbranch_execz .LBB11_1614
; %bb.1611:                             ;   in Loop: Header=BB11_1560 Depth=1
	s_mov_b32 s18, 0
	.p2align	6
.LBB11_1612:                            ;   Parent Loop BB11_1560 Depth=1
                                        ; =>  This Inner Loop Header: Depth=2
	s_sleep 1
	s_clause 0x1
	global_load_dwordx2 v[9:10], v6, s[40:41] offset:40
	global_load_dwordx2 v[25:26], v6, s[40:41]
	v_mov_b32_e32 v28, v5
	v_mov_b32_e32 v27, v4
	s_waitcnt vmcnt(1)
	v_and_b32_e32 v4, v9, v27
	v_and_b32_e32 v9, v10, v28
	s_waitcnt vmcnt(0)
	v_mad_u64_u32 v[4:5], null, v4, 24, v[25:26]
	v_mad_u64_u32 v[9:10], null, v9, 24, v[5:6]
	v_mov_b32_e32 v5, v9
	global_load_dwordx2 v[25:26], v[4:5], off glc dlc
	s_waitcnt vmcnt(0)
	global_atomic_cmpswap_x2 v[4:5], v6, v[25:28], s[40:41] offset:24 glc
	s_waitcnt vmcnt(0)
	buffer_gl1_inv
	buffer_gl0_inv
	v_cmp_eq_u64_e32 vcc_lo, v[4:5], v[27:28]
	s_or_b32 s18, vcc_lo, s18
	s_andn2_b32 exec_lo, exec_lo, s18
	s_cbranch_execnz .LBB11_1612
; %bb.1613:                             ;   in Loop: Header=BB11_1560 Depth=1
	s_or_b32 exec_lo, exec_lo, s18
.LBB11_1614:                            ;   in Loop: Header=BB11_1560 Depth=1
	s_or_b32 exec_lo, exec_lo, s15
.LBB11_1615:                            ;   in Loop: Header=BB11_1560 Depth=1
	s_or_b32 exec_lo, exec_lo, s5
	s_clause 0x1
	global_load_dwordx2 v[9:10], v6, s[40:41] offset:40
	global_load_dwordx4 v[25:28], v6, s[40:41]
	v_readfirstlane_b32 s18, v4
	v_readfirstlane_b32 s19, v5
	s_mov_b32 s5, exec_lo
	s_waitcnt vmcnt(1)
	v_readfirstlane_b32 s20, v9
	v_readfirstlane_b32 s21, v10
	s_and_b64 s[20:21], s[18:19], s[20:21]
	s_mul_i32 s15, s21, 24
	s_mul_hi_u32 s22, s20, 24
	s_mul_i32 s23, s20, 24
	s_add_i32 s22, s22, s15
	s_waitcnt vmcnt(0)
	v_add_co_u32 v29, vcc_lo, v25, s23
	v_add_co_ci_u32_e32 v30, vcc_lo, s22, v26, vcc_lo
	s_and_saveexec_b32 s15, s4
	s_cbranch_execz .LBB11_1617
; %bb.1616:                             ;   in Loop: Header=BB11_1560 Depth=1
	v_mov_b32_e32 v5, s5
	global_store_dwordx4 v[29:30], v[5:8], off offset:8
.LBB11_1617:                            ;   in Loop: Header=BB11_1560 Depth=1
	s_or_b32 exec_lo, exec_lo, s15
	s_lshl_b64 s[20:21], s[20:21], 12
	v_cmp_gt_u64_e64 vcc_lo, s[10:11], 56
	v_or_b32_e32 v5, v2, v31
	v_add_co_u32 v27, s5, v27, s20
	v_add_co_ci_u32_e64 v28, s5, s21, v28, s5
	s_lshl_b32 s5, s16, 2
	v_or_b32_e32 v4, 0, v3
	v_cndmask_b32_e32 v2, v5, v2, vcc_lo
	s_add_i32 s5, s5, 28
	v_readfirstlane_b32 s20, v27
	s_and_b32 s5, s5, 0x1e0
	v_cndmask_b32_e32 v10, v4, v3, vcc_lo
	v_readfirstlane_b32 s21, v28
	v_and_or_b32 v9, 0xffffff1f, v2, s5
	global_store_dwordx4 v68, v[9:12], s[20:21]
	global_store_dwordx4 v68, v[13:16], s[20:21] offset:16
	global_store_dwordx4 v68, v[17:20], s[20:21] offset:32
	;; [unrolled: 1-line block ×3, first 2 shown]
	s_and_saveexec_b32 s5, s4
	s_cbranch_execz .LBB11_1625
; %bb.1618:                             ;   in Loop: Header=BB11_1560 Depth=1
	s_clause 0x1
	global_load_dwordx2 v[13:14], v6, s[40:41] offset:32 glc dlc
	global_load_dwordx2 v[2:3], v6, s[40:41] offset:40
	v_mov_b32_e32 v11, s18
	v_mov_b32_e32 v12, s19
	s_waitcnt vmcnt(0)
	v_readfirstlane_b32 s20, v2
	v_readfirstlane_b32 s21, v3
	s_and_b64 s[20:21], s[20:21], s[18:19]
	s_mul_i32 s15, s21, 24
	s_mul_hi_u32 s21, s20, 24
	s_mul_i32 s20, s20, 24
	s_add_i32 s21, s21, s15
	v_add_co_u32 v9, vcc_lo, v25, s20
	v_add_co_ci_u32_e32 v10, vcc_lo, s21, v26, vcc_lo
	s_mov_b32 s15, exec_lo
	global_store_dwordx2 v[9:10], v[13:14], off
	s_waitcnt_vscnt null, 0x0
	global_atomic_cmpswap_x2 v[4:5], v6, v[11:14], s[40:41] offset:32 glc
	s_waitcnt vmcnt(0)
	v_cmpx_ne_u64_e64 v[4:5], v[13:14]
	s_cbranch_execz .LBB11_1621
; %bb.1619:                             ;   in Loop: Header=BB11_1560 Depth=1
	s_mov_b32 s20, 0
.LBB11_1620:                            ;   Parent Loop BB11_1560 Depth=1
                                        ; =>  This Inner Loop Header: Depth=2
	v_mov_b32_e32 v2, s18
	v_mov_b32_e32 v3, s19
	s_sleep 1
	global_store_dwordx2 v[9:10], v[4:5], off
	s_waitcnt_vscnt null, 0x0
	global_atomic_cmpswap_x2 v[2:3], v6, v[2:5], s[40:41] offset:32 glc
	s_waitcnt vmcnt(0)
	v_cmp_eq_u64_e32 vcc_lo, v[2:3], v[4:5]
	v_mov_b32_e32 v5, v3
	v_mov_b32_e32 v4, v2
	s_or_b32 s20, vcc_lo, s20
	s_andn2_b32 exec_lo, exec_lo, s20
	s_cbranch_execnz .LBB11_1620
.LBB11_1621:                            ;   in Loop: Header=BB11_1560 Depth=1
	s_or_b32 exec_lo, exec_lo, s15
	global_load_dwordx2 v[2:3], v6, s[40:41] offset:16
	s_mov_b32 s20, exec_lo
	s_mov_b32 s15, exec_lo
	v_mbcnt_lo_u32_b32 v4, s20, 0
	v_cmpx_eq_u32_e32 0, v4
	s_cbranch_execz .LBB11_1623
; %bb.1622:                             ;   in Loop: Header=BB11_1560 Depth=1
	s_bcnt1_i32_b32 s20, s20
	v_mov_b32_e32 v5, s20
	s_waitcnt vmcnt(0)
	global_atomic_add_x2 v[2:3], v[5:6], off offset:8
.LBB11_1623:                            ;   in Loop: Header=BB11_1560 Depth=1
	s_or_b32 exec_lo, exec_lo, s15
	s_waitcnt vmcnt(0)
	global_load_dwordx2 v[9:10], v[2:3], off offset:16
	s_waitcnt vmcnt(0)
	v_cmp_eq_u64_e32 vcc_lo, 0, v[9:10]
	s_cbranch_vccnz .LBB11_1625
; %bb.1624:                             ;   in Loop: Header=BB11_1560 Depth=1
	global_load_dword v5, v[2:3], off offset:24
	s_waitcnt vmcnt(0)
	v_and_b32_e32 v2, 0x7fffff, v5
	s_waitcnt_vscnt null, 0x0
	global_store_dwordx2 v[9:10], v[5:6], off
	v_readfirstlane_b32 m0, v2
	s_sendmsg sendmsg(MSG_INTERRUPT)
.LBB11_1625:                            ;   in Loop: Header=BB11_1560 Depth=1
	s_or_b32 exec_lo, exec_lo, s5
	v_add_co_u32 v2, vcc_lo, v27, v68
	v_add_co_ci_u32_e32 v3, vcc_lo, 0, v28, vcc_lo
	s_branch .LBB11_1629
	.p2align	6
.LBB11_1626:                            ;   in Loop: Header=BB11_1629 Depth=2
	s_or_b32 exec_lo, exec_lo, s5
	v_readfirstlane_b32 s5, v4
	s_cmp_eq_u32 s5, 0
	s_cbranch_scc1 .LBB11_1628
; %bb.1627:                             ;   in Loop: Header=BB11_1629 Depth=2
	s_sleep 1
	s_cbranch_execnz .LBB11_1629
	s_branch .LBB11_1631
	.p2align	6
.LBB11_1628:                            ;   in Loop: Header=BB11_1560 Depth=1
	s_branch .LBB11_1631
.LBB11_1629:                            ;   Parent Loop BB11_1560 Depth=1
                                        ; =>  This Inner Loop Header: Depth=2
	v_mov_b32_e32 v4, 1
	s_and_saveexec_b32 s5, s4
	s_cbranch_execz .LBB11_1626
; %bb.1630:                             ;   in Loop: Header=BB11_1629 Depth=2
	global_load_dword v4, v[29:30], off offset:20 glc dlc
	s_waitcnt vmcnt(0)
	buffer_gl1_inv
	buffer_gl0_inv
	v_and_b32_e32 v4, 1, v4
	s_branch .LBB11_1626
.LBB11_1631:                            ;   in Loop: Header=BB11_1560 Depth=1
	global_load_dwordx4 v[2:5], v[2:3], off
	s_and_saveexec_b32 s5, s4
	s_cbranch_execz .LBB11_1559
; %bb.1632:                             ;   in Loop: Header=BB11_1560 Depth=1
	s_clause 0x2
	global_load_dwordx2 v[4:5], v6, s[40:41] offset:40
	global_load_dwordx2 v[13:14], v6, s[40:41] offset:24 glc dlc
	global_load_dwordx2 v[11:12], v6, s[40:41]
	s_waitcnt vmcnt(2)
	v_add_co_u32 v15, vcc_lo, v4, 1
	v_add_co_ci_u32_e32 v16, vcc_lo, 0, v5, vcc_lo
	v_add_co_u32 v9, vcc_lo, v15, s18
	v_add_co_ci_u32_e32 v10, vcc_lo, s19, v16, vcc_lo
	v_cmp_eq_u64_e32 vcc_lo, 0, v[9:10]
	v_cndmask_b32_e32 v10, v10, v16, vcc_lo
	v_cndmask_b32_e32 v9, v9, v15, vcc_lo
	v_and_b32_e32 v5, v10, v5
	v_and_b32_e32 v4, v9, v4
	v_mul_lo_u32 v5, v5, 24
	v_mul_hi_u32 v15, v4, 24
	v_mul_lo_u32 v4, v4, 24
	v_add_nc_u32_e32 v5, v15, v5
	s_waitcnt vmcnt(0)
	v_add_co_u32 v4, vcc_lo, v11, v4
	v_mov_b32_e32 v11, v13
	v_add_co_ci_u32_e32 v5, vcc_lo, v12, v5, vcc_lo
	v_mov_b32_e32 v12, v14
	global_store_dwordx2 v[4:5], v[13:14], off
	s_waitcnt_vscnt null, 0x0
	global_atomic_cmpswap_x2 v[11:12], v6, v[9:12], s[40:41] offset:24 glc
	s_waitcnt vmcnt(0)
	v_cmp_ne_u64_e32 vcc_lo, v[11:12], v[13:14]
	s_and_b32 exec_lo, exec_lo, vcc_lo
	s_cbranch_execz .LBB11_1559
; %bb.1633:                             ;   in Loop: Header=BB11_1560 Depth=1
	s_mov_b32 s4, 0
.LBB11_1634:                            ;   Parent Loop BB11_1560 Depth=1
                                        ; =>  This Inner Loop Header: Depth=2
	s_sleep 1
	global_store_dwordx2 v[4:5], v[11:12], off
	s_waitcnt_vscnt null, 0x0
	global_atomic_cmpswap_x2 v[13:14], v6, v[9:12], s[40:41] offset:24 glc
	s_waitcnt vmcnt(0)
	v_cmp_eq_u64_e32 vcc_lo, v[13:14], v[11:12]
	v_mov_b32_e32 v11, v13
	v_mov_b32_e32 v12, v14
	s_or_b32 s4, vcc_lo, s4
	s_andn2_b32 exec_lo, exec_lo, s4
	s_cbranch_execnz .LBB11_1634
	s_branch .LBB11_1559
.LBB11_1635:
	s_branch .LBB11_1664
.LBB11_1636:
                                        ; implicit-def: $vgpr2_vgpr3
	s_cbranch_execz .LBB11_1664
; %bb.1637:
	v_readfirstlane_b32 s4, v69
	v_mov_b32_e32 v8, 0
	v_mov_b32_e32 v9, 0
	v_cmp_eq_u32_e64 s4, s4, v69
	s_and_saveexec_b32 s5, s4
	s_cbranch_execz .LBB11_1643
; %bb.1638:
	s_waitcnt vmcnt(0)
	v_mov_b32_e32 v2, 0
	s_mov_b32 s6, exec_lo
	global_load_dwordx2 v[5:6], v2, s[40:41] offset:24 glc dlc
	s_waitcnt vmcnt(0)
	buffer_gl1_inv
	buffer_gl0_inv
	s_clause 0x1
	global_load_dwordx2 v[3:4], v2, s[40:41] offset:40
	global_load_dwordx2 v[7:8], v2, s[40:41]
	s_waitcnt vmcnt(1)
	v_and_b32_e32 v4, v4, v6
	v_and_b32_e32 v3, v3, v5
	v_mul_lo_u32 v4, v4, 24
	v_mul_hi_u32 v9, v3, 24
	v_mul_lo_u32 v3, v3, 24
	v_add_nc_u32_e32 v4, v9, v4
	s_waitcnt vmcnt(0)
	v_add_co_u32 v3, vcc_lo, v7, v3
	v_add_co_ci_u32_e32 v4, vcc_lo, v8, v4, vcc_lo
	global_load_dwordx2 v[3:4], v[3:4], off glc dlc
	s_waitcnt vmcnt(0)
	global_atomic_cmpswap_x2 v[8:9], v2, v[3:6], s[40:41] offset:24 glc
	s_waitcnt vmcnt(0)
	buffer_gl1_inv
	buffer_gl0_inv
	v_cmpx_ne_u64_e64 v[8:9], v[5:6]
	s_cbranch_execz .LBB11_1642
; %bb.1639:
	s_mov_b32 s7, 0
	.p2align	6
.LBB11_1640:                            ; =>This Inner Loop Header: Depth=1
	s_sleep 1
	s_clause 0x1
	global_load_dwordx2 v[3:4], v2, s[40:41] offset:40
	global_load_dwordx2 v[10:11], v2, s[40:41]
	v_mov_b32_e32 v5, v8
	v_mov_b32_e32 v6, v9
	s_waitcnt vmcnt(1)
	v_and_b32_e32 v3, v3, v5
	v_and_b32_e32 v4, v4, v6
	s_waitcnt vmcnt(0)
	v_mad_u64_u32 v[7:8], null, v3, 24, v[10:11]
	v_mov_b32_e32 v3, v8
	v_mad_u64_u32 v[3:4], null, v4, 24, v[3:4]
	v_mov_b32_e32 v8, v3
	global_load_dwordx2 v[3:4], v[7:8], off glc dlc
	s_waitcnt vmcnt(0)
	global_atomic_cmpswap_x2 v[8:9], v2, v[3:6], s[40:41] offset:24 glc
	s_waitcnt vmcnt(0)
	buffer_gl1_inv
	buffer_gl0_inv
	v_cmp_eq_u64_e32 vcc_lo, v[8:9], v[5:6]
	s_or_b32 s7, vcc_lo, s7
	s_andn2_b32 exec_lo, exec_lo, s7
	s_cbranch_execnz .LBB11_1640
; %bb.1641:
	s_or_b32 exec_lo, exec_lo, s7
.LBB11_1642:
	s_or_b32 exec_lo, exec_lo, s6
.LBB11_1643:
	s_or_b32 exec_lo, exec_lo, s5
	s_waitcnt vmcnt(0)
	v_mov_b32_e32 v2, 0
	v_readfirstlane_b32 s6, v8
	v_readfirstlane_b32 s7, v9
	s_mov_b32 s5, exec_lo
	s_clause 0x1
	global_load_dwordx2 v[10:11], v2, s[40:41] offset:40
	global_load_dwordx4 v[4:7], v2, s[40:41]
	s_waitcnt vmcnt(1)
	v_readfirstlane_b32 s10, v10
	v_readfirstlane_b32 s11, v11
	s_and_b64 s[10:11], s[6:7], s[10:11]
	s_mul_i32 s15, s11, 24
	s_mul_hi_u32 s16, s10, 24
	s_mul_i32 s17, s10, 24
	s_add_i32 s16, s16, s15
	s_waitcnt vmcnt(0)
	v_add_co_u32 v8, vcc_lo, v4, s17
	v_add_co_ci_u32_e32 v9, vcc_lo, s16, v5, vcc_lo
	s_and_saveexec_b32 s15, s4
	s_cbranch_execz .LBB11_1645
; %bb.1644:
	v_mov_b32_e32 v10, s5
	v_mov_b32_e32 v11, v2
	v_mov_b32_e32 v12, 2
	v_mov_b32_e32 v13, 1
	global_store_dwordx4 v[8:9], v[10:13], off offset:8
.LBB11_1645:
	s_or_b32 exec_lo, exec_lo, s15
	s_lshl_b64 s[10:11], s[10:11], 12
	s_mov_b32 s16, 0
	v_add_co_u32 v6, vcc_lo, v6, s10
	v_add_co_ci_u32_e32 v7, vcc_lo, s11, v7, vcc_lo
	s_mov_b32 s17, s16
	v_readfirstlane_b32 s10, v6
	v_add_co_u32 v6, vcc_lo, v6, v68
	s_mov_b32 s18, s16
	s_mov_b32 s19, s16
	v_and_or_b32 v0, 0xffffff1f, v0, 32
	v_mov_b32_e32 v3, v2
	v_readfirstlane_b32 s11, v7
	v_mov_b32_e32 v10, s16
	v_add_co_ci_u32_e32 v7, vcc_lo, 0, v7, vcc_lo
	v_mov_b32_e32 v11, s17
	v_mov_b32_e32 v12, s18
	;; [unrolled: 1-line block ×3, first 2 shown]
	global_store_dwordx4 v68, v[0:3], s[10:11]
	global_store_dwordx4 v68, v[10:13], s[10:11] offset:16
	global_store_dwordx4 v68, v[10:13], s[10:11] offset:32
	;; [unrolled: 1-line block ×3, first 2 shown]
	s_and_saveexec_b32 s5, s4
	s_cbranch_execz .LBB11_1653
; %bb.1646:
	v_mov_b32_e32 v10, 0
	v_mov_b32_e32 v11, s6
	;; [unrolled: 1-line block ×3, first 2 shown]
	s_clause 0x1
	global_load_dwordx2 v[13:14], v10, s[40:41] offset:32 glc dlc
	global_load_dwordx2 v[0:1], v10, s[40:41] offset:40
	s_waitcnt vmcnt(0)
	v_readfirstlane_b32 s10, v0
	v_readfirstlane_b32 s11, v1
	s_and_b64 s[10:11], s[10:11], s[6:7]
	s_mul_i32 s11, s11, 24
	s_mul_hi_u32 s15, s10, 24
	s_mul_i32 s10, s10, 24
	s_add_i32 s15, s15, s11
	v_add_co_u32 v4, vcc_lo, v4, s10
	v_add_co_ci_u32_e32 v5, vcc_lo, s15, v5, vcc_lo
	s_mov_b32 s10, exec_lo
	global_store_dwordx2 v[4:5], v[13:14], off
	s_waitcnt_vscnt null, 0x0
	global_atomic_cmpswap_x2 v[2:3], v10, v[11:14], s[40:41] offset:32 glc
	s_waitcnt vmcnt(0)
	v_cmpx_ne_u64_e64 v[2:3], v[13:14]
	s_cbranch_execz .LBB11_1649
; %bb.1647:
	s_mov_b32 s11, 0
.LBB11_1648:                            ; =>This Inner Loop Header: Depth=1
	v_mov_b32_e32 v0, s6
	v_mov_b32_e32 v1, s7
	s_sleep 1
	global_store_dwordx2 v[4:5], v[2:3], off
	s_waitcnt_vscnt null, 0x0
	global_atomic_cmpswap_x2 v[0:1], v10, v[0:3], s[40:41] offset:32 glc
	s_waitcnt vmcnt(0)
	v_cmp_eq_u64_e32 vcc_lo, v[0:1], v[2:3]
	v_mov_b32_e32 v3, v1
	v_mov_b32_e32 v2, v0
	s_or_b32 s11, vcc_lo, s11
	s_andn2_b32 exec_lo, exec_lo, s11
	s_cbranch_execnz .LBB11_1648
.LBB11_1649:
	s_or_b32 exec_lo, exec_lo, s10
	v_mov_b32_e32 v3, 0
	s_mov_b32 s11, exec_lo
	s_mov_b32 s10, exec_lo
	v_mbcnt_lo_u32_b32 v2, s11, 0
	global_load_dwordx2 v[0:1], v3, s[40:41] offset:16
	v_cmpx_eq_u32_e32 0, v2
	s_cbranch_execz .LBB11_1651
; %bb.1650:
	s_bcnt1_i32_b32 s11, s11
	v_mov_b32_e32 v2, s11
	s_waitcnt vmcnt(0)
	global_atomic_add_x2 v[0:1], v[2:3], off offset:8
.LBB11_1651:
	s_or_b32 exec_lo, exec_lo, s10
	s_waitcnt vmcnt(0)
	global_load_dwordx2 v[2:3], v[0:1], off offset:16
	s_waitcnt vmcnt(0)
	v_cmp_eq_u64_e32 vcc_lo, 0, v[2:3]
	s_cbranch_vccnz .LBB11_1653
; %bb.1652:
	global_load_dword v0, v[0:1], off offset:24
	v_mov_b32_e32 v1, 0
	s_waitcnt vmcnt(0)
	v_and_b32_e32 v4, 0x7fffff, v0
	s_waitcnt_vscnt null, 0x0
	global_store_dwordx2 v[2:3], v[0:1], off
	v_readfirstlane_b32 m0, v4
	s_sendmsg sendmsg(MSG_INTERRUPT)
.LBB11_1653:
	s_or_b32 exec_lo, exec_lo, s5
	s_branch .LBB11_1657
	.p2align	6
.LBB11_1654:                            ;   in Loop: Header=BB11_1657 Depth=1
	s_or_b32 exec_lo, exec_lo, s5
	v_readfirstlane_b32 s5, v0
	s_cmp_eq_u32 s5, 0
	s_cbranch_scc1 .LBB11_1656
; %bb.1655:                             ;   in Loop: Header=BB11_1657 Depth=1
	s_sleep 1
	s_cbranch_execnz .LBB11_1657
	s_branch .LBB11_1659
	.p2align	6
.LBB11_1656:
	s_branch .LBB11_1659
.LBB11_1657:                            ; =>This Inner Loop Header: Depth=1
	v_mov_b32_e32 v0, 1
	s_and_saveexec_b32 s5, s4
	s_cbranch_execz .LBB11_1654
; %bb.1658:                             ;   in Loop: Header=BB11_1657 Depth=1
	global_load_dword v0, v[8:9], off offset:20 glc dlc
	s_waitcnt vmcnt(0)
	buffer_gl1_inv
	buffer_gl0_inv
	v_and_b32_e32 v0, 1, v0
	s_branch .LBB11_1654
.LBB11_1659:
	global_load_dwordx2 v[2:3], v[6:7], off
	s_and_saveexec_b32 s5, s4
	s_cbranch_execz .LBB11_1663
; %bb.1660:
	v_mov_b32_e32 v8, 0
	s_clause 0x2
	global_load_dwordx2 v[0:1], v8, s[40:41] offset:40
	global_load_dwordx2 v[9:10], v8, s[40:41] offset:24 glc dlc
	global_load_dwordx2 v[6:7], v8, s[40:41]
	s_waitcnt vmcnt(2)
	v_add_co_u32 v11, vcc_lo, v0, 1
	v_add_co_ci_u32_e32 v12, vcc_lo, 0, v1, vcc_lo
	v_add_co_u32 v4, vcc_lo, v11, s6
	v_add_co_ci_u32_e32 v5, vcc_lo, s7, v12, vcc_lo
	v_cmp_eq_u64_e32 vcc_lo, 0, v[4:5]
	v_cndmask_b32_e32 v5, v5, v12, vcc_lo
	v_cndmask_b32_e32 v4, v4, v11, vcc_lo
	v_and_b32_e32 v1, v5, v1
	v_and_b32_e32 v0, v4, v0
	v_mul_lo_u32 v1, v1, 24
	v_mul_hi_u32 v11, v0, 24
	v_mul_lo_u32 v0, v0, 24
	v_add_nc_u32_e32 v1, v11, v1
	s_waitcnt vmcnt(0)
	v_add_co_u32 v0, vcc_lo, v6, v0
	v_mov_b32_e32 v6, v9
	v_add_co_ci_u32_e32 v1, vcc_lo, v7, v1, vcc_lo
	v_mov_b32_e32 v7, v10
	global_store_dwordx2 v[0:1], v[9:10], off
	s_waitcnt_vscnt null, 0x0
	global_atomic_cmpswap_x2 v[6:7], v8, v[4:7], s[40:41] offset:24 glc
	s_waitcnt vmcnt(0)
	v_cmp_ne_u64_e32 vcc_lo, v[6:7], v[9:10]
	s_and_b32 exec_lo, exec_lo, vcc_lo
	s_cbranch_execz .LBB11_1663
; %bb.1661:
	s_mov_b32 s4, 0
.LBB11_1662:                            ; =>This Inner Loop Header: Depth=1
	s_sleep 1
	global_store_dwordx2 v[0:1], v[6:7], off
	s_waitcnt_vscnt null, 0x0
	global_atomic_cmpswap_x2 v[9:10], v8, v[4:7], s[40:41] offset:24 glc
	s_waitcnt vmcnt(0)
	v_cmp_eq_u64_e32 vcc_lo, v[9:10], v[6:7]
	v_mov_b32_e32 v6, v9
	v_mov_b32_e32 v7, v10
	s_or_b32 s4, vcc_lo, s4
	s_andn2_b32 exec_lo, exec_lo, s4
	s_cbranch_execnz .LBB11_1662
.LBB11_1663:
	s_or_b32 exec_lo, exec_lo, s5
.LBB11_1664:
	v_readfirstlane_b32 s4, v69
	s_waitcnt vmcnt(0)
	v_mov_b32_e32 v0, 0
	v_mov_b32_e32 v1, 0
	v_cmp_eq_u32_e64 s4, s4, v69
	s_and_saveexec_b32 s5, s4
	s_cbranch_execz .LBB11_1670
; %bb.1665:
	v_mov_b32_e32 v4, 0
	s_mov_b32 s6, exec_lo
	global_load_dwordx2 v[7:8], v4, s[40:41] offset:24 glc dlc
	s_waitcnt vmcnt(0)
	buffer_gl1_inv
	buffer_gl0_inv
	s_clause 0x1
	global_load_dwordx2 v[0:1], v4, s[40:41] offset:40
	global_load_dwordx2 v[5:6], v4, s[40:41]
	s_waitcnt vmcnt(1)
	v_and_b32_e32 v1, v1, v8
	v_and_b32_e32 v0, v0, v7
	v_mul_lo_u32 v1, v1, 24
	v_mul_hi_u32 v9, v0, 24
	v_mul_lo_u32 v0, v0, 24
	v_add_nc_u32_e32 v1, v9, v1
	s_waitcnt vmcnt(0)
	v_add_co_u32 v0, vcc_lo, v5, v0
	v_add_co_ci_u32_e32 v1, vcc_lo, v6, v1, vcc_lo
	global_load_dwordx2 v[5:6], v[0:1], off glc dlc
	s_waitcnt vmcnt(0)
	global_atomic_cmpswap_x2 v[0:1], v4, v[5:8], s[40:41] offset:24 glc
	s_waitcnt vmcnt(0)
	buffer_gl1_inv
	buffer_gl0_inv
	v_cmpx_ne_u64_e64 v[0:1], v[7:8]
	s_cbranch_execz .LBB11_1669
; %bb.1666:
	s_mov_b32 s7, 0
	.p2align	6
.LBB11_1667:                            ; =>This Inner Loop Header: Depth=1
	s_sleep 1
	s_clause 0x1
	global_load_dwordx2 v[5:6], v4, s[40:41] offset:40
	global_load_dwordx2 v[9:10], v4, s[40:41]
	v_mov_b32_e32 v8, v1
	v_mov_b32_e32 v7, v0
	s_waitcnt vmcnt(1)
	v_and_b32_e32 v0, v5, v7
	v_and_b32_e32 v5, v6, v8
	s_waitcnt vmcnt(0)
	v_mad_u64_u32 v[0:1], null, v0, 24, v[9:10]
	v_mad_u64_u32 v[5:6], null, v5, 24, v[1:2]
	v_mov_b32_e32 v1, v5
	global_load_dwordx2 v[5:6], v[0:1], off glc dlc
	s_waitcnt vmcnt(0)
	global_atomic_cmpswap_x2 v[0:1], v4, v[5:8], s[40:41] offset:24 glc
	s_waitcnt vmcnt(0)
	buffer_gl1_inv
	buffer_gl0_inv
	v_cmp_eq_u64_e32 vcc_lo, v[0:1], v[7:8]
	s_or_b32 s7, vcc_lo, s7
	s_andn2_b32 exec_lo, exec_lo, s7
	s_cbranch_execnz .LBB11_1667
; %bb.1668:
	s_or_b32 exec_lo, exec_lo, s7
.LBB11_1669:
	s_or_b32 exec_lo, exec_lo, s6
.LBB11_1670:
	s_or_b32 exec_lo, exec_lo, s5
	v_mov_b32_e32 v5, 0
	v_readfirstlane_b32 s6, v0
	v_readfirstlane_b32 s7, v1
	s_mov_b32 s5, exec_lo
	s_clause 0x1
	global_load_dwordx2 v[10:11], v5, s[40:41] offset:40
	global_load_dwordx4 v[6:9], v5, s[40:41]
	s_waitcnt vmcnt(1)
	v_readfirstlane_b32 s10, v10
	v_readfirstlane_b32 s11, v11
	s_and_b64 s[10:11], s[6:7], s[10:11]
	s_mul_i32 s15, s11, 24
	s_mul_hi_u32 s16, s10, 24
	s_mul_i32 s17, s10, 24
	s_add_i32 s16, s16, s15
	s_waitcnt vmcnt(0)
	v_add_co_u32 v10, vcc_lo, v6, s17
	v_add_co_ci_u32_e32 v11, vcc_lo, s16, v7, vcc_lo
	s_and_saveexec_b32 s15, s4
	s_cbranch_execz .LBB11_1672
; %bb.1671:
	v_mov_b32_e32 v4, s5
	v_mov_b32_e32 v13, v5
	;; [unrolled: 1-line block ×5, first 2 shown]
	global_store_dwordx4 v[10:11], v[12:15], off offset:8
.LBB11_1672:
	s_or_b32 exec_lo, exec_lo, s15
	s_lshl_b64 s[10:11], s[10:11], 12
	s_mov_b32 s16, 0
	v_add_co_u32 v0, vcc_lo, v8, s10
	v_add_co_ci_u32_e32 v1, vcc_lo, s11, v9, vcc_lo
	s_mov_b32 s17, s16
	s_mov_b32 s18, s16
	;; [unrolled: 1-line block ×3, first 2 shown]
	v_and_or_b32 v2, 0xffffff1d, v2, 34
	v_mov_b32_e32 v4, 10
	v_readfirstlane_b32 s10, v0
	v_readfirstlane_b32 s11, v1
	v_mov_b32_e32 v12, s16
	v_mov_b32_e32 v13, s17
	;; [unrolled: 1-line block ×4, first 2 shown]
	global_store_dwordx4 v68, v[2:5], s[10:11]
	global_store_dwordx4 v68, v[12:15], s[10:11] offset:16
	global_store_dwordx4 v68, v[12:15], s[10:11] offset:32
	;; [unrolled: 1-line block ×3, first 2 shown]
	s_and_saveexec_b32 s5, s4
	s_cbranch_execz .LBB11_1680
; %bb.1673:
	v_mov_b32_e32 v8, 0
	v_mov_b32_e32 v12, s6
	v_mov_b32_e32 v13, s7
	s_clause 0x1
	global_load_dwordx2 v[14:15], v8, s[40:41] offset:32 glc dlc
	global_load_dwordx2 v[0:1], v8, s[40:41] offset:40
	s_waitcnt vmcnt(0)
	v_readfirstlane_b32 s10, v0
	v_readfirstlane_b32 s11, v1
	s_and_b64 s[10:11], s[10:11], s[6:7]
	s_mul_i32 s11, s11, 24
	s_mul_hi_u32 s15, s10, 24
	s_mul_i32 s10, s10, 24
	s_add_i32 s15, s15, s11
	v_add_co_u32 v4, vcc_lo, v6, s10
	v_add_co_ci_u32_e32 v5, vcc_lo, s15, v7, vcc_lo
	s_mov_b32 s10, exec_lo
	global_store_dwordx2 v[4:5], v[14:15], off
	s_waitcnt_vscnt null, 0x0
	global_atomic_cmpswap_x2 v[2:3], v8, v[12:15], s[40:41] offset:32 glc
	s_waitcnt vmcnt(0)
	v_cmpx_ne_u64_e64 v[2:3], v[14:15]
	s_cbranch_execz .LBB11_1676
; %bb.1674:
	s_mov_b32 s11, 0
.LBB11_1675:                            ; =>This Inner Loop Header: Depth=1
	v_mov_b32_e32 v0, s6
	v_mov_b32_e32 v1, s7
	s_sleep 1
	global_store_dwordx2 v[4:5], v[2:3], off
	s_waitcnt_vscnt null, 0x0
	global_atomic_cmpswap_x2 v[0:1], v8, v[0:3], s[40:41] offset:32 glc
	s_waitcnt vmcnt(0)
	v_cmp_eq_u64_e32 vcc_lo, v[0:1], v[2:3]
	v_mov_b32_e32 v3, v1
	v_mov_b32_e32 v2, v0
	s_or_b32 s11, vcc_lo, s11
	s_andn2_b32 exec_lo, exec_lo, s11
	s_cbranch_execnz .LBB11_1675
.LBB11_1676:
	s_or_b32 exec_lo, exec_lo, s10
	v_mov_b32_e32 v3, 0
	s_mov_b32 s11, exec_lo
	s_mov_b32 s10, exec_lo
	v_mbcnt_lo_u32_b32 v2, s11, 0
	global_load_dwordx2 v[0:1], v3, s[40:41] offset:16
	v_cmpx_eq_u32_e32 0, v2
	s_cbranch_execz .LBB11_1678
; %bb.1677:
	s_bcnt1_i32_b32 s11, s11
	v_mov_b32_e32 v2, s11
	s_waitcnt vmcnt(0)
	global_atomic_add_x2 v[0:1], v[2:3], off offset:8
.LBB11_1678:
	s_or_b32 exec_lo, exec_lo, s10
	s_waitcnt vmcnt(0)
	global_load_dwordx2 v[2:3], v[0:1], off offset:16
	s_waitcnt vmcnt(0)
	v_cmp_eq_u64_e32 vcc_lo, 0, v[2:3]
	s_cbranch_vccnz .LBB11_1680
; %bb.1679:
	global_load_dword v0, v[0:1], off offset:24
	v_mov_b32_e32 v1, 0
	s_waitcnt vmcnt(0)
	v_and_b32_e32 v4, 0x7fffff, v0
	s_waitcnt_vscnt null, 0x0
	global_store_dwordx2 v[2:3], v[0:1], off
	v_readfirstlane_b32 m0, v4
	s_sendmsg sendmsg(MSG_INTERRUPT)
.LBB11_1680:
	s_or_b32 exec_lo, exec_lo, s5
	s_branch .LBB11_1684
	.p2align	6
.LBB11_1681:                            ;   in Loop: Header=BB11_1684 Depth=1
	s_or_b32 exec_lo, exec_lo, s5
	v_readfirstlane_b32 s5, v0
	s_cmp_eq_u32 s5, 0
	s_cbranch_scc1 .LBB11_1683
; %bb.1682:                             ;   in Loop: Header=BB11_1684 Depth=1
	s_sleep 1
	s_cbranch_execnz .LBB11_1684
	s_branch .LBB11_1686
	.p2align	6
.LBB11_1683:
	s_branch .LBB11_1686
.LBB11_1684:                            ; =>This Inner Loop Header: Depth=1
	v_mov_b32_e32 v0, 1
	s_and_saveexec_b32 s5, s4
	s_cbranch_execz .LBB11_1681
; %bb.1685:                             ;   in Loop: Header=BB11_1684 Depth=1
	global_load_dword v0, v[10:11], off offset:20 glc dlc
	s_waitcnt vmcnt(0)
	buffer_gl1_inv
	buffer_gl0_inv
	v_and_b32_e32 v0, 1, v0
	s_branch .LBB11_1681
.LBB11_1686:
	s_and_saveexec_b32 s5, s4
	s_cbranch_execz .LBB11_1690
; %bb.1687:
	v_mov_b32_e32 v6, 0
	s_clause 0x2
	global_load_dwordx2 v[2:3], v6, s[40:41] offset:40
	global_load_dwordx2 v[7:8], v6, s[40:41] offset:24 glc dlc
	global_load_dwordx2 v[4:5], v6, s[40:41]
	s_waitcnt vmcnt(2)
	v_add_co_u32 v9, vcc_lo, v2, 1
	v_add_co_ci_u32_e32 v10, vcc_lo, 0, v3, vcc_lo
	v_add_co_u32 v0, vcc_lo, v9, s6
	v_add_co_ci_u32_e32 v1, vcc_lo, s7, v10, vcc_lo
	v_cmp_eq_u64_e32 vcc_lo, 0, v[0:1]
	v_cndmask_b32_e32 v1, v1, v10, vcc_lo
	v_cndmask_b32_e32 v0, v0, v9, vcc_lo
	v_and_b32_e32 v3, v1, v3
	v_and_b32_e32 v2, v0, v2
	v_mul_lo_u32 v3, v3, 24
	v_mul_hi_u32 v9, v2, 24
	v_mul_lo_u32 v2, v2, 24
	v_add_nc_u32_e32 v3, v9, v3
	s_waitcnt vmcnt(0)
	v_add_co_u32 v4, vcc_lo, v4, v2
	v_mov_b32_e32 v2, v7
	v_add_co_ci_u32_e32 v5, vcc_lo, v5, v3, vcc_lo
	v_mov_b32_e32 v3, v8
	global_store_dwordx2 v[4:5], v[7:8], off
	s_waitcnt_vscnt null, 0x0
	global_atomic_cmpswap_x2 v[2:3], v6, v[0:3], s[40:41] offset:24 glc
	s_waitcnt vmcnt(0)
	v_cmp_ne_u64_e32 vcc_lo, v[2:3], v[7:8]
	s_and_b32 exec_lo, exec_lo, vcc_lo
	s_cbranch_execz .LBB11_1690
; %bb.1688:
	s_mov_b32 s4, 0
.LBB11_1689:                            ; =>This Inner Loop Header: Depth=1
	s_sleep 1
	global_store_dwordx2 v[4:5], v[2:3], off
	s_waitcnt_vscnt null, 0x0
	global_atomic_cmpswap_x2 v[7:8], v6, v[0:3], s[40:41] offset:24 glc
	s_waitcnt vmcnt(0)
	v_cmp_eq_u64_e32 vcc_lo, v[7:8], v[2:3]
	v_mov_b32_e32 v2, v7
	v_mov_b32_e32 v3, v8
	s_or_b32 s4, vcc_lo, s4
	s_andn2_b32 exec_lo, exec_lo, s4
	s_cbranch_execnz .LBB11_1689
.LBB11_1690:
	s_or_b32 exec_lo, exec_lo, s5
	flat_load_dwordx2 v[0:1], v[66:67]
	s_waitcnt vmcnt(0) lgkmcnt(0)
	flat_load_dword v2, v[0:1]
	s_waitcnt vmcnt(0) lgkmcnt(0)
	v_add_nc_u32_e32 v2, 1, v2
	flat_store_dword v[0:1], v2
.LBB11_1691:
	s_or_b32 exec_lo, exec_lo, s43
	s_getpc_b64 s[4:5]
	s_add_u32 s4, s4, _ZN8migraphx4test4failEv@rel32@lo+4
	s_addc_u32 s5, s5, _ZN8migraphx4test4failEv@rel32@hi+12
	s_swappc_b64 s[30:31], s[4:5]
	; divergent unreachable
.LBB11_1692:
	s_andn2_saveexec_b32 s4, s42
	s_or_b32 exec_lo, exec_lo, s4
	v_readlane_b32 s30, v41, 0
	v_readlane_b32 s31, v41, 1
	;; [unrolled: 1-line block ×3, first 2 shown]
	s_or_saveexec_b32 s5, -1
	buffer_load_dword v41, off, s[0:3], s33 offset:40 ; 4-byte Folded Reload
	s_mov_b32 exec_lo, s5
	s_addk_i32 s32, 0xfa00
	s_mov_b32 s33, s4
	s_waitcnt vmcnt(0)
	s_setpc_b64 s[30:31]
.Lfunc_end11:
	.size	_ZL21merge_single_elementsRN8migraphx4test12test_managerE, .Lfunc_end11-_ZL21merge_single_elementsRN8migraphx4test12test_managerE
                                        ; -- End function
	.section	.AMDGPU.csdata,"",@progbits
; Function info:
; codeLenInByte = 61064
; NumSgprs: 52
; NumVgprs: 70
; ScratchSize: 64
; MemoryBound: 0
	.text
	.protected	gpu_test_kernel         ; -- Begin function gpu_test_kernel
	.globl	gpu_test_kernel
	.p2align	8
	.type	gpu_test_kernel,@function
gpu_test_kernel:                        ; @gpu_test_kernel
; %bb.0:
	s_add_u32 s8, s8, s13
	s_movk_i32 s32, 0x800
	s_addc_u32 s9, s9, 0
	s_setreg_b32 hwreg(HW_REG_FLAT_SCR_LO), s8
	s_setreg_b32 hwreg(HW_REG_FLAT_SCR_HI), s9
	s_mov_b64 s[52:53], s[4:5]
	s_clause 0x1
	s_load_dwordx2 s[4:5], s[6:7], 0x8
	s_load_dword s57, s[6:7], 0x0
	v_mov_b32_e32 v44, v1
	v_mov_b32_e32 v42, v0
	;; [unrolled: 1-line block ×3, first 2 shown]
	s_add_u32 s0, s0, s13
	s_addc_u32 s1, s1, 0
	s_mov_b32 s54, s12
	s_mov_b64 s[50:51], s[6:7]
	s_mov_b32 s55, s11
	s_mov_b32 s56, s10
	s_mov_b64 s[58:59], src_private_base
	s_waitcnt lgkmcnt(0)
	v_mov_b32_e32 v0, s5
	v_mov_b32_e32 v1, s4
	s_cmp_lt_i32 s57, 3
	buffer_store_dword v0, off, s[0:3], 0 offset:52
	buffer_store_dword v1, off, s[0:3], 0 offset:48
	s_cbranch_scc1 .LBB12_13
; %bb.1:
	s_cmp_lt_i32 s57, 4
	s_mov_b32 s4, -1
	s_cbranch_scc1 .LBB12_9
; %bb.2:
	s_cmp_lt_i32 s57, 5
	s_cbranch_scc1 .LBB12_6
; %bb.3:
	s_cmp_eq_u32 s57, 5
	s_cbranch_scc0 .LBB12_5
; %bb.4:
	v_mov_b32_e32 v31, v42
	v_mov_b32_e32 v0, 48
	;; [unrolled: 1-line block ×3, first 2 shown]
	s_add_u32 s8, s50, 16
	s_addc_u32 s9, s51, 0
	s_mov_b32 s12, s56
	s_mov_b32 s13, s55
	;; [unrolled: 1-line block ×3, first 2 shown]
	s_getpc_b64 s[4:5]
	s_add_u32 s4, s4, _ZL21merge_single_elementsRN8migraphx4test12test_managerE@rel32@lo+4
	s_addc_u32 s5, s5, _ZL21merge_single_elementsRN8migraphx4test12test_managerE@rel32@hi+12
	s_swappc_b64 s[30:31], s[4:5]
.LBB12_5:
	s_mov_b32 s4, 0
.LBB12_6:
	s_andn2_b32 vcc_lo, exec_lo, s4
	s_cbranch_vccnz .LBB12_8
; %bb.7:
	v_mov_b32_e32 v31, v42
	v_mov_b32_e32 v0, 48
	;; [unrolled: 1-line block ×3, first 2 shown]
	s_add_u32 s8, s50, 16
	s_addc_u32 s9, s51, 0
	s_mov_b32 s12, s56
	s_mov_b32 s13, s55
	;; [unrolled: 1-line block ×3, first 2 shown]
	s_getpc_b64 s[4:5]
	s_add_u32 s4, s4, _ZL24merge_all_equal_elementsRN8migraphx4test12test_managerE@rel32@lo+4
	s_addc_u32 s5, s5, _ZL24merge_all_equal_elementsRN8migraphx4test12test_managerE@rel32@hi+12
	s_swappc_b64 s[30:31], s[4:5]
.LBB12_8:
	s_mov_b32 s4, 0
.LBB12_9:
	s_andn2_b32 vcc_lo, exec_lo, s4
	s_cbranch_vccnz .LBB12_11
; %bb.10:
	v_mov_b32_e32 v31, v42
	v_mov_b32_e32 v0, 48
	;; [unrolled: 1-line block ×3, first 2 shown]
	s_add_u32 s8, s50, 16
	s_addc_u32 s9, s51, 0
	s_mov_b32 s12, s56
	s_mov_b32 s13, s55
	;; [unrolled: 1-line block ×3, first 2 shown]
	s_getpc_b64 s[4:5]
	s_add_u32 s4, s4, _ZL21merge_many_duplicatesRN8migraphx4test12test_managerE@rel32@lo+4
	s_addc_u32 s5, s5, _ZL21merge_many_duplicatesRN8migraphx4test12test_managerE@rel32@hi+12
	s_swappc_b64 s[30:31], s[4:5]
.LBB12_11:
	s_mov_b32 s37, -1
	s_cbranch_execz .LBB12_14
.LBB12_12:
	s_and_saveexec_b32 s4, s37
	s_endpgm
.LBB12_13:
	s_mov_b32 s37, 0
.LBB12_14:
	s_cmp_gt_i32 s57, 0
	s_mov_b32 s4, -1
	s_cbranch_scc0 .LBB12_20
; %bb.15:
	s_cmp_gt_i32 s57, 1
	s_cbranch_scc0 .LBB12_17
; %bb.16:
	v_mov_b32_e32 v31, v42
	v_mov_b32_e32 v0, 48
	;; [unrolled: 1-line block ×3, first 2 shown]
	s_add_u32 s8, s50, 16
	s_addc_u32 s9, s51, 0
	s_mov_b32 s12, s56
	s_mov_b32 s13, s55
	;; [unrolled: 1-line block ×3, first 2 shown]
	s_getpc_b64 s[4:5]
	s_add_u32 s4, s4, _ZL17merge_interleavedRN8migraphx4test12test_managerE@rel32@lo+4
	s_addc_u32 s5, s5, _ZL17merge_interleavedRN8migraphx4test12test_managerE@rel32@hi+12
	s_swappc_b64 s[30:31], s[4:5]
	s_mov_b32 s4, 0
.LBB12_17:
	s_andn2_b32 vcc_lo, exec_lo, s4
	s_cbranch_vccnz .LBB12_19
; %bb.18:
	v_mov_b32_e32 v31, v42
	v_mov_b32_e32 v0, 48
	;; [unrolled: 1-line block ×3, first 2 shown]
	s_add_u32 s8, s50, 16
	s_addc_u32 s9, s51, 0
	s_mov_b32 s12, s56
	s_mov_b32 s13, s55
	;; [unrolled: 1-line block ×3, first 2 shown]
	s_getpc_b64 s[4:5]
	s_add_u32 s4, s4, _ZL22merge_first_all_largerRN8migraphx4test12test_managerE@rel32@lo+4
	s_addc_u32 s5, s5, _ZL22merge_first_all_largerRN8migraphx4test12test_managerE@rel32@hi+12
	s_swappc_b64 s[30:31], s[4:5]
.LBB12_19:
	s_mov_b32 s4, 0
	s_mov_b32 s37, -1
.LBB12_20:
	s_andn2_b32 vcc_lo, exec_lo, s4
	s_cbranch_vccnz .LBB12_12
; %bb.21:
	s_mov_b32 s37, -1
	s_cmp_eq_u32 s57, 0
	s_mov_b32 s4, 0
	s_cbranch_scc0 .LBB12_12
; %bb.22:
	s_load_dwordx2 s[6:7], s[52:53], 0x4
	v_mov_b32_e32 v9, 4
	v_mov_b32_e32 v10, 5
	;; [unrolled: 1-line block ×8, first 2 shown]
	s_waitcnt lgkmcnt(0)
	s_lshr_b32 s5, s6, 16
	v_mul_u32_u24_e32 v1, s7, v44
	s_mul_i32 s5, s5, s7
                                        ; implicit-def: $sgpr7
                                        ; implicit-def: $sgpr6
	v_mul_lo_u32 v0, s5, v42
                                        ; implicit-def: $sgpr5
	v_add3_u32 v3, v0, v1, v43
	v_mov_b32_e32 v0, 0
	buffer_store_dword v0, off, s[0:3], 0
	buffer_store_dword v0, off, s[0:3], 0 offset:4
	buffer_store_dword v0, off, s[0:3], 0 offset:8
	v_mul_lo_u32 v1, v3, 12
	buffer_store_dword v0, off, s[0:3], 0 offset:12
	buffer_store_dword v0, off, s[0:3], 0 offset:16
	v_add_nc_u32_e32 v2, 0x3000, v1
	v_add_nc_u32_e32 v12, 8, v1
	ds_write2_b32 v1, v9, v10 offset1:1
	ds_write2_b32 v2, v4, v5 offset1:1
	ds_write2st64_b32 v12, v11, v8 offset1:48
	buffer_store_dword v0, off, s[0:3], 0 offset:20
	s_inst_prefetch 0x1
	s_branch .LBB12_24
	.p2align	6
.LBB12_23:                              ;   in Loop: Header=BB12_24 Depth=1
	s_or_b32 exec_lo, exec_lo, s8
	s_and_b32 s8, exec_lo, s7
	s_or_b32 s4, s8, s4
	s_andn2_b32 s5, s5, exec_lo
	s_and_b32 s8, s6, exec_lo
	s_or_b32 s5, s5, s8
	s_andn2_b32 exec_lo, exec_lo, s4
	s_cbranch_execz .LBB12_26
.LBB12_24:                              ; =>This Inner Loop Header: Depth=1
	v_mov_b32_e32 v5, v7
	v_mov_b32_e32 v4, v6
	s_or_b32 s6, s6, exec_lo
	s_or_b32 s7, s7, exec_lo
	s_mov_b32 s8, exec_lo
                                        ; implicit-def: $vgpr7
                                        ; implicit-def: $vgpr6
	v_cmpx_ne_u32_e32 12, v0
	s_cbranch_execz .LBB12_23
; %bb.25:                               ;   in Loop: Header=BB12_24 Depth=1
	v_add_nc_u32_e32 v6, v1, v0
	v_add_nc_u32_e32 v7, v2, v5
	s_andn2_b32 s7, s7, exec_lo
	s_andn2_b32 s6, s6, exec_lo
	ds_read_b32 v6, v6
	ds_read_b32 v8, v7
	s_waitcnt lgkmcnt(0)
	v_cmp_ge_i32_e32 vcc_lo, v6, v8
	v_cndmask_b32_e64 v7, 0, 1, vcc_lo
	v_cmp_lt_i32_e32 vcc_lo, v6, v8
	v_min_i32_e32 v8, v6, v8
	v_add_nc_u32_e32 v6, 4, v4
	v_lshl_add_u32 v7, v7, 2, v5
	v_cndmask_b32_e64 v9, 0, 1, vcc_lo
	buffer_store_dword v8, v4, s[0:3], 0 offen
	v_cmp_eq_u32_e32 vcc_lo, 12, v7
	v_lshl_add_u32 v0, v9, 2, v0
	s_and_b32 s9, vcc_lo, exec_lo
	s_or_b32 s7, s7, s9
	s_branch .LBB12_23
.LBB12_26:
	s_inst_prefetch 0x2
	s_or_b32 exec_lo, exec_lo, s4
	s_xor_b32 s4, s5, -1
	s_and_saveexec_b32 s5, s4
	s_xor_b32 s4, exec_lo, s5
	s_cbranch_execz .LBB12_31
; %bb.27:
	s_mov_b32 s5, exec_lo
	v_cmpx_ne_u32_e32 12, v0
	s_cbranch_execz .LBB12_30
; %bb.28:
	v_mad_u64_u32 v[1:2], null, v3, 12, v[0:1]
	v_sub_nc_u32_e32 v0, 12, v0
	s_mov_b32 s6, 0
	s_mov_b32 s7, 0
.LBB12_29:                              ; =>This Inner Loop Header: Depth=1
	v_add_nc_u32_e32 v2, s7, v1
	v_add_nc_u32_e32 v7, s7, v6
	s_add_i32 s7, s7, 4
	v_cmp_eq_u32_e32 vcc_lo, s7, v0
	ds_read_b32 v2, v2
	s_or_b32 s6, vcc_lo, s6
	s_waitcnt lgkmcnt(0)
	buffer_store_dword v2, v7, s[0:3], 0 offen
	s_andn2_b32 exec_lo, exec_lo, s6
	s_cbranch_execnz .LBB12_29
.LBB12_30:
	s_or_b32 exec_lo, exec_lo, s5
                                        ; implicit-def: $vgpr1
.LBB12_31:
	s_andn2_saveexec_b32 s4, s4
	s_cbranch_execz .LBB12_35
; %bb.32:
	v_sub_nc_u32_e32 v0, 12, v5
	v_add3_u32 v1, v1, v5, 0x3000
	s_mov_b32 s5, 0
	s_mov_b32 s6, 0
.LBB12_33:                              ; =>This Inner Loop Header: Depth=1
	v_add_nc_u32_e32 v2, s6, v1
	v_add_nc_u32_e32 v5, s6, v4
	s_add_i32 s6, s6, 4
	v_cmp_eq_u32_e32 vcc_lo, s6, v0
	ds_read_b32 v2, v2
	s_or_b32 s5, vcc_lo, s5
	s_waitcnt lgkmcnt(0)
	buffer_store_dword v2, v5, s[0:3], 0 offen
	s_andn2_b32 exec_lo, exec_lo, s5
	s_cbranch_execnz .LBB12_33
; %bb.34:
	s_or_b32 exec_lo, exec_lo, s5
.LBB12_35:
	s_or_b32 exec_lo, exec_lo, s4
	s_clause 0x5
	buffer_load_dword v0, off, s[0:3], 0 offset:4
	buffer_load_dword v1, off, s[0:3], 0 offset:8
	buffer_load_dword v2, off, s[0:3], 0 offset:12
	buffer_load_dword v4, off, s[0:3], 0
	buffer_load_dword v5, off, s[0:3], 0 offset:16
	buffer_load_dword v6, off, s[0:3], 0 offset:20
	v_lshl_add_u32 v36, v3, 4, 0x6000
	v_mov_b32_e32 v3, 1
	v_mov_b32_e32 v7, 4
	s_mov_b64 s[6:7], src_private_base
	s_mov_b32 s6, 0
	s_mov_b32 s8, 24
	buffer_store_dword v3, off, s[0:3], 0 offset:24
	v_mov_b32_e32 v3, 5
	s_mov_b32 s9, s7
	s_mov_b32 s37, 0
	s_waitcnt vmcnt(5)
	v_cmp_ne_u32_e32 vcc_lo, 2, v0
	v_cndmask_b32_e64 v0, 0, 1, vcc_lo
	s_waitcnt vmcnt(4)
	v_cmp_ne_u32_e32 vcc_lo, 3, v1
	s_waitcnt vmcnt(0)
	v_cmp_ne_u32_e64 s5, 6, v6
	v_lshlrev_b16 v0, 1, v0
	v_cndmask_b32_e64 v1, 0, 1, vcc_lo
	v_cmp_ne_u32_e32 vcc_lo, 4, v2
	v_lshlrev_b16 v1, 2, v1
	v_cndmask_b32_e64 v2, 0, 1, vcc_lo
	v_cmp_ne_u32_e32 vcc_lo, 1, v4
	;; [unrolled: 3-line block ×3, first 2 shown]
	v_or_b32_e32 v1, v2, v1
	v_or_b32_e32 v0, v4, v0
	v_mov_b32_e32 v4, 2
	v_mov_b32_e32 v2, 3
	v_and_b32_e32 v0, 3, v0
	buffer_store_dword v4, off, s[0:3], 0 offset:28
	buffer_store_dword v2, off, s[0:3], 0 offset:32
	;; [unrolled: 1-line block ×4, first 2 shown]
	v_mov_b32_e32 v2, s8
	v_mov_b32_e32 v4, 6
	v_or_b32_e32 v0, v0, v1
	v_mov_b32_e32 v3, s9
	buffer_store_dword v4, off, s[0:3], 0 offset:44
	v_and_b32_e32 v0, 15, v0
	v_cmp_ne_u16_e64 s4, 0, v0
	v_mov_b32_e32 v0, s6
	v_mov_b32_e32 v1, s7
	s_or_b32 s4, s4, vcc_lo
	s_or_b32 s4, s4, s5
	ds_write2_b64 v36, v[0:1], v[2:3] offset1:1
	s_and_saveexec_b32 s5, s4
	s_xor_b32 s40, exec_lo, s5
	s_cbranch_execz .LBB12_1565
; %bb.36:
	s_mov_b32 s41, exec_lo
	v_cmpx_eq_u32_e32 0, v42
	s_cbranch_execz .LBB12_1564
; %bb.37:
	s_load_dwordx2 s[6:7], s[50:51], 0x60
	v_mbcnt_lo_u32_b32 v32, -1, 0
	v_mov_b32_e32 v6, 0
	v_mov_b32_e32 v7, 0
	v_readfirstlane_b32 s4, v32
	v_cmp_eq_u32_e64 s4, s4, v32
	s_and_saveexec_b32 s5, s4
	s_cbranch_execz .LBB12_43
; %bb.38:
	v_mov_b32_e32 v0, 0
	s_mov_b32 s8, exec_lo
	s_waitcnt lgkmcnt(0)
	global_load_dwordx2 v[3:4], v0, s[6:7] offset:24 glc dlc
	s_waitcnt vmcnt(0)
	buffer_gl1_inv
	buffer_gl0_inv
	s_clause 0x1
	global_load_dwordx2 v[1:2], v0, s[6:7] offset:40
	global_load_dwordx2 v[5:6], v0, s[6:7]
	s_waitcnt vmcnt(1)
	v_and_b32_e32 v2, v2, v4
	v_and_b32_e32 v1, v1, v3
	v_mul_lo_u32 v2, v2, 24
	v_mul_hi_u32 v7, v1, 24
	v_mul_lo_u32 v1, v1, 24
	v_add_nc_u32_e32 v2, v7, v2
	s_waitcnt vmcnt(0)
	v_add_co_u32 v1, vcc_lo, v5, v1
	v_add_co_ci_u32_e32 v2, vcc_lo, v6, v2, vcc_lo
	global_load_dwordx2 v[1:2], v[1:2], off glc dlc
	s_waitcnt vmcnt(0)
	global_atomic_cmpswap_x2 v[6:7], v0, v[1:4], s[6:7] offset:24 glc
	s_waitcnt vmcnt(0)
	buffer_gl1_inv
	buffer_gl0_inv
	v_cmpx_ne_u64_e64 v[6:7], v[3:4]
	s_cbranch_execz .LBB12_42
; %bb.39:
	s_mov_b32 s9, 0
.LBB12_40:                              ; =>This Inner Loop Header: Depth=1
	s_sleep 1
	s_clause 0x1
	global_load_dwordx2 v[1:2], v0, s[6:7] offset:40
	global_load_dwordx2 v[8:9], v0, s[6:7]
	v_mov_b32_e32 v3, v6
	v_mov_b32_e32 v4, v7
	s_waitcnt vmcnt(1)
	v_and_b32_e32 v1, v1, v3
	v_and_b32_e32 v2, v2, v4
	s_waitcnt vmcnt(0)
	v_mad_u64_u32 v[5:6], null, v1, 24, v[8:9]
	v_mov_b32_e32 v1, v6
	v_mad_u64_u32 v[1:2], null, v2, 24, v[1:2]
	v_mov_b32_e32 v6, v1
	global_load_dwordx2 v[1:2], v[5:6], off glc dlc
	s_waitcnt vmcnt(0)
	global_atomic_cmpswap_x2 v[6:7], v0, v[1:4], s[6:7] offset:24 glc
	s_waitcnt vmcnt(0)
	buffer_gl1_inv
	buffer_gl0_inv
	v_cmp_eq_u64_e32 vcc_lo, v[6:7], v[3:4]
	s_or_b32 s9, vcc_lo, s9
	s_andn2_b32 exec_lo, exec_lo, s9
	s_cbranch_execnz .LBB12_40
; %bb.41:
	s_or_b32 exec_lo, exec_lo, s9
.LBB12_42:
	s_or_b32 exec_lo, exec_lo, s8
.LBB12_43:
	s_or_b32 exec_lo, exec_lo, s5
	v_mov_b32_e32 v5, 0
	v_readfirstlane_b32 s8, v6
	v_readfirstlane_b32 s9, v7
	s_mov_b32 s5, exec_lo
	s_waitcnt lgkmcnt(0)
	s_clause 0x1
	global_load_dwordx2 v[8:9], v5, s[6:7] offset:40
	global_load_dwordx4 v[0:3], v5, s[6:7]
	s_waitcnt vmcnt(1)
	v_readfirstlane_b32 s10, v8
	v_readfirstlane_b32 s11, v9
	s_and_b64 s[10:11], s[8:9], s[10:11]
	s_mul_i32 s12, s11, 24
	s_mul_hi_u32 s13, s10, 24
	s_mul_i32 s14, s10, 24
	s_add_i32 s13, s13, s12
	s_waitcnt vmcnt(0)
	v_add_co_u32 v8, vcc_lo, v0, s14
	v_add_co_ci_u32_e32 v9, vcc_lo, s13, v1, vcc_lo
	s_and_saveexec_b32 s12, s4
	s_cbranch_execz .LBB12_45
; %bb.44:
	v_mov_b32_e32 v4, s5
	v_mov_b32_e32 v6, 2
	;; [unrolled: 1-line block ×3, first 2 shown]
	global_store_dwordx4 v[8:9], v[4:7], off offset:8
.LBB12_45:
	s_or_b32 exec_lo, exec_lo, s12
	s_lshl_b64 s[10:11], s[10:11], 12
	v_lshlrev_b32_e32 v31, 6, v32
	v_add_co_u32 v2, vcc_lo, v2, s10
	v_add_co_ci_u32_e32 v3, vcc_lo, s11, v3, vcc_lo
	s_mov_b32 s12, 0
	v_add_co_u32 v10, vcc_lo, v2, v31
	s_mov_b32 s13, s12
	s_mov_b32 s14, s12
	;; [unrolled: 1-line block ×3, first 2 shown]
	v_mov_b32_e32 v4, 33
	v_mov_b32_e32 v6, v5
	;; [unrolled: 1-line block ×3, first 2 shown]
	v_readfirstlane_b32 s10, v2
	v_readfirstlane_b32 s11, v3
	v_mov_b32_e32 v12, s12
	v_add_co_ci_u32_e32 v11, vcc_lo, 0, v3, vcc_lo
	v_mov_b32_e32 v13, s13
	v_mov_b32_e32 v14, s14
	;; [unrolled: 1-line block ×3, first 2 shown]
	global_store_dwordx4 v31, v[4:7], s[10:11]
	global_store_dwordx4 v31, v[12:15], s[10:11] offset:16
	global_store_dwordx4 v31, v[12:15], s[10:11] offset:32
	;; [unrolled: 1-line block ×3, first 2 shown]
	s_and_saveexec_b32 s5, s4
	s_cbranch_execz .LBB12_53
; %bb.46:
	v_mov_b32_e32 v6, 0
	v_mov_b32_e32 v12, s8
	v_mov_b32_e32 v13, s9
	s_mov_b32 s10, exec_lo
	s_clause 0x1
	global_load_dwordx2 v[14:15], v6, s[6:7] offset:32 glc dlc
	global_load_dwordx2 v[2:3], v6, s[6:7] offset:40
	s_waitcnt vmcnt(0)
	v_and_b32_e32 v3, s9, v3
	v_and_b32_e32 v2, s8, v2
	v_mul_lo_u32 v3, v3, 24
	v_mul_hi_u32 v4, v2, 24
	v_mul_lo_u32 v2, v2, 24
	v_add_nc_u32_e32 v3, v4, v3
	v_add_co_u32 v4, vcc_lo, v0, v2
	v_add_co_ci_u32_e32 v5, vcc_lo, v1, v3, vcc_lo
	global_store_dwordx2 v[4:5], v[14:15], off
	s_waitcnt_vscnt null, 0x0
	global_atomic_cmpswap_x2 v[2:3], v6, v[12:15], s[6:7] offset:32 glc
	s_waitcnt vmcnt(0)
	v_cmpx_ne_u64_e64 v[2:3], v[14:15]
	s_cbranch_execz .LBB12_49
; %bb.47:
	s_mov_b32 s11, 0
.LBB12_48:                              ; =>This Inner Loop Header: Depth=1
	v_mov_b32_e32 v0, s8
	v_mov_b32_e32 v1, s9
	s_sleep 1
	global_store_dwordx2 v[4:5], v[2:3], off
	s_waitcnt_vscnt null, 0x0
	global_atomic_cmpswap_x2 v[0:1], v6, v[0:3], s[6:7] offset:32 glc
	s_waitcnt vmcnt(0)
	v_cmp_eq_u64_e32 vcc_lo, v[0:1], v[2:3]
	v_mov_b32_e32 v3, v1
	v_mov_b32_e32 v2, v0
	s_or_b32 s11, vcc_lo, s11
	s_andn2_b32 exec_lo, exec_lo, s11
	s_cbranch_execnz .LBB12_48
.LBB12_49:
	s_or_b32 exec_lo, exec_lo, s10
	v_mov_b32_e32 v3, 0
	s_mov_b32 s11, exec_lo
	s_mov_b32 s10, exec_lo
	v_mbcnt_lo_u32_b32 v2, s11, 0
	global_load_dwordx2 v[0:1], v3, s[6:7] offset:16
	v_cmpx_eq_u32_e32 0, v2
	s_cbranch_execz .LBB12_51
; %bb.50:
	s_bcnt1_i32_b32 s11, s11
	v_mov_b32_e32 v2, s11
	s_waitcnt vmcnt(0)
	global_atomic_add_x2 v[0:1], v[2:3], off offset:8
.LBB12_51:
	s_or_b32 exec_lo, exec_lo, s10
	s_waitcnt vmcnt(0)
	global_load_dwordx2 v[2:3], v[0:1], off offset:16
	s_waitcnt vmcnt(0)
	v_cmp_eq_u64_e32 vcc_lo, 0, v[2:3]
	s_cbranch_vccnz .LBB12_53
; %bb.52:
	global_load_dword v0, v[0:1], off offset:24
	v_mov_b32_e32 v1, 0
	s_waitcnt vmcnt(0)
	v_and_b32_e32 v4, 0x7fffff, v0
	s_waitcnt_vscnt null, 0x0
	global_store_dwordx2 v[2:3], v[0:1], off
	v_readfirstlane_b32 m0, v4
	s_sendmsg sendmsg(MSG_INTERRUPT)
.LBB12_53:
	s_or_b32 exec_lo, exec_lo, s5
	s_branch .LBB12_57
	.p2align	6
.LBB12_54:                              ;   in Loop: Header=BB12_57 Depth=1
	s_or_b32 exec_lo, exec_lo, s5
	v_readfirstlane_b32 s5, v0
	s_cmp_eq_u32 s5, 0
	s_cbranch_scc1 .LBB12_56
; %bb.55:                               ;   in Loop: Header=BB12_57 Depth=1
	s_sleep 1
	s_cbranch_execnz .LBB12_57
	s_branch .LBB12_59
	.p2align	6
.LBB12_56:
	s_branch .LBB12_59
.LBB12_57:                              ; =>This Inner Loop Header: Depth=1
	v_mov_b32_e32 v0, 1
	s_and_saveexec_b32 s5, s4
	s_cbranch_execz .LBB12_54
; %bb.58:                               ;   in Loop: Header=BB12_57 Depth=1
	global_load_dword v0, v[8:9], off offset:20 glc dlc
	s_waitcnt vmcnt(0)
	buffer_gl1_inv
	buffer_gl0_inv
	v_and_b32_e32 v0, 1, v0
	s_branch .LBB12_54
.LBB12_59:
	global_load_dwordx2 v[4:5], v[10:11], off
	s_and_saveexec_b32 s5, s4
	s_cbranch_execz .LBB12_63
; %bb.60:
	v_mov_b32_e32 v8, 0
	s_clause 0x2
	global_load_dwordx2 v[2:3], v8, s[6:7] offset:40
	global_load_dwordx2 v[9:10], v8, s[6:7] offset:24 glc dlc
	global_load_dwordx2 v[6:7], v8, s[6:7]
	s_waitcnt vmcnt(2)
	v_add_co_u32 v11, vcc_lo, v2, 1
	v_add_co_ci_u32_e32 v12, vcc_lo, 0, v3, vcc_lo
	v_add_co_u32 v0, vcc_lo, v11, s8
	v_add_co_ci_u32_e32 v1, vcc_lo, s9, v12, vcc_lo
	v_cmp_eq_u64_e32 vcc_lo, 0, v[0:1]
	v_cndmask_b32_e32 v1, v1, v12, vcc_lo
	v_cndmask_b32_e32 v0, v0, v11, vcc_lo
	v_and_b32_e32 v3, v1, v3
	v_and_b32_e32 v2, v0, v2
	v_mul_lo_u32 v3, v3, 24
	v_mul_hi_u32 v11, v2, 24
	v_mul_lo_u32 v2, v2, 24
	v_add_nc_u32_e32 v3, v11, v3
	s_waitcnt vmcnt(0)
	v_add_co_u32 v6, vcc_lo, v6, v2
	v_mov_b32_e32 v2, v9
	v_add_co_ci_u32_e32 v7, vcc_lo, v7, v3, vcc_lo
	v_mov_b32_e32 v3, v10
	global_store_dwordx2 v[6:7], v[9:10], off
	s_waitcnt_vscnt null, 0x0
	global_atomic_cmpswap_x2 v[2:3], v8, v[0:3], s[6:7] offset:24 glc
	s_waitcnt vmcnt(0)
	v_cmp_ne_u64_e32 vcc_lo, v[2:3], v[9:10]
	s_and_b32 exec_lo, exec_lo, vcc_lo
	s_cbranch_execz .LBB12_63
; %bb.61:
	s_mov_b32 s4, 0
.LBB12_62:                              ; =>This Inner Loop Header: Depth=1
	s_sleep 1
	global_store_dwordx2 v[6:7], v[2:3], off
	s_waitcnt_vscnt null, 0x0
	global_atomic_cmpswap_x2 v[9:10], v8, v[0:3], s[6:7] offset:24 glc
	s_waitcnt vmcnt(0)
	v_cmp_eq_u64_e32 vcc_lo, v[9:10], v[2:3]
	v_mov_b32_e32 v2, v9
	v_mov_b32_e32 v3, v10
	s_or_b32 s4, vcc_lo, s4
	s_andn2_b32 exec_lo, exec_lo, s4
	s_cbranch_execnz .LBB12_62
.LBB12_63:
	s_or_b32 exec_lo, exec_lo, s5
	s_getpc_b64 s[8:9]
	s_add_u32 s8, s8, .str.5@rel32@lo+4
	s_addc_u32 s9, s9, .str.5@rel32@hi+12
	s_cmp_lg_u64 s[8:9], 0
	s_cselect_b32 s18, -1, 0
	s_and_b32 vcc_lo, exec_lo, s18
	s_cbranch_vccz .LBB12_142
; %bb.64:
	s_waitcnt vmcnt(0)
	v_and_b32_e32 v28, 2, v4
	v_mov_b32_e32 v7, 0
	v_and_b32_e32 v0, -3, v4
	v_mov_b32_e32 v1, v5
	v_mov_b32_e32 v8, 2
	;; [unrolled: 1-line block ×3, first 2 shown]
	s_mov_b64 s[10:11], 3
	s_branch .LBB12_66
.LBB12_65:                              ;   in Loop: Header=BB12_66 Depth=1
	s_or_b32 exec_lo, exec_lo, s5
	s_sub_u32 s10, s10, s12
	s_subb_u32 s11, s11, s13
	s_add_u32 s8, s8, s12
	s_addc_u32 s9, s9, s13
	s_cmp_lg_u64 s[10:11], 0
	s_cbranch_scc0 .LBB12_141
.LBB12_66:                              ; =>This Loop Header: Depth=1
                                        ;     Child Loop BB12_75 Depth 2
                                        ;     Child Loop BB12_71 Depth 2
	;; [unrolled: 1-line block ×11, first 2 shown]
	v_cmp_lt_u64_e64 s4, s[10:11], 56
	v_cmp_gt_u64_e64 s5, s[10:11], 7
                                        ; implicit-def: $vgpr2_vgpr3
                                        ; implicit-def: $sgpr19
	s_and_b32 s4, s4, exec_lo
	s_cselect_b32 s13, s11, 0
	s_cselect_b32 s12, s10, 56
	s_and_b32 vcc_lo, exec_lo, s5
	s_mov_b32 s4, -1
	s_cbranch_vccz .LBB12_73
; %bb.67:                               ;   in Loop: Header=BB12_66 Depth=1
	s_andn2_b32 vcc_lo, exec_lo, s4
	s_mov_b64 s[4:5], s[8:9]
	s_cbranch_vccz .LBB12_77
.LBB12_68:                              ;   in Loop: Header=BB12_66 Depth=1
	s_cmp_gt_u32 s19, 7
	s_cbranch_scc1 .LBB12_78
.LBB12_69:                              ;   in Loop: Header=BB12_66 Depth=1
	v_mov_b32_e32 v10, 0
	v_mov_b32_e32 v11, 0
	s_cmp_eq_u32 s19, 0
	s_cbranch_scc1 .LBB12_72
; %bb.70:                               ;   in Loop: Header=BB12_66 Depth=1
	s_mov_b64 s[14:15], 0
	s_mov_b64 s[16:17], 0
.LBB12_71:                              ;   Parent Loop BB12_66 Depth=1
                                        ; =>  This Inner Loop Header: Depth=2
	s_add_u32 s20, s4, s16
	s_addc_u32 s21, s5, s17
	s_add_u32 s16, s16, 1
	global_load_ubyte v6, v7, s[20:21]
	s_addc_u32 s17, s17, 0
	s_waitcnt vmcnt(0)
	v_and_b32_e32 v6, 0xffff, v6
	v_lshlrev_b64 v[12:13], s14, v[6:7]
	s_add_u32 s14, s14, 8
	s_addc_u32 s15, s15, 0
	s_cmp_lg_u32 s19, s16
	v_or_b32_e32 v10, v12, v10
	v_or_b32_e32 v11, v13, v11
	s_cbranch_scc1 .LBB12_71
.LBB12_72:                              ;   in Loop: Header=BB12_66 Depth=1
	s_mov_b32 s20, 0
	s_cbranch_execz .LBB12_79
	s_branch .LBB12_80
.LBB12_73:                              ;   in Loop: Header=BB12_66 Depth=1
	s_waitcnt vmcnt(0)
	v_mov_b32_e32 v2, 0
	v_mov_b32_e32 v3, 0
	s_cmp_eq_u64 s[10:11], 0
	s_mov_b64 s[4:5], 0
	s_cbranch_scc1 .LBB12_76
; %bb.74:                               ;   in Loop: Header=BB12_66 Depth=1
	v_mov_b32_e32 v2, 0
	v_mov_b32_e32 v3, 0
	s_lshl_b64 s[14:15], s[12:13], 3
	s_mov_b64 s[16:17], s[8:9]
.LBB12_75:                              ;   Parent Loop BB12_66 Depth=1
                                        ; =>  This Inner Loop Header: Depth=2
	global_load_ubyte v6, v7, s[16:17]
	s_waitcnt vmcnt(0)
	v_and_b32_e32 v6, 0xffff, v6
	v_lshlrev_b64 v[10:11], s4, v[6:7]
	s_add_u32 s4, s4, 8
	s_addc_u32 s5, s5, 0
	s_add_u32 s16, s16, 1
	s_addc_u32 s17, s17, 0
	s_cmp_lg_u32 s14, s4
	v_or_b32_e32 v2, v10, v2
	v_or_b32_e32 v3, v11, v3
	s_cbranch_scc1 .LBB12_75
.LBB12_76:                              ;   in Loop: Header=BB12_66 Depth=1
	s_mov_b32 s19, 0
	s_mov_b64 s[4:5], s[8:9]
	s_cbranch_execnz .LBB12_68
.LBB12_77:                              ;   in Loop: Header=BB12_66 Depth=1
	global_load_dwordx2 v[2:3], v7, s[8:9]
	s_add_i32 s19, s12, -8
	s_add_u32 s4, s8, 8
	s_addc_u32 s5, s9, 0
	s_cmp_gt_u32 s19, 7
	s_cbranch_scc0 .LBB12_69
.LBB12_78:                              ;   in Loop: Header=BB12_66 Depth=1
                                        ; implicit-def: $vgpr10_vgpr11
                                        ; implicit-def: $sgpr20
.LBB12_79:                              ;   in Loop: Header=BB12_66 Depth=1
	global_load_dwordx2 v[10:11], v7, s[4:5]
	s_add_i32 s20, s19, -8
	s_add_u32 s4, s4, 8
	s_addc_u32 s5, s5, 0
.LBB12_80:                              ;   in Loop: Header=BB12_66 Depth=1
	s_cmp_gt_u32 s20, 7
	s_cbranch_scc1 .LBB12_85
; %bb.81:                               ;   in Loop: Header=BB12_66 Depth=1
	v_mov_b32_e32 v12, 0
	v_mov_b32_e32 v13, 0
	s_cmp_eq_u32 s20, 0
	s_cbranch_scc1 .LBB12_84
; %bb.82:                               ;   in Loop: Header=BB12_66 Depth=1
	s_mov_b64 s[14:15], 0
	s_mov_b64 s[16:17], 0
.LBB12_83:                              ;   Parent Loop BB12_66 Depth=1
                                        ; =>  This Inner Loop Header: Depth=2
	s_add_u32 s22, s4, s16
	s_addc_u32 s23, s5, s17
	s_add_u32 s16, s16, 1
	global_load_ubyte v6, v7, s[22:23]
	s_addc_u32 s17, s17, 0
	s_waitcnt vmcnt(0)
	v_and_b32_e32 v6, 0xffff, v6
	v_lshlrev_b64 v[14:15], s14, v[6:7]
	s_add_u32 s14, s14, 8
	s_addc_u32 s15, s15, 0
	s_cmp_lg_u32 s20, s16
	v_or_b32_e32 v12, v14, v12
	v_or_b32_e32 v13, v15, v13
	s_cbranch_scc1 .LBB12_83
.LBB12_84:                              ;   in Loop: Header=BB12_66 Depth=1
	s_mov_b32 s19, 0
	s_cbranch_execz .LBB12_86
	s_branch .LBB12_87
.LBB12_85:                              ;   in Loop: Header=BB12_66 Depth=1
                                        ; implicit-def: $sgpr19
.LBB12_86:                              ;   in Loop: Header=BB12_66 Depth=1
	global_load_dwordx2 v[12:13], v7, s[4:5]
	s_add_i32 s19, s20, -8
	s_add_u32 s4, s4, 8
	s_addc_u32 s5, s5, 0
.LBB12_87:                              ;   in Loop: Header=BB12_66 Depth=1
	s_cmp_gt_u32 s19, 7
	s_cbranch_scc1 .LBB12_92
; %bb.88:                               ;   in Loop: Header=BB12_66 Depth=1
	v_mov_b32_e32 v14, 0
	v_mov_b32_e32 v15, 0
	s_cmp_eq_u32 s19, 0
	s_cbranch_scc1 .LBB12_91
; %bb.89:                               ;   in Loop: Header=BB12_66 Depth=1
	s_mov_b64 s[14:15], 0
	s_mov_b64 s[16:17], 0
.LBB12_90:                              ;   Parent Loop BB12_66 Depth=1
                                        ; =>  This Inner Loop Header: Depth=2
	s_add_u32 s20, s4, s16
	s_addc_u32 s21, s5, s17
	s_add_u32 s16, s16, 1
	global_load_ubyte v6, v7, s[20:21]
	s_addc_u32 s17, s17, 0
	s_waitcnt vmcnt(0)
	v_and_b32_e32 v6, 0xffff, v6
	v_lshlrev_b64 v[16:17], s14, v[6:7]
	s_add_u32 s14, s14, 8
	s_addc_u32 s15, s15, 0
	s_cmp_lg_u32 s19, s16
	v_or_b32_e32 v14, v16, v14
	v_or_b32_e32 v15, v17, v15
	s_cbranch_scc1 .LBB12_90
.LBB12_91:                              ;   in Loop: Header=BB12_66 Depth=1
	s_mov_b32 s20, 0
	s_cbranch_execz .LBB12_93
	s_branch .LBB12_94
.LBB12_92:                              ;   in Loop: Header=BB12_66 Depth=1
                                        ; implicit-def: $vgpr14_vgpr15
                                        ; implicit-def: $sgpr20
.LBB12_93:                              ;   in Loop: Header=BB12_66 Depth=1
	global_load_dwordx2 v[14:15], v7, s[4:5]
	s_add_i32 s20, s19, -8
	s_add_u32 s4, s4, 8
	s_addc_u32 s5, s5, 0
.LBB12_94:                              ;   in Loop: Header=BB12_66 Depth=1
	s_cmp_gt_u32 s20, 7
	s_cbranch_scc1 .LBB12_99
; %bb.95:                               ;   in Loop: Header=BB12_66 Depth=1
	v_mov_b32_e32 v16, 0
	v_mov_b32_e32 v17, 0
	s_cmp_eq_u32 s20, 0
	s_cbranch_scc1 .LBB12_98
; %bb.96:                               ;   in Loop: Header=BB12_66 Depth=1
	s_mov_b64 s[14:15], 0
	s_mov_b64 s[16:17], 0
.LBB12_97:                              ;   Parent Loop BB12_66 Depth=1
                                        ; =>  This Inner Loop Header: Depth=2
	s_add_u32 s22, s4, s16
	s_addc_u32 s23, s5, s17
	s_add_u32 s16, s16, 1
	global_load_ubyte v6, v7, s[22:23]
	s_addc_u32 s17, s17, 0
	s_waitcnt vmcnt(0)
	v_and_b32_e32 v6, 0xffff, v6
	v_lshlrev_b64 v[18:19], s14, v[6:7]
	s_add_u32 s14, s14, 8
	s_addc_u32 s15, s15, 0
	s_cmp_lg_u32 s20, s16
	v_or_b32_e32 v16, v18, v16
	v_or_b32_e32 v17, v19, v17
	s_cbranch_scc1 .LBB12_97
.LBB12_98:                              ;   in Loop: Header=BB12_66 Depth=1
	s_mov_b32 s19, 0
	s_cbranch_execz .LBB12_100
	s_branch .LBB12_101
.LBB12_99:                              ;   in Loop: Header=BB12_66 Depth=1
                                        ; implicit-def: $sgpr19
.LBB12_100:                             ;   in Loop: Header=BB12_66 Depth=1
	global_load_dwordx2 v[16:17], v7, s[4:5]
	s_add_i32 s19, s20, -8
	s_add_u32 s4, s4, 8
	s_addc_u32 s5, s5, 0
.LBB12_101:                             ;   in Loop: Header=BB12_66 Depth=1
	s_cmp_gt_u32 s19, 7
	s_cbranch_scc1 .LBB12_106
; %bb.102:                              ;   in Loop: Header=BB12_66 Depth=1
	v_mov_b32_e32 v18, 0
	v_mov_b32_e32 v19, 0
	s_cmp_eq_u32 s19, 0
	s_cbranch_scc1 .LBB12_105
; %bb.103:                              ;   in Loop: Header=BB12_66 Depth=1
	s_mov_b64 s[14:15], 0
	s_mov_b64 s[16:17], 0
.LBB12_104:                             ;   Parent Loop BB12_66 Depth=1
                                        ; =>  This Inner Loop Header: Depth=2
	s_add_u32 s20, s4, s16
	s_addc_u32 s21, s5, s17
	s_add_u32 s16, s16, 1
	global_load_ubyte v6, v7, s[20:21]
	s_addc_u32 s17, s17, 0
	s_waitcnt vmcnt(0)
	v_and_b32_e32 v6, 0xffff, v6
	v_lshlrev_b64 v[20:21], s14, v[6:7]
	s_add_u32 s14, s14, 8
	s_addc_u32 s15, s15, 0
	s_cmp_lg_u32 s19, s16
	v_or_b32_e32 v18, v20, v18
	v_or_b32_e32 v19, v21, v19
	s_cbranch_scc1 .LBB12_104
.LBB12_105:                             ;   in Loop: Header=BB12_66 Depth=1
	s_mov_b32 s20, 0
	s_cbranch_execz .LBB12_107
	s_branch .LBB12_108
.LBB12_106:                             ;   in Loop: Header=BB12_66 Depth=1
                                        ; implicit-def: $vgpr18_vgpr19
                                        ; implicit-def: $sgpr20
.LBB12_107:                             ;   in Loop: Header=BB12_66 Depth=1
	global_load_dwordx2 v[18:19], v7, s[4:5]
	s_add_i32 s20, s19, -8
	s_add_u32 s4, s4, 8
	s_addc_u32 s5, s5, 0
.LBB12_108:                             ;   in Loop: Header=BB12_66 Depth=1
	s_cmp_gt_u32 s20, 7
	s_cbranch_scc1 .LBB12_113
; %bb.109:                              ;   in Loop: Header=BB12_66 Depth=1
	v_mov_b32_e32 v20, 0
	v_mov_b32_e32 v21, 0
	s_cmp_eq_u32 s20, 0
	s_cbranch_scc1 .LBB12_112
; %bb.110:                              ;   in Loop: Header=BB12_66 Depth=1
	s_mov_b64 s[14:15], 0
	s_mov_b64 s[16:17], s[4:5]
.LBB12_111:                             ;   Parent Loop BB12_66 Depth=1
                                        ; =>  This Inner Loop Header: Depth=2
	global_load_ubyte v6, v7, s[16:17]
	s_add_i32 s20, s20, -1
	s_waitcnt vmcnt(0)
	v_and_b32_e32 v6, 0xffff, v6
	v_lshlrev_b64 v[22:23], s14, v[6:7]
	s_add_u32 s14, s14, 8
	s_addc_u32 s15, s15, 0
	s_add_u32 s16, s16, 1
	s_addc_u32 s17, s17, 0
	s_cmp_lg_u32 s20, 0
	v_or_b32_e32 v20, v22, v20
	v_or_b32_e32 v21, v23, v21
	s_cbranch_scc1 .LBB12_111
.LBB12_112:                             ;   in Loop: Header=BB12_66 Depth=1
	s_cbranch_execz .LBB12_114
	s_branch .LBB12_115
.LBB12_113:                             ;   in Loop: Header=BB12_66 Depth=1
.LBB12_114:                             ;   in Loop: Header=BB12_66 Depth=1
	global_load_dwordx2 v[20:21], v7, s[4:5]
.LBB12_115:                             ;   in Loop: Header=BB12_66 Depth=1
	v_readfirstlane_b32 s4, v32
	v_mov_b32_e32 v26, 0
	v_mov_b32_e32 v27, 0
	v_cmp_eq_u32_e64 s4, s4, v32
	s_and_saveexec_b32 s5, s4
	s_cbranch_execz .LBB12_121
; %bb.116:                              ;   in Loop: Header=BB12_66 Depth=1
	global_load_dwordx2 v[24:25], v7, s[6:7] offset:24 glc dlc
	s_waitcnt vmcnt(0)
	buffer_gl1_inv
	buffer_gl0_inv
	s_clause 0x1
	global_load_dwordx2 v[22:23], v7, s[6:7] offset:40
	global_load_dwordx2 v[26:27], v7, s[6:7]
	s_mov_b32 s14, exec_lo
	s_waitcnt vmcnt(1)
	v_and_b32_e32 v6, v23, v25
	v_and_b32_e32 v22, v22, v24
	v_mul_lo_u32 v6, v6, 24
	v_mul_hi_u32 v23, v22, 24
	v_mul_lo_u32 v22, v22, 24
	v_add_nc_u32_e32 v6, v23, v6
	s_waitcnt vmcnt(0)
	v_add_co_u32 v22, vcc_lo, v26, v22
	v_add_co_ci_u32_e32 v23, vcc_lo, v27, v6, vcc_lo
	global_load_dwordx2 v[22:23], v[22:23], off glc dlc
	s_waitcnt vmcnt(0)
	global_atomic_cmpswap_x2 v[26:27], v7, v[22:25], s[6:7] offset:24 glc
	s_waitcnt vmcnt(0)
	buffer_gl1_inv
	buffer_gl0_inv
	v_cmpx_ne_u64_e64 v[26:27], v[24:25]
	s_cbranch_execz .LBB12_120
; %bb.117:                              ;   in Loop: Header=BB12_66 Depth=1
	s_mov_b32 s15, 0
	.p2align	6
.LBB12_118:                             ;   Parent Loop BB12_66 Depth=1
                                        ; =>  This Inner Loop Header: Depth=2
	s_sleep 1
	s_clause 0x1
	global_load_dwordx2 v[22:23], v7, s[6:7] offset:40
	global_load_dwordx2 v[29:30], v7, s[6:7]
	v_mov_b32_e32 v24, v26
	v_mov_b32_e32 v25, v27
	s_waitcnt vmcnt(1)
	v_and_b32_e32 v6, v22, v24
	v_and_b32_e32 v22, v23, v25
	s_waitcnt vmcnt(0)
	v_mad_u64_u32 v[26:27], null, v6, 24, v[29:30]
	v_mov_b32_e32 v6, v27
	v_mad_u64_u32 v[22:23], null, v22, 24, v[6:7]
	v_mov_b32_e32 v27, v22
	global_load_dwordx2 v[22:23], v[26:27], off glc dlc
	s_waitcnt vmcnt(0)
	global_atomic_cmpswap_x2 v[26:27], v7, v[22:25], s[6:7] offset:24 glc
	s_waitcnt vmcnt(0)
	buffer_gl1_inv
	buffer_gl0_inv
	v_cmp_eq_u64_e32 vcc_lo, v[26:27], v[24:25]
	s_or_b32 s15, vcc_lo, s15
	s_andn2_b32 exec_lo, exec_lo, s15
	s_cbranch_execnz .LBB12_118
; %bb.119:                              ;   in Loop: Header=BB12_66 Depth=1
	s_or_b32 exec_lo, exec_lo, s15
.LBB12_120:                             ;   in Loop: Header=BB12_66 Depth=1
	s_or_b32 exec_lo, exec_lo, s14
.LBB12_121:                             ;   in Loop: Header=BB12_66 Depth=1
	s_or_b32 exec_lo, exec_lo, s5
	s_clause 0x1
	global_load_dwordx2 v[29:30], v7, s[6:7] offset:40
	global_load_dwordx4 v[22:25], v7, s[6:7]
	v_readfirstlane_b32 s14, v26
	v_readfirstlane_b32 s15, v27
	s_mov_b32 s5, exec_lo
	s_waitcnt vmcnt(1)
	v_readfirstlane_b32 s16, v29
	v_readfirstlane_b32 s17, v30
	s_and_b64 s[16:17], s[14:15], s[16:17]
	s_mul_i32 s19, s17, 24
	s_mul_hi_u32 s20, s16, 24
	s_mul_i32 s21, s16, 24
	s_add_i32 s20, s20, s19
	s_waitcnt vmcnt(0)
	v_add_co_u32 v26, vcc_lo, v22, s21
	v_add_co_ci_u32_e32 v27, vcc_lo, s20, v23, vcc_lo
	s_and_saveexec_b32 s19, s4
	s_cbranch_execz .LBB12_123
; %bb.122:                              ;   in Loop: Header=BB12_66 Depth=1
	v_mov_b32_e32 v6, s5
	global_store_dwordx4 v[26:27], v[6:9], off offset:8
.LBB12_123:                             ;   in Loop: Header=BB12_66 Depth=1
	s_or_b32 exec_lo, exec_lo, s19
	s_lshl_b64 s[16:17], s[16:17], 12
	v_cmp_gt_u64_e64 vcc_lo, s[10:11], 56
	v_or_b32_e32 v29, v0, v28
	v_add_co_u32 v24, s5, v24, s16
	v_add_co_ci_u32_e64 v25, s5, s17, v25, s5
	s_lshl_b32 s5, s12, 2
	v_or_b32_e32 v6, 0, v1
	v_cndmask_b32_e32 v0, v29, v0, vcc_lo
	s_add_i32 s5, s5, 28
	v_readfirstlane_b32 s16, v24
	s_and_b32 s5, s5, 0x1e0
	v_cndmask_b32_e32 v1, v6, v1, vcc_lo
	v_readfirstlane_b32 s17, v25
	v_and_or_b32 v0, 0xffffff1f, v0, s5
	global_store_dwordx4 v31, v[0:3], s[16:17]
	global_store_dwordx4 v31, v[10:13], s[16:17] offset:16
	global_store_dwordx4 v31, v[14:17], s[16:17] offset:32
	;; [unrolled: 1-line block ×3, first 2 shown]
	s_and_saveexec_b32 s5, s4
	s_cbranch_execz .LBB12_131
; %bb.124:                              ;   in Loop: Header=BB12_66 Depth=1
	s_clause 0x1
	global_load_dwordx2 v[14:15], v7, s[6:7] offset:32 glc dlc
	global_load_dwordx2 v[0:1], v7, s[6:7] offset:40
	v_mov_b32_e32 v12, s14
	v_mov_b32_e32 v13, s15
	s_waitcnt vmcnt(0)
	v_readfirstlane_b32 s16, v0
	v_readfirstlane_b32 s17, v1
	s_and_b64 s[16:17], s[16:17], s[14:15]
	s_mul_i32 s17, s17, 24
	s_mul_hi_u32 s19, s16, 24
	s_mul_i32 s16, s16, 24
	s_add_i32 s19, s19, s17
	v_add_co_u32 v10, vcc_lo, v22, s16
	v_add_co_ci_u32_e32 v11, vcc_lo, s19, v23, vcc_lo
	s_mov_b32 s16, exec_lo
	global_store_dwordx2 v[10:11], v[14:15], off
	s_waitcnt_vscnt null, 0x0
	global_atomic_cmpswap_x2 v[2:3], v7, v[12:15], s[6:7] offset:32 glc
	s_waitcnt vmcnt(0)
	v_cmpx_ne_u64_e64 v[2:3], v[14:15]
	s_cbranch_execz .LBB12_127
; %bb.125:                              ;   in Loop: Header=BB12_66 Depth=1
	s_mov_b32 s17, 0
.LBB12_126:                             ;   Parent Loop BB12_66 Depth=1
                                        ; =>  This Inner Loop Header: Depth=2
	v_mov_b32_e32 v0, s14
	v_mov_b32_e32 v1, s15
	s_sleep 1
	global_store_dwordx2 v[10:11], v[2:3], off
	s_waitcnt_vscnt null, 0x0
	global_atomic_cmpswap_x2 v[0:1], v7, v[0:3], s[6:7] offset:32 glc
	s_waitcnt vmcnt(0)
	v_cmp_eq_u64_e32 vcc_lo, v[0:1], v[2:3]
	v_mov_b32_e32 v3, v1
	v_mov_b32_e32 v2, v0
	s_or_b32 s17, vcc_lo, s17
	s_andn2_b32 exec_lo, exec_lo, s17
	s_cbranch_execnz .LBB12_126
.LBB12_127:                             ;   in Loop: Header=BB12_66 Depth=1
	s_or_b32 exec_lo, exec_lo, s16
	global_load_dwordx2 v[0:1], v7, s[6:7] offset:16
	s_mov_b32 s17, exec_lo
	s_mov_b32 s16, exec_lo
	v_mbcnt_lo_u32_b32 v2, s17, 0
	v_cmpx_eq_u32_e32 0, v2
	s_cbranch_execz .LBB12_129
; %bb.128:                              ;   in Loop: Header=BB12_66 Depth=1
	s_bcnt1_i32_b32 s17, s17
	v_mov_b32_e32 v6, s17
	s_waitcnt vmcnt(0)
	global_atomic_add_x2 v[0:1], v[6:7], off offset:8
.LBB12_129:                             ;   in Loop: Header=BB12_66 Depth=1
	s_or_b32 exec_lo, exec_lo, s16
	s_waitcnt vmcnt(0)
	global_load_dwordx2 v[2:3], v[0:1], off offset:16
	s_waitcnt vmcnt(0)
	v_cmp_eq_u64_e32 vcc_lo, 0, v[2:3]
	s_cbranch_vccnz .LBB12_131
; %bb.130:                              ;   in Loop: Header=BB12_66 Depth=1
	global_load_dword v6, v[0:1], off offset:24
	s_waitcnt vmcnt(0)
	v_and_b32_e32 v0, 0x7fffff, v6
	s_waitcnt_vscnt null, 0x0
	global_store_dwordx2 v[2:3], v[6:7], off
	v_readfirstlane_b32 m0, v0
	s_sendmsg sendmsg(MSG_INTERRUPT)
.LBB12_131:                             ;   in Loop: Header=BB12_66 Depth=1
	s_or_b32 exec_lo, exec_lo, s5
	v_add_co_u32 v0, vcc_lo, v24, v31
	v_add_co_ci_u32_e32 v1, vcc_lo, 0, v25, vcc_lo
	s_branch .LBB12_135
	.p2align	6
.LBB12_132:                             ;   in Loop: Header=BB12_135 Depth=2
	s_or_b32 exec_lo, exec_lo, s5
	v_readfirstlane_b32 s5, v2
	s_cmp_eq_u32 s5, 0
	s_cbranch_scc1 .LBB12_134
; %bb.133:                              ;   in Loop: Header=BB12_135 Depth=2
	s_sleep 1
	s_cbranch_execnz .LBB12_135
	s_branch .LBB12_137
	.p2align	6
.LBB12_134:                             ;   in Loop: Header=BB12_66 Depth=1
	s_branch .LBB12_137
.LBB12_135:                             ;   Parent Loop BB12_66 Depth=1
                                        ; =>  This Inner Loop Header: Depth=2
	v_mov_b32_e32 v2, 1
	s_and_saveexec_b32 s5, s4
	s_cbranch_execz .LBB12_132
; %bb.136:                              ;   in Loop: Header=BB12_135 Depth=2
	global_load_dword v2, v[26:27], off offset:20 glc dlc
	s_waitcnt vmcnt(0)
	buffer_gl1_inv
	buffer_gl0_inv
	v_and_b32_e32 v2, 1, v2
	s_branch .LBB12_132
.LBB12_137:                             ;   in Loop: Header=BB12_66 Depth=1
	global_load_dwordx4 v[0:3], v[0:1], off
	s_and_saveexec_b32 s5, s4
	s_cbranch_execz .LBB12_65
; %bb.138:                              ;   in Loop: Header=BB12_66 Depth=1
	s_clause 0x2
	global_load_dwordx2 v[2:3], v7, s[6:7] offset:40
	global_load_dwordx2 v[14:15], v7, s[6:7] offset:24 glc dlc
	global_load_dwordx2 v[12:13], v7, s[6:7]
	s_waitcnt vmcnt(2)
	v_add_co_u32 v6, vcc_lo, v2, 1
	v_add_co_ci_u32_e32 v16, vcc_lo, 0, v3, vcc_lo
	v_add_co_u32 v10, vcc_lo, v6, s14
	v_add_co_ci_u32_e32 v11, vcc_lo, s15, v16, vcc_lo
	v_cmp_eq_u64_e32 vcc_lo, 0, v[10:11]
	v_cndmask_b32_e32 v11, v11, v16, vcc_lo
	v_cndmask_b32_e32 v10, v10, v6, vcc_lo
	v_and_b32_e32 v3, v11, v3
	v_and_b32_e32 v2, v10, v2
	v_mul_lo_u32 v3, v3, 24
	v_mul_hi_u32 v6, v2, 24
	v_mul_lo_u32 v2, v2, 24
	v_add_nc_u32_e32 v3, v6, v3
	s_waitcnt vmcnt(0)
	v_add_co_u32 v2, vcc_lo, v12, v2
	v_mov_b32_e32 v12, v14
	v_add_co_ci_u32_e32 v3, vcc_lo, v13, v3, vcc_lo
	v_mov_b32_e32 v13, v15
	global_store_dwordx2 v[2:3], v[14:15], off
	s_waitcnt_vscnt null, 0x0
	global_atomic_cmpswap_x2 v[12:13], v7, v[10:13], s[6:7] offset:24 glc
	s_waitcnt vmcnt(0)
	v_cmp_ne_u64_e32 vcc_lo, v[12:13], v[14:15]
	s_and_b32 exec_lo, exec_lo, vcc_lo
	s_cbranch_execz .LBB12_65
; %bb.139:                              ;   in Loop: Header=BB12_66 Depth=1
	s_mov_b32 s4, 0
.LBB12_140:                             ;   Parent Loop BB12_66 Depth=1
                                        ; =>  This Inner Loop Header: Depth=2
	s_sleep 1
	global_store_dwordx2 v[2:3], v[12:13], off
	s_waitcnt_vscnt null, 0x0
	global_atomic_cmpswap_x2 v[14:15], v7, v[10:13], s[6:7] offset:24 glc
	s_waitcnt vmcnt(0)
	v_cmp_eq_u64_e32 vcc_lo, v[14:15], v[12:13]
	v_mov_b32_e32 v12, v14
	v_mov_b32_e32 v13, v15
	s_or_b32 s4, vcc_lo, s4
	s_andn2_b32 exec_lo, exec_lo, s4
	s_cbranch_execnz .LBB12_140
	s_branch .LBB12_65
.LBB12_141:
	s_mov_b32 s4, 0
	s_branch .LBB12_143
.LBB12_142:
	s_mov_b32 s4, -1
                                        ; implicit-def: $vgpr0_vgpr1
.LBB12_143:
	s_and_b32 vcc_lo, exec_lo, s4
	s_cbranch_vccz .LBB12_171
; %bb.144:
	v_readfirstlane_b32 s4, v32
	v_mov_b32_e32 v7, 0
	v_mov_b32_e32 v8, 0
	v_cmp_eq_u32_e64 s4, s4, v32
	s_and_saveexec_b32 s5, s4
	s_cbranch_execz .LBB12_150
; %bb.145:
	s_waitcnt vmcnt(0)
	v_mov_b32_e32 v0, 0
	s_mov_b32 s8, exec_lo
	global_load_dwordx2 v[9:10], v0, s[6:7] offset:24 glc dlc
	s_waitcnt vmcnt(0)
	buffer_gl1_inv
	buffer_gl0_inv
	s_clause 0x1
	global_load_dwordx2 v[1:2], v0, s[6:7] offset:40
	global_load_dwordx2 v[6:7], v0, s[6:7]
	s_waitcnt vmcnt(1)
	v_and_b32_e32 v2, v2, v10
	v_and_b32_e32 v1, v1, v9
	v_mul_lo_u32 v2, v2, 24
	v_mul_hi_u32 v3, v1, 24
	v_mul_lo_u32 v1, v1, 24
	v_add_nc_u32_e32 v2, v3, v2
	s_waitcnt vmcnt(0)
	v_add_co_u32 v1, vcc_lo, v6, v1
	v_add_co_ci_u32_e32 v2, vcc_lo, v7, v2, vcc_lo
	global_load_dwordx2 v[7:8], v[1:2], off glc dlc
	s_waitcnt vmcnt(0)
	global_atomic_cmpswap_x2 v[7:8], v0, v[7:10], s[6:7] offset:24 glc
	s_waitcnt vmcnt(0)
	buffer_gl1_inv
	buffer_gl0_inv
	v_cmpx_ne_u64_e64 v[7:8], v[9:10]
	s_cbranch_execz .LBB12_149
; %bb.146:
	s_mov_b32 s9, 0
.LBB12_147:                             ; =>This Inner Loop Header: Depth=1
	s_sleep 1
	s_clause 0x1
	global_load_dwordx2 v[1:2], v0, s[6:7] offset:40
	global_load_dwordx2 v[11:12], v0, s[6:7]
	v_mov_b32_e32 v10, v8
	v_mov_b32_e32 v9, v7
	s_waitcnt vmcnt(1)
	v_and_b32_e32 v1, v1, v9
	v_and_b32_e32 v2, v2, v10
	s_waitcnt vmcnt(0)
	v_mad_u64_u32 v[6:7], null, v1, 24, v[11:12]
	v_mov_b32_e32 v1, v7
	v_mad_u64_u32 v[1:2], null, v2, 24, v[1:2]
	v_mov_b32_e32 v7, v1
	global_load_dwordx2 v[7:8], v[6:7], off glc dlc
	s_waitcnt vmcnt(0)
	global_atomic_cmpswap_x2 v[7:8], v0, v[7:10], s[6:7] offset:24 glc
	s_waitcnt vmcnt(0)
	buffer_gl1_inv
	buffer_gl0_inv
	v_cmp_eq_u64_e32 vcc_lo, v[7:8], v[9:10]
	s_or_b32 s9, vcc_lo, s9
	s_andn2_b32 exec_lo, exec_lo, s9
	s_cbranch_execnz .LBB12_147
; %bb.148:
	s_or_b32 exec_lo, exec_lo, s9
.LBB12_149:
	s_or_b32 exec_lo, exec_lo, s8
.LBB12_150:
	s_or_b32 exec_lo, exec_lo, s5
	v_mov_b32_e32 v6, 0
	v_readfirstlane_b32 s8, v7
	v_readfirstlane_b32 s9, v8
	s_mov_b32 s5, exec_lo
	s_clause 0x1
	global_load_dwordx2 v[9:10], v6, s[6:7] offset:40
	global_load_dwordx4 v[0:3], v6, s[6:7]
	s_waitcnt vmcnt(1)
	v_readfirstlane_b32 s10, v9
	v_readfirstlane_b32 s11, v10
	s_and_b64 s[10:11], s[8:9], s[10:11]
	s_mul_i32 s12, s11, 24
	s_mul_hi_u32 s13, s10, 24
	s_mul_i32 s14, s10, 24
	s_add_i32 s13, s13, s12
	s_waitcnt vmcnt(0)
	v_add_co_u32 v8, vcc_lo, v0, s14
	v_add_co_ci_u32_e32 v9, vcc_lo, s13, v1, vcc_lo
	s_and_saveexec_b32 s12, s4
	s_cbranch_execz .LBB12_152
; %bb.151:
	v_mov_b32_e32 v10, s5
	v_mov_b32_e32 v11, v6
	;; [unrolled: 1-line block ×4, first 2 shown]
	global_store_dwordx4 v[8:9], v[10:13], off offset:8
.LBB12_152:
	s_or_b32 exec_lo, exec_lo, s12
	s_lshl_b64 s[10:11], s[10:11], 12
	s_mov_b32 s12, 0
	v_add_co_u32 v2, vcc_lo, v2, s10
	v_add_co_ci_u32_e32 v3, vcc_lo, s11, v3, vcc_lo
	s_mov_b32 s13, s12
	v_add_co_u32 v10, vcc_lo, v2, v31
	s_mov_b32 s14, s12
	s_mov_b32 s15, s12
	v_and_or_b32 v4, 0xffffff1f, v4, 32
	v_mov_b32_e32 v7, v6
	v_readfirstlane_b32 s10, v2
	v_readfirstlane_b32 s11, v3
	v_mov_b32_e32 v12, s12
	v_add_co_ci_u32_e32 v11, vcc_lo, 0, v3, vcc_lo
	v_mov_b32_e32 v13, s13
	v_mov_b32_e32 v14, s14
	;; [unrolled: 1-line block ×3, first 2 shown]
	global_store_dwordx4 v31, v[4:7], s[10:11]
	global_store_dwordx4 v31, v[12:15], s[10:11] offset:16
	global_store_dwordx4 v31, v[12:15], s[10:11] offset:32
	;; [unrolled: 1-line block ×3, first 2 shown]
	s_and_saveexec_b32 s5, s4
	s_cbranch_execz .LBB12_160
; %bb.153:
	v_mov_b32_e32 v6, 0
	v_mov_b32_e32 v12, s8
	;; [unrolled: 1-line block ×3, first 2 shown]
	s_clause 0x1
	global_load_dwordx2 v[14:15], v6, s[6:7] offset:32 glc dlc
	global_load_dwordx2 v[2:3], v6, s[6:7] offset:40
	s_waitcnt vmcnt(0)
	v_readfirstlane_b32 s10, v2
	v_readfirstlane_b32 s11, v3
	s_and_b64 s[10:11], s[10:11], s[8:9]
	s_mul_i32 s11, s11, 24
	s_mul_hi_u32 s12, s10, 24
	s_mul_i32 s10, s10, 24
	s_add_i32 s12, s12, s11
	v_add_co_u32 v4, vcc_lo, v0, s10
	v_add_co_ci_u32_e32 v5, vcc_lo, s12, v1, vcc_lo
	s_mov_b32 s10, exec_lo
	global_store_dwordx2 v[4:5], v[14:15], off
	s_waitcnt_vscnt null, 0x0
	global_atomic_cmpswap_x2 v[2:3], v6, v[12:15], s[6:7] offset:32 glc
	s_waitcnt vmcnt(0)
	v_cmpx_ne_u64_e64 v[2:3], v[14:15]
	s_cbranch_execz .LBB12_156
; %bb.154:
	s_mov_b32 s11, 0
.LBB12_155:                             ; =>This Inner Loop Header: Depth=1
	v_mov_b32_e32 v0, s8
	v_mov_b32_e32 v1, s9
	s_sleep 1
	global_store_dwordx2 v[4:5], v[2:3], off
	s_waitcnt_vscnt null, 0x0
	global_atomic_cmpswap_x2 v[0:1], v6, v[0:3], s[6:7] offset:32 glc
	s_waitcnt vmcnt(0)
	v_cmp_eq_u64_e32 vcc_lo, v[0:1], v[2:3]
	v_mov_b32_e32 v3, v1
	v_mov_b32_e32 v2, v0
	s_or_b32 s11, vcc_lo, s11
	s_andn2_b32 exec_lo, exec_lo, s11
	s_cbranch_execnz .LBB12_155
.LBB12_156:
	s_or_b32 exec_lo, exec_lo, s10
	v_mov_b32_e32 v3, 0
	s_mov_b32 s11, exec_lo
	s_mov_b32 s10, exec_lo
	v_mbcnt_lo_u32_b32 v2, s11, 0
	global_load_dwordx2 v[0:1], v3, s[6:7] offset:16
	v_cmpx_eq_u32_e32 0, v2
	s_cbranch_execz .LBB12_158
; %bb.157:
	s_bcnt1_i32_b32 s11, s11
	v_mov_b32_e32 v2, s11
	s_waitcnt vmcnt(0)
	global_atomic_add_x2 v[0:1], v[2:3], off offset:8
.LBB12_158:
	s_or_b32 exec_lo, exec_lo, s10
	s_waitcnt vmcnt(0)
	global_load_dwordx2 v[2:3], v[0:1], off offset:16
	s_waitcnt vmcnt(0)
	v_cmp_eq_u64_e32 vcc_lo, 0, v[2:3]
	s_cbranch_vccnz .LBB12_160
; %bb.159:
	global_load_dword v0, v[0:1], off offset:24
	v_mov_b32_e32 v1, 0
	s_waitcnt vmcnt(0)
	v_and_b32_e32 v4, 0x7fffff, v0
	s_waitcnt_vscnt null, 0x0
	global_store_dwordx2 v[2:3], v[0:1], off
	v_readfirstlane_b32 m0, v4
	s_sendmsg sendmsg(MSG_INTERRUPT)
.LBB12_160:
	s_or_b32 exec_lo, exec_lo, s5
	s_branch .LBB12_164
	.p2align	6
.LBB12_161:                             ;   in Loop: Header=BB12_164 Depth=1
	s_or_b32 exec_lo, exec_lo, s5
	v_readfirstlane_b32 s5, v0
	s_cmp_eq_u32 s5, 0
	s_cbranch_scc1 .LBB12_163
; %bb.162:                              ;   in Loop: Header=BB12_164 Depth=1
	s_sleep 1
	s_cbranch_execnz .LBB12_164
	s_branch .LBB12_166
.LBB12_163:
	s_branch .LBB12_166
.LBB12_164:                             ; =>This Inner Loop Header: Depth=1
	v_mov_b32_e32 v0, 1
	s_and_saveexec_b32 s5, s4
	s_cbranch_execz .LBB12_161
; %bb.165:                              ;   in Loop: Header=BB12_164 Depth=1
	global_load_dword v0, v[8:9], off offset:20 glc dlc
	s_waitcnt vmcnt(0)
	buffer_gl1_inv
	buffer_gl0_inv
	v_and_b32_e32 v0, 1, v0
	s_branch .LBB12_161
.LBB12_166:
	global_load_dwordx2 v[0:1], v[10:11], off
	s_and_saveexec_b32 s5, s4
	s_cbranch_execz .LBB12_170
; %bb.167:
	v_mov_b32_e32 v8, 0
	s_clause 0x2
	global_load_dwordx2 v[4:5], v8, s[6:7] offset:40
	global_load_dwordx2 v[9:10], v8, s[6:7] offset:24 glc dlc
	global_load_dwordx2 v[6:7], v8, s[6:7]
	s_waitcnt vmcnt(2)
	v_add_co_u32 v11, vcc_lo, v4, 1
	v_add_co_ci_u32_e32 v12, vcc_lo, 0, v5, vcc_lo
	v_add_co_u32 v2, vcc_lo, v11, s8
	v_add_co_ci_u32_e32 v3, vcc_lo, s9, v12, vcc_lo
	v_cmp_eq_u64_e32 vcc_lo, 0, v[2:3]
	v_cndmask_b32_e32 v3, v3, v12, vcc_lo
	v_cndmask_b32_e32 v2, v2, v11, vcc_lo
	v_and_b32_e32 v5, v3, v5
	v_and_b32_e32 v4, v2, v4
	v_mul_lo_u32 v5, v5, 24
	v_mul_hi_u32 v11, v4, 24
	v_mul_lo_u32 v4, v4, 24
	v_add_nc_u32_e32 v5, v11, v5
	s_waitcnt vmcnt(0)
	v_add_co_u32 v6, vcc_lo, v6, v4
	v_mov_b32_e32 v4, v9
	v_add_co_ci_u32_e32 v7, vcc_lo, v7, v5, vcc_lo
	v_mov_b32_e32 v5, v10
	global_store_dwordx2 v[6:7], v[9:10], off
	s_waitcnt_vscnt null, 0x0
	global_atomic_cmpswap_x2 v[4:5], v8, v[2:5], s[6:7] offset:24 glc
	s_waitcnt vmcnt(0)
	v_cmp_ne_u64_e32 vcc_lo, v[4:5], v[9:10]
	s_and_b32 exec_lo, exec_lo, vcc_lo
	s_cbranch_execz .LBB12_170
; %bb.168:
	s_mov_b32 s4, 0
.LBB12_169:                             ; =>This Inner Loop Header: Depth=1
	s_sleep 1
	global_store_dwordx2 v[6:7], v[4:5], off
	s_waitcnt_vscnt null, 0x0
	global_atomic_cmpswap_x2 v[9:10], v8, v[2:5], s[6:7] offset:24 glc
	s_waitcnt vmcnt(0)
	v_cmp_eq_u64_e32 vcc_lo, v[9:10], v[4:5]
	v_mov_b32_e32 v4, v9
	v_mov_b32_e32 v5, v10
	s_or_b32 s4, vcc_lo, s4
	s_andn2_b32 exec_lo, exec_lo, s4
	s_cbranch_execnz .LBB12_169
.LBB12_170:
	s_or_b32 exec_lo, exec_lo, s5
.LBB12_171:
	s_getpc_b64 s[8:9]
	s_add_u32 s8, s8, __PRETTY_FUNCTION__._ZL23merge_first_all_smallerRN8migraphx4test12test_managerE@rel32@lo+4
	s_addc_u32 s9, s9, __PRETTY_FUNCTION__._ZL23merge_first_all_smallerRN8migraphx4test12test_managerE@rel32@hi+12
	s_cmp_lg_u64 s[8:9], 0
	s_cbranch_scc0 .LBB12_250
; %bb.172:
	s_waitcnt vmcnt(0)
	v_and_b32_e32 v6, -3, v0
	v_mov_b32_e32 v7, v1
	v_mov_b32_e32 v3, 0
	;; [unrolled: 1-line block ×4, first 2 shown]
	s_mov_b64 s[10:11], 61
	s_branch .LBB12_174
.LBB12_173:                             ;   in Loop: Header=BB12_174 Depth=1
	s_or_b32 exec_lo, exec_lo, s5
	s_sub_u32 s10, s10, s12
	s_subb_u32 s11, s11, s13
	s_add_u32 s8, s8, s12
	s_addc_u32 s9, s9, s13
	s_cmp_lg_u64 s[10:11], 0
	s_cbranch_scc0 .LBB12_249
.LBB12_174:                             ; =>This Loop Header: Depth=1
                                        ;     Child Loop BB12_183 Depth 2
                                        ;     Child Loop BB12_179 Depth 2
                                        ;     Child Loop BB12_191 Depth 2
                                        ;     Child Loop BB12_198 Depth 2
                                        ;     Child Loop BB12_205 Depth 2
                                        ;     Child Loop BB12_212 Depth 2
                                        ;     Child Loop BB12_219 Depth 2
                                        ;     Child Loop BB12_226 Depth 2
                                        ;     Child Loop BB12_234 Depth 2
                                        ;     Child Loop BB12_243 Depth 2
                                        ;     Child Loop BB12_248 Depth 2
	v_cmp_lt_u64_e64 s4, s[10:11], 56
	v_cmp_gt_u64_e64 s5, s[10:11], 7
                                        ; implicit-def: $sgpr19
	s_and_b32 s4, s4, exec_lo
	s_cselect_b32 s13, s11, 0
	s_cselect_b32 s12, s10, 56
	s_and_b32 vcc_lo, exec_lo, s5
	s_mov_b32 s4, -1
	s_cbranch_vccz .LBB12_181
; %bb.175:                              ;   in Loop: Header=BB12_174 Depth=1
	s_andn2_b32 vcc_lo, exec_lo, s4
	s_mov_b64 s[4:5], s[8:9]
	s_cbranch_vccz .LBB12_185
.LBB12_176:                             ;   in Loop: Header=BB12_174 Depth=1
	s_cmp_gt_u32 s19, 7
	s_cbranch_scc1 .LBB12_186
.LBB12_177:                             ;   in Loop: Header=BB12_174 Depth=1
	v_mov_b32_e32 v10, 0
	v_mov_b32_e32 v11, 0
	s_cmp_eq_u32 s19, 0
	s_cbranch_scc1 .LBB12_180
; %bb.178:                              ;   in Loop: Header=BB12_174 Depth=1
	s_mov_b64 s[14:15], 0
	s_mov_b64 s[16:17], 0
.LBB12_179:                             ;   Parent Loop BB12_174 Depth=1
                                        ; =>  This Inner Loop Header: Depth=2
	s_add_u32 s20, s4, s16
	s_addc_u32 s21, s5, s17
	s_add_u32 s16, s16, 1
	global_load_ubyte v2, v3, s[20:21]
	s_addc_u32 s17, s17, 0
	s_waitcnt vmcnt(0)
	v_and_b32_e32 v2, 0xffff, v2
	v_lshlrev_b64 v[12:13], s14, v[2:3]
	s_add_u32 s14, s14, 8
	s_addc_u32 s15, s15, 0
	s_cmp_lg_u32 s19, s16
	v_or_b32_e32 v10, v12, v10
	v_or_b32_e32 v11, v13, v11
	s_cbranch_scc1 .LBB12_179
.LBB12_180:                             ;   in Loop: Header=BB12_174 Depth=1
	s_mov_b32 s20, 0
	s_cbranch_execz .LBB12_187
	s_branch .LBB12_188
.LBB12_181:                             ;   in Loop: Header=BB12_174 Depth=1
	s_waitcnt vmcnt(0)
	v_mov_b32_e32 v8, 0
	v_mov_b32_e32 v9, 0
	s_cmp_eq_u64 s[10:11], 0
	s_mov_b64 s[4:5], 0
	s_cbranch_scc1 .LBB12_184
; %bb.182:                              ;   in Loop: Header=BB12_174 Depth=1
	v_mov_b32_e32 v8, 0
	v_mov_b32_e32 v9, 0
	s_lshl_b64 s[14:15], s[12:13], 3
	s_mov_b64 s[16:17], s[8:9]
.LBB12_183:                             ;   Parent Loop BB12_174 Depth=1
                                        ; =>  This Inner Loop Header: Depth=2
	global_load_ubyte v2, v3, s[16:17]
	s_waitcnt vmcnt(0)
	v_and_b32_e32 v2, 0xffff, v2
	v_lshlrev_b64 v[10:11], s4, v[2:3]
	s_add_u32 s4, s4, 8
	s_addc_u32 s5, s5, 0
	s_add_u32 s16, s16, 1
	s_addc_u32 s17, s17, 0
	s_cmp_lg_u32 s14, s4
	v_or_b32_e32 v8, v10, v8
	v_or_b32_e32 v9, v11, v9
	s_cbranch_scc1 .LBB12_183
.LBB12_184:                             ;   in Loop: Header=BB12_174 Depth=1
	s_mov_b32 s19, 0
	s_mov_b64 s[4:5], s[8:9]
	s_cbranch_execnz .LBB12_176
.LBB12_185:                             ;   in Loop: Header=BB12_174 Depth=1
	global_load_dwordx2 v[8:9], v3, s[8:9]
	s_add_i32 s19, s12, -8
	s_add_u32 s4, s8, 8
	s_addc_u32 s5, s9, 0
	s_cmp_gt_u32 s19, 7
	s_cbranch_scc0 .LBB12_177
.LBB12_186:                             ;   in Loop: Header=BB12_174 Depth=1
                                        ; implicit-def: $vgpr10_vgpr11
                                        ; implicit-def: $sgpr20
.LBB12_187:                             ;   in Loop: Header=BB12_174 Depth=1
	global_load_dwordx2 v[10:11], v3, s[4:5]
	s_add_i32 s20, s19, -8
	s_add_u32 s4, s4, 8
	s_addc_u32 s5, s5, 0
.LBB12_188:                             ;   in Loop: Header=BB12_174 Depth=1
	s_cmp_gt_u32 s20, 7
	s_cbranch_scc1 .LBB12_193
; %bb.189:                              ;   in Loop: Header=BB12_174 Depth=1
	v_mov_b32_e32 v12, 0
	v_mov_b32_e32 v13, 0
	s_cmp_eq_u32 s20, 0
	s_cbranch_scc1 .LBB12_192
; %bb.190:                              ;   in Loop: Header=BB12_174 Depth=1
	s_mov_b64 s[14:15], 0
	s_mov_b64 s[16:17], 0
.LBB12_191:                             ;   Parent Loop BB12_174 Depth=1
                                        ; =>  This Inner Loop Header: Depth=2
	s_add_u32 s22, s4, s16
	s_addc_u32 s23, s5, s17
	s_add_u32 s16, s16, 1
	global_load_ubyte v2, v3, s[22:23]
	s_addc_u32 s17, s17, 0
	s_waitcnt vmcnt(0)
	v_and_b32_e32 v2, 0xffff, v2
	v_lshlrev_b64 v[14:15], s14, v[2:3]
	s_add_u32 s14, s14, 8
	s_addc_u32 s15, s15, 0
	s_cmp_lg_u32 s20, s16
	v_or_b32_e32 v12, v14, v12
	v_or_b32_e32 v13, v15, v13
	s_cbranch_scc1 .LBB12_191
.LBB12_192:                             ;   in Loop: Header=BB12_174 Depth=1
	s_mov_b32 s19, 0
	s_cbranch_execz .LBB12_194
	s_branch .LBB12_195
.LBB12_193:                             ;   in Loop: Header=BB12_174 Depth=1
                                        ; implicit-def: $sgpr19
.LBB12_194:                             ;   in Loop: Header=BB12_174 Depth=1
	global_load_dwordx2 v[12:13], v3, s[4:5]
	s_add_i32 s19, s20, -8
	s_add_u32 s4, s4, 8
	s_addc_u32 s5, s5, 0
.LBB12_195:                             ;   in Loop: Header=BB12_174 Depth=1
	s_cmp_gt_u32 s19, 7
	s_cbranch_scc1 .LBB12_200
; %bb.196:                              ;   in Loop: Header=BB12_174 Depth=1
	v_mov_b32_e32 v14, 0
	v_mov_b32_e32 v15, 0
	s_cmp_eq_u32 s19, 0
	s_cbranch_scc1 .LBB12_199
; %bb.197:                              ;   in Loop: Header=BB12_174 Depth=1
	s_mov_b64 s[14:15], 0
	s_mov_b64 s[16:17], 0
.LBB12_198:                             ;   Parent Loop BB12_174 Depth=1
                                        ; =>  This Inner Loop Header: Depth=2
	s_add_u32 s20, s4, s16
	s_addc_u32 s21, s5, s17
	s_add_u32 s16, s16, 1
	global_load_ubyte v2, v3, s[20:21]
	s_addc_u32 s17, s17, 0
	s_waitcnt vmcnt(0)
	v_and_b32_e32 v2, 0xffff, v2
	v_lshlrev_b64 v[16:17], s14, v[2:3]
	s_add_u32 s14, s14, 8
	s_addc_u32 s15, s15, 0
	s_cmp_lg_u32 s19, s16
	v_or_b32_e32 v14, v16, v14
	v_or_b32_e32 v15, v17, v15
	s_cbranch_scc1 .LBB12_198
.LBB12_199:                             ;   in Loop: Header=BB12_174 Depth=1
	s_mov_b32 s20, 0
	s_cbranch_execz .LBB12_201
	s_branch .LBB12_202
.LBB12_200:                             ;   in Loop: Header=BB12_174 Depth=1
                                        ; implicit-def: $vgpr14_vgpr15
                                        ; implicit-def: $sgpr20
.LBB12_201:                             ;   in Loop: Header=BB12_174 Depth=1
	global_load_dwordx2 v[14:15], v3, s[4:5]
	s_add_i32 s20, s19, -8
	s_add_u32 s4, s4, 8
	s_addc_u32 s5, s5, 0
.LBB12_202:                             ;   in Loop: Header=BB12_174 Depth=1
	s_cmp_gt_u32 s20, 7
	s_cbranch_scc1 .LBB12_207
; %bb.203:                              ;   in Loop: Header=BB12_174 Depth=1
	v_mov_b32_e32 v16, 0
	v_mov_b32_e32 v17, 0
	s_cmp_eq_u32 s20, 0
	s_cbranch_scc1 .LBB12_206
; %bb.204:                              ;   in Loop: Header=BB12_174 Depth=1
	s_mov_b64 s[14:15], 0
	s_mov_b64 s[16:17], 0
.LBB12_205:                             ;   Parent Loop BB12_174 Depth=1
                                        ; =>  This Inner Loop Header: Depth=2
	s_add_u32 s22, s4, s16
	s_addc_u32 s23, s5, s17
	s_add_u32 s16, s16, 1
	global_load_ubyte v2, v3, s[22:23]
	s_addc_u32 s17, s17, 0
	s_waitcnt vmcnt(0)
	v_and_b32_e32 v2, 0xffff, v2
	v_lshlrev_b64 v[18:19], s14, v[2:3]
	s_add_u32 s14, s14, 8
	s_addc_u32 s15, s15, 0
	s_cmp_lg_u32 s20, s16
	v_or_b32_e32 v16, v18, v16
	v_or_b32_e32 v17, v19, v17
	s_cbranch_scc1 .LBB12_205
.LBB12_206:                             ;   in Loop: Header=BB12_174 Depth=1
	s_mov_b32 s19, 0
	s_cbranch_execz .LBB12_208
	s_branch .LBB12_209
.LBB12_207:                             ;   in Loop: Header=BB12_174 Depth=1
                                        ; implicit-def: $sgpr19
.LBB12_208:                             ;   in Loop: Header=BB12_174 Depth=1
	global_load_dwordx2 v[16:17], v3, s[4:5]
	s_add_i32 s19, s20, -8
	s_add_u32 s4, s4, 8
	s_addc_u32 s5, s5, 0
.LBB12_209:                             ;   in Loop: Header=BB12_174 Depth=1
	s_cmp_gt_u32 s19, 7
	s_cbranch_scc1 .LBB12_214
; %bb.210:                              ;   in Loop: Header=BB12_174 Depth=1
	v_mov_b32_e32 v18, 0
	v_mov_b32_e32 v19, 0
	s_cmp_eq_u32 s19, 0
	s_cbranch_scc1 .LBB12_213
; %bb.211:                              ;   in Loop: Header=BB12_174 Depth=1
	s_mov_b64 s[14:15], 0
	s_mov_b64 s[16:17], 0
.LBB12_212:                             ;   Parent Loop BB12_174 Depth=1
                                        ; =>  This Inner Loop Header: Depth=2
	s_add_u32 s20, s4, s16
	s_addc_u32 s21, s5, s17
	s_add_u32 s16, s16, 1
	global_load_ubyte v2, v3, s[20:21]
	s_addc_u32 s17, s17, 0
	s_waitcnt vmcnt(0)
	v_and_b32_e32 v2, 0xffff, v2
	v_lshlrev_b64 v[20:21], s14, v[2:3]
	s_add_u32 s14, s14, 8
	s_addc_u32 s15, s15, 0
	s_cmp_lg_u32 s19, s16
	v_or_b32_e32 v18, v20, v18
	v_or_b32_e32 v19, v21, v19
	s_cbranch_scc1 .LBB12_212
.LBB12_213:                             ;   in Loop: Header=BB12_174 Depth=1
	s_mov_b32 s20, 0
	s_cbranch_execz .LBB12_215
	s_branch .LBB12_216
.LBB12_214:                             ;   in Loop: Header=BB12_174 Depth=1
                                        ; implicit-def: $vgpr18_vgpr19
                                        ; implicit-def: $sgpr20
.LBB12_215:                             ;   in Loop: Header=BB12_174 Depth=1
	global_load_dwordx2 v[18:19], v3, s[4:5]
	s_add_i32 s20, s19, -8
	s_add_u32 s4, s4, 8
	s_addc_u32 s5, s5, 0
.LBB12_216:                             ;   in Loop: Header=BB12_174 Depth=1
	s_cmp_gt_u32 s20, 7
	s_cbranch_scc1 .LBB12_221
; %bb.217:                              ;   in Loop: Header=BB12_174 Depth=1
	v_mov_b32_e32 v20, 0
	v_mov_b32_e32 v21, 0
	s_cmp_eq_u32 s20, 0
	s_cbranch_scc1 .LBB12_220
; %bb.218:                              ;   in Loop: Header=BB12_174 Depth=1
	s_mov_b64 s[14:15], 0
	s_mov_b64 s[16:17], s[4:5]
.LBB12_219:                             ;   Parent Loop BB12_174 Depth=1
                                        ; =>  This Inner Loop Header: Depth=2
	global_load_ubyte v2, v3, s[16:17]
	s_add_i32 s20, s20, -1
	s_waitcnt vmcnt(0)
	v_and_b32_e32 v2, 0xffff, v2
	v_lshlrev_b64 v[22:23], s14, v[2:3]
	s_add_u32 s14, s14, 8
	s_addc_u32 s15, s15, 0
	s_add_u32 s16, s16, 1
	s_addc_u32 s17, s17, 0
	s_cmp_lg_u32 s20, 0
	v_or_b32_e32 v20, v22, v20
	v_or_b32_e32 v21, v23, v21
	s_cbranch_scc1 .LBB12_219
.LBB12_220:                             ;   in Loop: Header=BB12_174 Depth=1
	s_cbranch_execz .LBB12_222
	s_branch .LBB12_223
.LBB12_221:                             ;   in Loop: Header=BB12_174 Depth=1
.LBB12_222:                             ;   in Loop: Header=BB12_174 Depth=1
	global_load_dwordx2 v[20:21], v3, s[4:5]
.LBB12_223:                             ;   in Loop: Header=BB12_174 Depth=1
	v_readfirstlane_b32 s4, v32
	v_mov_b32_e32 v26, 0
	v_mov_b32_e32 v27, 0
	v_cmp_eq_u32_e64 s4, s4, v32
	s_and_saveexec_b32 s5, s4
	s_cbranch_execz .LBB12_229
; %bb.224:                              ;   in Loop: Header=BB12_174 Depth=1
	global_load_dwordx2 v[24:25], v3, s[6:7] offset:24 glc dlc
	s_waitcnt vmcnt(0)
	buffer_gl1_inv
	buffer_gl0_inv
	s_clause 0x1
	global_load_dwordx2 v[22:23], v3, s[6:7] offset:40
	global_load_dwordx2 v[26:27], v3, s[6:7]
	s_mov_b32 s14, exec_lo
	s_waitcnt vmcnt(1)
	v_and_b32_e32 v2, v23, v25
	v_and_b32_e32 v22, v22, v24
	v_mul_lo_u32 v2, v2, 24
	v_mul_hi_u32 v23, v22, 24
	v_mul_lo_u32 v22, v22, 24
	v_add_nc_u32_e32 v2, v23, v2
	s_waitcnt vmcnt(0)
	v_add_co_u32 v22, vcc_lo, v26, v22
	v_add_co_ci_u32_e32 v23, vcc_lo, v27, v2, vcc_lo
	global_load_dwordx2 v[22:23], v[22:23], off glc dlc
	s_waitcnt vmcnt(0)
	global_atomic_cmpswap_x2 v[26:27], v3, v[22:25], s[6:7] offset:24 glc
	s_waitcnt vmcnt(0)
	buffer_gl1_inv
	buffer_gl0_inv
	v_cmpx_ne_u64_e64 v[26:27], v[24:25]
	s_cbranch_execz .LBB12_228
; %bb.225:                              ;   in Loop: Header=BB12_174 Depth=1
	s_mov_b32 s15, 0
	.p2align	6
.LBB12_226:                             ;   Parent Loop BB12_174 Depth=1
                                        ; =>  This Inner Loop Header: Depth=2
	s_sleep 1
	s_clause 0x1
	global_load_dwordx2 v[22:23], v3, s[6:7] offset:40
	global_load_dwordx2 v[28:29], v3, s[6:7]
	v_mov_b32_e32 v24, v26
	v_mov_b32_e32 v25, v27
	s_waitcnt vmcnt(1)
	v_and_b32_e32 v2, v22, v24
	v_and_b32_e32 v22, v23, v25
	s_waitcnt vmcnt(0)
	v_mad_u64_u32 v[26:27], null, v2, 24, v[28:29]
	v_mov_b32_e32 v2, v27
	v_mad_u64_u32 v[22:23], null, v22, 24, v[2:3]
	v_mov_b32_e32 v27, v22
	global_load_dwordx2 v[22:23], v[26:27], off glc dlc
	s_waitcnt vmcnt(0)
	global_atomic_cmpswap_x2 v[26:27], v3, v[22:25], s[6:7] offset:24 glc
	s_waitcnt vmcnt(0)
	buffer_gl1_inv
	buffer_gl0_inv
	v_cmp_eq_u64_e32 vcc_lo, v[26:27], v[24:25]
	s_or_b32 s15, vcc_lo, s15
	s_andn2_b32 exec_lo, exec_lo, s15
	s_cbranch_execnz .LBB12_226
; %bb.227:                              ;   in Loop: Header=BB12_174 Depth=1
	s_or_b32 exec_lo, exec_lo, s15
.LBB12_228:                             ;   in Loop: Header=BB12_174 Depth=1
	s_or_b32 exec_lo, exec_lo, s14
.LBB12_229:                             ;   in Loop: Header=BB12_174 Depth=1
	s_or_b32 exec_lo, exec_lo, s5
	s_clause 0x1
	global_load_dwordx2 v[28:29], v3, s[6:7] offset:40
	global_load_dwordx4 v[22:25], v3, s[6:7]
	v_readfirstlane_b32 s14, v26
	v_readfirstlane_b32 s15, v27
	s_mov_b32 s5, exec_lo
	s_waitcnt vmcnt(1)
	v_readfirstlane_b32 s16, v28
	v_readfirstlane_b32 s17, v29
	s_and_b64 s[16:17], s[14:15], s[16:17]
	s_mul_i32 s19, s17, 24
	s_mul_hi_u32 s20, s16, 24
	s_mul_i32 s21, s16, 24
	s_add_i32 s20, s20, s19
	s_waitcnt vmcnt(0)
	v_add_co_u32 v26, vcc_lo, v22, s21
	v_add_co_ci_u32_e32 v27, vcc_lo, s20, v23, vcc_lo
	s_and_saveexec_b32 s19, s4
	s_cbranch_execz .LBB12_231
; %bb.230:                              ;   in Loop: Header=BB12_174 Depth=1
	v_mov_b32_e32 v2, s5
	global_store_dwordx4 v[26:27], v[2:5], off offset:8
.LBB12_231:                             ;   in Loop: Header=BB12_174 Depth=1
	s_or_b32 exec_lo, exec_lo, s19
	s_lshl_b64 s[16:17], s[16:17], 12
	v_or_b32_e32 v2, 2, v6
	v_add_co_u32 v24, vcc_lo, v24, s16
	v_add_co_ci_u32_e32 v25, vcc_lo, s17, v25, vcc_lo
	v_cmp_gt_u64_e64 vcc_lo, s[10:11], 56
	s_lshl_b32 s5, s12, 2
	v_readfirstlane_b32 s16, v24
	s_add_i32 s5, s5, 28
	v_readfirstlane_b32 s17, v25
	s_and_b32 s5, s5, 0x1e0
	v_cndmask_b32_e32 v2, v2, v6, vcc_lo
	v_and_or_b32 v6, 0xffffff1f, v2, s5
	global_store_dwordx4 v31, v[10:13], s[16:17] offset:16
	global_store_dwordx4 v31, v[6:9], s[16:17]
	global_store_dwordx4 v31, v[14:17], s[16:17] offset:32
	global_store_dwordx4 v31, v[18:21], s[16:17] offset:48
	s_and_saveexec_b32 s5, s4
	s_cbranch_execz .LBB12_239
; %bb.232:                              ;   in Loop: Header=BB12_174 Depth=1
	s_clause 0x1
	global_load_dwordx2 v[14:15], v3, s[6:7] offset:32 glc dlc
	global_load_dwordx2 v[6:7], v3, s[6:7] offset:40
	v_mov_b32_e32 v12, s14
	v_mov_b32_e32 v13, s15
	s_waitcnt vmcnt(0)
	v_readfirstlane_b32 s16, v6
	v_readfirstlane_b32 s17, v7
	s_and_b64 s[16:17], s[16:17], s[14:15]
	s_mul_i32 s17, s17, 24
	s_mul_hi_u32 s19, s16, 24
	s_mul_i32 s16, s16, 24
	s_add_i32 s19, s19, s17
	v_add_co_u32 v10, vcc_lo, v22, s16
	v_add_co_ci_u32_e32 v11, vcc_lo, s19, v23, vcc_lo
	s_mov_b32 s16, exec_lo
	global_store_dwordx2 v[10:11], v[14:15], off
	s_waitcnt_vscnt null, 0x0
	global_atomic_cmpswap_x2 v[8:9], v3, v[12:15], s[6:7] offset:32 glc
	s_waitcnt vmcnt(0)
	v_cmpx_ne_u64_e64 v[8:9], v[14:15]
	s_cbranch_execz .LBB12_235
; %bb.233:                              ;   in Loop: Header=BB12_174 Depth=1
	s_mov_b32 s17, 0
.LBB12_234:                             ;   Parent Loop BB12_174 Depth=1
                                        ; =>  This Inner Loop Header: Depth=2
	v_mov_b32_e32 v6, s14
	v_mov_b32_e32 v7, s15
	s_sleep 1
	global_store_dwordx2 v[10:11], v[8:9], off
	s_waitcnt_vscnt null, 0x0
	global_atomic_cmpswap_x2 v[6:7], v3, v[6:9], s[6:7] offset:32 glc
	s_waitcnt vmcnt(0)
	v_cmp_eq_u64_e32 vcc_lo, v[6:7], v[8:9]
	v_mov_b32_e32 v9, v7
	v_mov_b32_e32 v8, v6
	s_or_b32 s17, vcc_lo, s17
	s_andn2_b32 exec_lo, exec_lo, s17
	s_cbranch_execnz .LBB12_234
.LBB12_235:                             ;   in Loop: Header=BB12_174 Depth=1
	s_or_b32 exec_lo, exec_lo, s16
	global_load_dwordx2 v[6:7], v3, s[6:7] offset:16
	s_mov_b32 s17, exec_lo
	s_mov_b32 s16, exec_lo
	v_mbcnt_lo_u32_b32 v2, s17, 0
	v_cmpx_eq_u32_e32 0, v2
	s_cbranch_execz .LBB12_237
; %bb.236:                              ;   in Loop: Header=BB12_174 Depth=1
	s_bcnt1_i32_b32 s17, s17
	v_mov_b32_e32 v2, s17
	s_waitcnt vmcnt(0)
	global_atomic_add_x2 v[6:7], v[2:3], off offset:8
.LBB12_237:                             ;   in Loop: Header=BB12_174 Depth=1
	s_or_b32 exec_lo, exec_lo, s16
	s_waitcnt vmcnt(0)
	global_load_dwordx2 v[8:9], v[6:7], off offset:16
	s_waitcnt vmcnt(0)
	v_cmp_eq_u64_e32 vcc_lo, 0, v[8:9]
	s_cbranch_vccnz .LBB12_239
; %bb.238:                              ;   in Loop: Header=BB12_174 Depth=1
	global_load_dword v2, v[6:7], off offset:24
	s_waitcnt vmcnt(0)
	v_and_b32_e32 v6, 0x7fffff, v2
	s_waitcnt_vscnt null, 0x0
	global_store_dwordx2 v[8:9], v[2:3], off
	v_readfirstlane_b32 m0, v6
	s_sendmsg sendmsg(MSG_INTERRUPT)
.LBB12_239:                             ;   in Loop: Header=BB12_174 Depth=1
	s_or_b32 exec_lo, exec_lo, s5
	v_add_co_u32 v6, vcc_lo, v24, v31
	v_add_co_ci_u32_e32 v7, vcc_lo, 0, v25, vcc_lo
	s_branch .LBB12_243
	.p2align	6
.LBB12_240:                             ;   in Loop: Header=BB12_243 Depth=2
	s_or_b32 exec_lo, exec_lo, s5
	v_readfirstlane_b32 s5, v2
	s_cmp_eq_u32 s5, 0
	s_cbranch_scc1 .LBB12_242
; %bb.241:                              ;   in Loop: Header=BB12_243 Depth=2
	s_sleep 1
	s_cbranch_execnz .LBB12_243
	s_branch .LBB12_245
	.p2align	6
.LBB12_242:                             ;   in Loop: Header=BB12_174 Depth=1
	s_branch .LBB12_245
.LBB12_243:                             ;   Parent Loop BB12_174 Depth=1
                                        ; =>  This Inner Loop Header: Depth=2
	v_mov_b32_e32 v2, 1
	s_and_saveexec_b32 s5, s4
	s_cbranch_execz .LBB12_240
; %bb.244:                              ;   in Loop: Header=BB12_243 Depth=2
	global_load_dword v2, v[26:27], off offset:20 glc dlc
	s_waitcnt vmcnt(0)
	buffer_gl1_inv
	buffer_gl0_inv
	v_and_b32_e32 v2, 1, v2
	s_branch .LBB12_240
.LBB12_245:                             ;   in Loop: Header=BB12_174 Depth=1
	global_load_dwordx4 v[6:9], v[6:7], off
	s_and_saveexec_b32 s5, s4
	s_cbranch_execz .LBB12_173
; %bb.246:                              ;   in Loop: Header=BB12_174 Depth=1
	s_clause 0x2
	global_load_dwordx2 v[10:11], v3, s[6:7] offset:40
	global_load_dwordx2 v[14:15], v3, s[6:7] offset:24 glc dlc
	global_load_dwordx2 v[12:13], v3, s[6:7]
	s_waitcnt vmcnt(2)
	v_add_co_u32 v2, vcc_lo, v10, 1
	v_add_co_ci_u32_e32 v16, vcc_lo, 0, v11, vcc_lo
	v_add_co_u32 v8, vcc_lo, v2, s14
	v_add_co_ci_u32_e32 v9, vcc_lo, s15, v16, vcc_lo
	v_cmp_eq_u64_e32 vcc_lo, 0, v[8:9]
	v_cndmask_b32_e32 v9, v9, v16, vcc_lo
	v_cndmask_b32_e32 v8, v8, v2, vcc_lo
	v_and_b32_e32 v2, v9, v11
	v_and_b32_e32 v10, v8, v10
	v_mul_lo_u32 v2, v2, 24
	v_mul_hi_u32 v11, v10, 24
	v_mul_lo_u32 v10, v10, 24
	v_add_nc_u32_e32 v2, v11, v2
	s_waitcnt vmcnt(0)
	v_add_co_u32 v12, vcc_lo, v12, v10
	v_mov_b32_e32 v10, v14
	v_mov_b32_e32 v11, v15
	v_add_co_ci_u32_e32 v13, vcc_lo, v13, v2, vcc_lo
	global_store_dwordx2 v[12:13], v[14:15], off
	s_waitcnt_vscnt null, 0x0
	global_atomic_cmpswap_x2 v[10:11], v3, v[8:11], s[6:7] offset:24 glc
	s_waitcnt vmcnt(0)
	v_cmp_ne_u64_e32 vcc_lo, v[10:11], v[14:15]
	s_and_b32 exec_lo, exec_lo, vcc_lo
	s_cbranch_execz .LBB12_173
; %bb.247:                              ;   in Loop: Header=BB12_174 Depth=1
	s_mov_b32 s4, 0
.LBB12_248:                             ;   Parent Loop BB12_174 Depth=1
                                        ; =>  This Inner Loop Header: Depth=2
	s_sleep 1
	global_store_dwordx2 v[12:13], v[10:11], off
	s_waitcnt_vscnt null, 0x0
	global_atomic_cmpswap_x2 v[14:15], v3, v[8:11], s[6:7] offset:24 glc
	s_waitcnt vmcnt(0)
	v_cmp_eq_u64_e32 vcc_lo, v[14:15], v[10:11]
	v_mov_b32_e32 v10, v14
	v_mov_b32_e32 v11, v15
	s_or_b32 s4, vcc_lo, s4
	s_andn2_b32 exec_lo, exec_lo, s4
	s_cbranch_execnz .LBB12_248
	s_branch .LBB12_173
.LBB12_249:
	s_mov_b32 s4, 0
	s_branch .LBB12_251
.LBB12_250:
	s_mov_b32 s4, -1
.LBB12_251:
	s_and_b32 vcc_lo, exec_lo, s4
	s_cbranch_vccz .LBB12_279
; %bb.252:
	v_readfirstlane_b32 s4, v32
	s_waitcnt vmcnt(0)
	v_mov_b32_e32 v8, 0
	v_mov_b32_e32 v9, 0
	v_cmp_eq_u32_e64 s4, s4, v32
	s_and_saveexec_b32 s5, s4
	s_cbranch_execz .LBB12_258
; %bb.253:
	v_mov_b32_e32 v2, 0
	s_mov_b32 s8, exec_lo
	global_load_dwordx2 v[5:6], v2, s[6:7] offset:24 glc dlc
	s_waitcnt vmcnt(0)
	buffer_gl1_inv
	buffer_gl0_inv
	s_clause 0x1
	global_load_dwordx2 v[3:4], v2, s[6:7] offset:40
	global_load_dwordx2 v[7:8], v2, s[6:7]
	s_waitcnt vmcnt(1)
	v_and_b32_e32 v4, v4, v6
	v_and_b32_e32 v3, v3, v5
	v_mul_lo_u32 v4, v4, 24
	v_mul_hi_u32 v9, v3, 24
	v_mul_lo_u32 v3, v3, 24
	v_add_nc_u32_e32 v4, v9, v4
	s_waitcnt vmcnt(0)
	v_add_co_u32 v3, vcc_lo, v7, v3
	v_add_co_ci_u32_e32 v4, vcc_lo, v8, v4, vcc_lo
	global_load_dwordx2 v[3:4], v[3:4], off glc dlc
	s_waitcnt vmcnt(0)
	global_atomic_cmpswap_x2 v[8:9], v2, v[3:6], s[6:7] offset:24 glc
	s_waitcnt vmcnt(0)
	buffer_gl1_inv
	buffer_gl0_inv
	v_cmpx_ne_u64_e64 v[8:9], v[5:6]
	s_cbranch_execz .LBB12_257
; %bb.254:
	s_mov_b32 s9, 0
.LBB12_255:                             ; =>This Inner Loop Header: Depth=1
	s_sleep 1
	s_clause 0x1
	global_load_dwordx2 v[3:4], v2, s[6:7] offset:40
	global_load_dwordx2 v[10:11], v2, s[6:7]
	v_mov_b32_e32 v5, v8
	v_mov_b32_e32 v6, v9
	s_waitcnt vmcnt(1)
	v_and_b32_e32 v3, v3, v5
	v_and_b32_e32 v4, v4, v6
	s_waitcnt vmcnt(0)
	v_mad_u64_u32 v[7:8], null, v3, 24, v[10:11]
	v_mov_b32_e32 v3, v8
	v_mad_u64_u32 v[3:4], null, v4, 24, v[3:4]
	v_mov_b32_e32 v8, v3
	global_load_dwordx2 v[3:4], v[7:8], off glc dlc
	s_waitcnt vmcnt(0)
	global_atomic_cmpswap_x2 v[8:9], v2, v[3:6], s[6:7] offset:24 glc
	s_waitcnt vmcnt(0)
	buffer_gl1_inv
	buffer_gl0_inv
	v_cmp_eq_u64_e32 vcc_lo, v[8:9], v[5:6]
	s_or_b32 s9, vcc_lo, s9
	s_andn2_b32 exec_lo, exec_lo, s9
	s_cbranch_execnz .LBB12_255
; %bb.256:
	s_or_b32 exec_lo, exec_lo, s9
.LBB12_257:
	s_or_b32 exec_lo, exec_lo, s8
.LBB12_258:
	s_or_b32 exec_lo, exec_lo, s5
	v_mov_b32_e32 v2, 0
	v_readfirstlane_b32 s8, v8
	v_readfirstlane_b32 s9, v9
	s_mov_b32 s5, exec_lo
	s_clause 0x1
	global_load_dwordx2 v[10:11], v2, s[6:7] offset:40
	global_load_dwordx4 v[4:7], v2, s[6:7]
	s_waitcnt vmcnt(1)
	v_readfirstlane_b32 s10, v10
	v_readfirstlane_b32 s11, v11
	s_and_b64 s[10:11], s[8:9], s[10:11]
	s_mul_i32 s12, s11, 24
	s_mul_hi_u32 s13, s10, 24
	s_mul_i32 s14, s10, 24
	s_add_i32 s13, s13, s12
	s_waitcnt vmcnt(0)
	v_add_co_u32 v8, vcc_lo, v4, s14
	v_add_co_ci_u32_e32 v9, vcc_lo, s13, v5, vcc_lo
	s_and_saveexec_b32 s12, s4
	s_cbranch_execz .LBB12_260
; %bb.259:
	v_mov_b32_e32 v10, s5
	v_mov_b32_e32 v11, v2
	;; [unrolled: 1-line block ×4, first 2 shown]
	global_store_dwordx4 v[8:9], v[10:13], off offset:8
.LBB12_260:
	s_or_b32 exec_lo, exec_lo, s12
	s_lshl_b64 s[10:11], s[10:11], 12
	s_mov_b32 s12, 0
	v_add_co_u32 v6, vcc_lo, v6, s10
	v_add_co_ci_u32_e32 v7, vcc_lo, s11, v7, vcc_lo
	s_mov_b32 s13, s12
	s_mov_b32 s14, s12
	;; [unrolled: 1-line block ×3, first 2 shown]
	v_and_or_b32 v0, 0xffffff1d, v0, 34
	v_mov_b32_e32 v3, v2
	v_readfirstlane_b32 s10, v6
	v_readfirstlane_b32 s11, v7
	v_mov_b32_e32 v10, s12
	v_mov_b32_e32 v11, s13
	;; [unrolled: 1-line block ×4, first 2 shown]
	global_store_dwordx4 v31, v[0:3], s[10:11]
	global_store_dwordx4 v31, v[10:13], s[10:11] offset:16
	global_store_dwordx4 v31, v[10:13], s[10:11] offset:32
	global_store_dwordx4 v31, v[10:13], s[10:11] offset:48
	s_and_saveexec_b32 s5, s4
	s_cbranch_execz .LBB12_268
; %bb.261:
	v_mov_b32_e32 v6, 0
	v_mov_b32_e32 v10, s8
	;; [unrolled: 1-line block ×3, first 2 shown]
	s_clause 0x1
	global_load_dwordx2 v[12:13], v6, s[6:7] offset:32 glc dlc
	global_load_dwordx2 v[0:1], v6, s[6:7] offset:40
	s_waitcnt vmcnt(0)
	v_readfirstlane_b32 s10, v0
	v_readfirstlane_b32 s11, v1
	s_and_b64 s[10:11], s[10:11], s[8:9]
	s_mul_i32 s11, s11, 24
	s_mul_hi_u32 s12, s10, 24
	s_mul_i32 s10, s10, 24
	s_add_i32 s12, s12, s11
	v_add_co_u32 v4, vcc_lo, v4, s10
	v_add_co_ci_u32_e32 v5, vcc_lo, s12, v5, vcc_lo
	s_mov_b32 s10, exec_lo
	global_store_dwordx2 v[4:5], v[12:13], off
	s_waitcnt_vscnt null, 0x0
	global_atomic_cmpswap_x2 v[2:3], v6, v[10:13], s[6:7] offset:32 glc
	s_waitcnt vmcnt(0)
	v_cmpx_ne_u64_e64 v[2:3], v[12:13]
	s_cbranch_execz .LBB12_264
; %bb.262:
	s_mov_b32 s11, 0
.LBB12_263:                             ; =>This Inner Loop Header: Depth=1
	v_mov_b32_e32 v0, s8
	v_mov_b32_e32 v1, s9
	s_sleep 1
	global_store_dwordx2 v[4:5], v[2:3], off
	s_waitcnt_vscnt null, 0x0
	global_atomic_cmpswap_x2 v[0:1], v6, v[0:3], s[6:7] offset:32 glc
	s_waitcnt vmcnt(0)
	v_cmp_eq_u64_e32 vcc_lo, v[0:1], v[2:3]
	v_mov_b32_e32 v3, v1
	v_mov_b32_e32 v2, v0
	s_or_b32 s11, vcc_lo, s11
	s_andn2_b32 exec_lo, exec_lo, s11
	s_cbranch_execnz .LBB12_263
.LBB12_264:
	s_or_b32 exec_lo, exec_lo, s10
	v_mov_b32_e32 v3, 0
	s_mov_b32 s11, exec_lo
	s_mov_b32 s10, exec_lo
	v_mbcnt_lo_u32_b32 v2, s11, 0
	global_load_dwordx2 v[0:1], v3, s[6:7] offset:16
	v_cmpx_eq_u32_e32 0, v2
	s_cbranch_execz .LBB12_266
; %bb.265:
	s_bcnt1_i32_b32 s11, s11
	v_mov_b32_e32 v2, s11
	s_waitcnt vmcnt(0)
	global_atomic_add_x2 v[0:1], v[2:3], off offset:8
.LBB12_266:
	s_or_b32 exec_lo, exec_lo, s10
	s_waitcnt vmcnt(0)
	global_load_dwordx2 v[2:3], v[0:1], off offset:16
	s_waitcnt vmcnt(0)
	v_cmp_eq_u64_e32 vcc_lo, 0, v[2:3]
	s_cbranch_vccnz .LBB12_268
; %bb.267:
	global_load_dword v0, v[0:1], off offset:24
	v_mov_b32_e32 v1, 0
	s_waitcnt vmcnt(0)
	v_and_b32_e32 v4, 0x7fffff, v0
	s_waitcnt_vscnt null, 0x0
	global_store_dwordx2 v[2:3], v[0:1], off
	v_readfirstlane_b32 m0, v4
	s_sendmsg sendmsg(MSG_INTERRUPT)
.LBB12_268:
	s_or_b32 exec_lo, exec_lo, s5
	s_branch .LBB12_272
	.p2align	6
.LBB12_269:                             ;   in Loop: Header=BB12_272 Depth=1
	s_or_b32 exec_lo, exec_lo, s5
	v_readfirstlane_b32 s5, v0
	s_cmp_eq_u32 s5, 0
	s_cbranch_scc1 .LBB12_271
; %bb.270:                              ;   in Loop: Header=BB12_272 Depth=1
	s_sleep 1
	s_cbranch_execnz .LBB12_272
	s_branch .LBB12_274
.LBB12_271:
	s_branch .LBB12_274
.LBB12_272:                             ; =>This Inner Loop Header: Depth=1
	v_mov_b32_e32 v0, 1
	s_and_saveexec_b32 s5, s4
	s_cbranch_execz .LBB12_269
; %bb.273:                              ;   in Loop: Header=BB12_272 Depth=1
	global_load_dword v0, v[8:9], off offset:20 glc dlc
	s_waitcnt vmcnt(0)
	buffer_gl1_inv
	buffer_gl0_inv
	v_and_b32_e32 v0, 1, v0
	s_branch .LBB12_269
.LBB12_274:
	s_and_saveexec_b32 s5, s4
	s_cbranch_execz .LBB12_278
; %bb.275:
	v_mov_b32_e32 v6, 0
	s_clause 0x2
	global_load_dwordx2 v[2:3], v6, s[6:7] offset:40
	global_load_dwordx2 v[7:8], v6, s[6:7] offset:24 glc dlc
	global_load_dwordx2 v[4:5], v6, s[6:7]
	s_waitcnt vmcnt(2)
	v_add_co_u32 v9, vcc_lo, v2, 1
	v_add_co_ci_u32_e32 v10, vcc_lo, 0, v3, vcc_lo
	v_add_co_u32 v0, vcc_lo, v9, s8
	v_add_co_ci_u32_e32 v1, vcc_lo, s9, v10, vcc_lo
	v_cmp_eq_u64_e32 vcc_lo, 0, v[0:1]
	v_cndmask_b32_e32 v1, v1, v10, vcc_lo
	v_cndmask_b32_e32 v0, v0, v9, vcc_lo
	v_and_b32_e32 v3, v1, v3
	v_and_b32_e32 v2, v0, v2
	v_mul_lo_u32 v3, v3, 24
	v_mul_hi_u32 v9, v2, 24
	v_mul_lo_u32 v2, v2, 24
	v_add_nc_u32_e32 v3, v9, v3
	s_waitcnt vmcnt(0)
	v_add_co_u32 v4, vcc_lo, v4, v2
	v_mov_b32_e32 v2, v7
	v_add_co_ci_u32_e32 v5, vcc_lo, v5, v3, vcc_lo
	v_mov_b32_e32 v3, v8
	global_store_dwordx2 v[4:5], v[7:8], off
	s_waitcnt_vscnt null, 0x0
	global_atomic_cmpswap_x2 v[2:3], v6, v[0:3], s[6:7] offset:24 glc
	s_waitcnt vmcnt(0)
	v_cmp_ne_u64_e32 vcc_lo, v[2:3], v[7:8]
	s_and_b32 exec_lo, exec_lo, vcc_lo
	s_cbranch_execz .LBB12_278
; %bb.276:
	s_mov_b32 s4, 0
.LBB12_277:                             ; =>This Inner Loop Header: Depth=1
	s_sleep 1
	global_store_dwordx2 v[4:5], v[2:3], off
	s_waitcnt_vscnt null, 0x0
	global_atomic_cmpswap_x2 v[7:8], v6, v[0:3], s[6:7] offset:24 glc
	s_waitcnt vmcnt(0)
	v_cmp_eq_u64_e32 vcc_lo, v[7:8], v[2:3]
	v_mov_b32_e32 v2, v7
	v_mov_b32_e32 v3, v8
	s_or_b32 s4, vcc_lo, s4
	s_andn2_b32 exec_lo, exec_lo, s4
	s_cbranch_execnz .LBB12_277
.LBB12_278:
	s_or_b32 exec_lo, exec_lo, s5
.LBB12_279:
	v_readfirstlane_b32 s4, v32
	s_waitcnt vmcnt(0)
	v_mov_b32_e32 v6, 0
	v_mov_b32_e32 v7, 0
	v_cmp_eq_u32_e64 s4, s4, v32
	s_and_saveexec_b32 s5, s4
	s_cbranch_execz .LBB12_285
; %bb.280:
	v_mov_b32_e32 v0, 0
	s_mov_b32 s8, exec_lo
	global_load_dwordx2 v[3:4], v0, s[6:7] offset:24 glc dlc
	s_waitcnt vmcnt(0)
	buffer_gl1_inv
	buffer_gl0_inv
	s_clause 0x1
	global_load_dwordx2 v[1:2], v0, s[6:7] offset:40
	global_load_dwordx2 v[5:6], v0, s[6:7]
	s_waitcnt vmcnt(1)
	v_and_b32_e32 v2, v2, v4
	v_and_b32_e32 v1, v1, v3
	v_mul_lo_u32 v2, v2, 24
	v_mul_hi_u32 v7, v1, 24
	v_mul_lo_u32 v1, v1, 24
	v_add_nc_u32_e32 v2, v7, v2
	s_waitcnt vmcnt(0)
	v_add_co_u32 v1, vcc_lo, v5, v1
	v_add_co_ci_u32_e32 v2, vcc_lo, v6, v2, vcc_lo
	global_load_dwordx2 v[1:2], v[1:2], off glc dlc
	s_waitcnt vmcnt(0)
	global_atomic_cmpswap_x2 v[6:7], v0, v[1:4], s[6:7] offset:24 glc
	s_waitcnt vmcnt(0)
	buffer_gl1_inv
	buffer_gl0_inv
	v_cmpx_ne_u64_e64 v[6:7], v[3:4]
	s_cbranch_execz .LBB12_284
; %bb.281:
	s_mov_b32 s9, 0
.LBB12_282:                             ; =>This Inner Loop Header: Depth=1
	s_sleep 1
	s_clause 0x1
	global_load_dwordx2 v[1:2], v0, s[6:7] offset:40
	global_load_dwordx2 v[8:9], v0, s[6:7]
	v_mov_b32_e32 v3, v6
	v_mov_b32_e32 v4, v7
	s_waitcnt vmcnt(1)
	v_and_b32_e32 v1, v1, v3
	v_and_b32_e32 v2, v2, v4
	s_waitcnt vmcnt(0)
	v_mad_u64_u32 v[5:6], null, v1, 24, v[8:9]
	v_mov_b32_e32 v1, v6
	v_mad_u64_u32 v[1:2], null, v2, 24, v[1:2]
	v_mov_b32_e32 v6, v1
	global_load_dwordx2 v[1:2], v[5:6], off glc dlc
	s_waitcnt vmcnt(0)
	global_atomic_cmpswap_x2 v[6:7], v0, v[1:4], s[6:7] offset:24 glc
	s_waitcnt vmcnt(0)
	buffer_gl1_inv
	buffer_gl0_inv
	v_cmp_eq_u64_e32 vcc_lo, v[6:7], v[3:4]
	s_or_b32 s9, vcc_lo, s9
	s_andn2_b32 exec_lo, exec_lo, s9
	s_cbranch_execnz .LBB12_282
; %bb.283:
	s_or_b32 exec_lo, exec_lo, s9
.LBB12_284:
	s_or_b32 exec_lo, exec_lo, s8
.LBB12_285:
	s_or_b32 exec_lo, exec_lo, s5
	v_mov_b32_e32 v5, 0
	v_readfirstlane_b32 s8, v6
	v_readfirstlane_b32 s9, v7
	s_mov_b32 s5, exec_lo
	s_clause 0x1
	global_load_dwordx2 v[8:9], v5, s[6:7] offset:40
	global_load_dwordx4 v[0:3], v5, s[6:7]
	s_waitcnt vmcnt(1)
	v_readfirstlane_b32 s10, v8
	v_readfirstlane_b32 s11, v9
	s_and_b64 s[10:11], s[8:9], s[10:11]
	s_mul_i32 s12, s11, 24
	s_mul_hi_u32 s13, s10, 24
	s_mul_i32 s14, s10, 24
	s_add_i32 s13, s13, s12
	s_waitcnt vmcnt(0)
	v_add_co_u32 v8, vcc_lo, v0, s14
	v_add_co_ci_u32_e32 v9, vcc_lo, s13, v1, vcc_lo
	s_and_saveexec_b32 s12, s4
	s_cbranch_execz .LBB12_287
; %bb.286:
	v_mov_b32_e32 v4, s5
	v_mov_b32_e32 v6, 2
	;; [unrolled: 1-line block ×3, first 2 shown]
	global_store_dwordx4 v[8:9], v[4:7], off offset:8
.LBB12_287:
	s_or_b32 exec_lo, exec_lo, s12
	s_lshl_b64 s[10:11], s[10:11], 12
	s_mov_b32 s12, 0
	v_add_co_u32 v2, vcc_lo, v2, s10
	v_add_co_ci_u32_e32 v3, vcc_lo, s11, v3, vcc_lo
	s_mov_b32 s13, s12
	v_add_co_u32 v10, vcc_lo, v2, v31
	s_mov_b32 s14, s12
	s_mov_b32 s15, s12
	v_mov_b32_e32 v4, 33
	v_mov_b32_e32 v6, v5
	;; [unrolled: 1-line block ×3, first 2 shown]
	v_readfirstlane_b32 s10, v2
	v_readfirstlane_b32 s11, v3
	v_mov_b32_e32 v12, s12
	v_add_co_ci_u32_e32 v11, vcc_lo, 0, v3, vcc_lo
	v_mov_b32_e32 v13, s13
	v_mov_b32_e32 v14, s14
	;; [unrolled: 1-line block ×3, first 2 shown]
	global_store_dwordx4 v31, v[4:7], s[10:11]
	global_store_dwordx4 v31, v[12:15], s[10:11] offset:16
	global_store_dwordx4 v31, v[12:15], s[10:11] offset:32
	;; [unrolled: 1-line block ×3, first 2 shown]
	s_and_saveexec_b32 s5, s4
	s_cbranch_execz .LBB12_295
; %bb.288:
	v_mov_b32_e32 v6, 0
	v_mov_b32_e32 v12, s8
	v_mov_b32_e32 v13, s9
	s_clause 0x1
	global_load_dwordx2 v[14:15], v6, s[6:7] offset:32 glc dlc
	global_load_dwordx2 v[2:3], v6, s[6:7] offset:40
	s_waitcnt vmcnt(0)
	v_readfirstlane_b32 s10, v2
	v_readfirstlane_b32 s11, v3
	s_and_b64 s[10:11], s[10:11], s[8:9]
	s_mul_i32 s11, s11, 24
	s_mul_hi_u32 s12, s10, 24
	s_mul_i32 s10, s10, 24
	s_add_i32 s12, s12, s11
	v_add_co_u32 v4, vcc_lo, v0, s10
	v_add_co_ci_u32_e32 v5, vcc_lo, s12, v1, vcc_lo
	s_mov_b32 s10, exec_lo
	global_store_dwordx2 v[4:5], v[14:15], off
	s_waitcnt_vscnt null, 0x0
	global_atomic_cmpswap_x2 v[2:3], v6, v[12:15], s[6:7] offset:32 glc
	s_waitcnt vmcnt(0)
	v_cmpx_ne_u64_e64 v[2:3], v[14:15]
	s_cbranch_execz .LBB12_291
; %bb.289:
	s_mov_b32 s11, 0
.LBB12_290:                             ; =>This Inner Loop Header: Depth=1
	v_mov_b32_e32 v0, s8
	v_mov_b32_e32 v1, s9
	s_sleep 1
	global_store_dwordx2 v[4:5], v[2:3], off
	s_waitcnt_vscnt null, 0x0
	global_atomic_cmpswap_x2 v[0:1], v6, v[0:3], s[6:7] offset:32 glc
	s_waitcnt vmcnt(0)
	v_cmp_eq_u64_e32 vcc_lo, v[0:1], v[2:3]
	v_mov_b32_e32 v3, v1
	v_mov_b32_e32 v2, v0
	s_or_b32 s11, vcc_lo, s11
	s_andn2_b32 exec_lo, exec_lo, s11
	s_cbranch_execnz .LBB12_290
.LBB12_291:
	s_or_b32 exec_lo, exec_lo, s10
	v_mov_b32_e32 v3, 0
	s_mov_b32 s11, exec_lo
	s_mov_b32 s10, exec_lo
	v_mbcnt_lo_u32_b32 v2, s11, 0
	global_load_dwordx2 v[0:1], v3, s[6:7] offset:16
	v_cmpx_eq_u32_e32 0, v2
	s_cbranch_execz .LBB12_293
; %bb.292:
	s_bcnt1_i32_b32 s11, s11
	v_mov_b32_e32 v2, s11
	s_waitcnt vmcnt(0)
	global_atomic_add_x2 v[0:1], v[2:3], off offset:8
.LBB12_293:
	s_or_b32 exec_lo, exec_lo, s10
	s_waitcnt vmcnt(0)
	global_load_dwordx2 v[2:3], v[0:1], off offset:16
	s_waitcnt vmcnt(0)
	v_cmp_eq_u64_e32 vcc_lo, 0, v[2:3]
	s_cbranch_vccnz .LBB12_295
; %bb.294:
	global_load_dword v0, v[0:1], off offset:24
	v_mov_b32_e32 v1, 0
	s_waitcnt vmcnt(0)
	v_and_b32_e32 v4, 0x7fffff, v0
	s_waitcnt_vscnt null, 0x0
	global_store_dwordx2 v[2:3], v[0:1], off
	v_readfirstlane_b32 m0, v4
	s_sendmsg sendmsg(MSG_INTERRUPT)
.LBB12_295:
	s_or_b32 exec_lo, exec_lo, s5
	s_branch .LBB12_299
	.p2align	6
.LBB12_296:                             ;   in Loop: Header=BB12_299 Depth=1
	s_or_b32 exec_lo, exec_lo, s5
	v_readfirstlane_b32 s5, v0
	s_cmp_eq_u32 s5, 0
	s_cbranch_scc1 .LBB12_298
; %bb.297:                              ;   in Loop: Header=BB12_299 Depth=1
	s_sleep 1
	s_cbranch_execnz .LBB12_299
	s_branch .LBB12_301
	.p2align	6
.LBB12_298:
	s_branch .LBB12_301
.LBB12_299:                             ; =>This Inner Loop Header: Depth=1
	v_mov_b32_e32 v0, 1
	s_and_saveexec_b32 s5, s4
	s_cbranch_execz .LBB12_296
; %bb.300:                              ;   in Loop: Header=BB12_299 Depth=1
	global_load_dword v0, v[8:9], off offset:20 glc dlc
	s_waitcnt vmcnt(0)
	buffer_gl1_inv
	buffer_gl0_inv
	v_and_b32_e32 v0, 1, v0
	s_branch .LBB12_296
.LBB12_301:
	global_load_dwordx2 v[0:1], v[10:11], off
	s_and_saveexec_b32 s5, s4
	s_cbranch_execz .LBB12_305
; %bb.302:
	v_mov_b32_e32 v8, 0
	s_clause 0x2
	global_load_dwordx2 v[4:5], v8, s[6:7] offset:40
	global_load_dwordx2 v[9:10], v8, s[6:7] offset:24 glc dlc
	global_load_dwordx2 v[6:7], v8, s[6:7]
	s_waitcnt vmcnt(2)
	v_add_co_u32 v11, vcc_lo, v4, 1
	v_add_co_ci_u32_e32 v12, vcc_lo, 0, v5, vcc_lo
	v_add_co_u32 v2, vcc_lo, v11, s8
	v_add_co_ci_u32_e32 v3, vcc_lo, s9, v12, vcc_lo
	v_cmp_eq_u64_e32 vcc_lo, 0, v[2:3]
	v_cndmask_b32_e32 v3, v3, v12, vcc_lo
	v_cndmask_b32_e32 v2, v2, v11, vcc_lo
	v_and_b32_e32 v5, v3, v5
	v_and_b32_e32 v4, v2, v4
	v_mul_lo_u32 v5, v5, 24
	v_mul_hi_u32 v11, v4, 24
	v_mul_lo_u32 v4, v4, 24
	v_add_nc_u32_e32 v5, v11, v5
	s_waitcnt vmcnt(0)
	v_add_co_u32 v6, vcc_lo, v6, v4
	v_mov_b32_e32 v4, v9
	v_add_co_ci_u32_e32 v7, vcc_lo, v7, v5, vcc_lo
	v_mov_b32_e32 v5, v10
	global_store_dwordx2 v[6:7], v[9:10], off
	s_waitcnt_vscnt null, 0x0
	global_atomic_cmpswap_x2 v[4:5], v8, v[2:5], s[6:7] offset:24 glc
	s_waitcnt vmcnt(0)
	v_cmp_ne_u64_e32 vcc_lo, v[4:5], v[9:10]
	s_and_b32 exec_lo, exec_lo, vcc_lo
	s_cbranch_execz .LBB12_305
; %bb.303:
	s_mov_b32 s4, 0
.LBB12_304:                             ; =>This Inner Loop Header: Depth=1
	s_sleep 1
	global_store_dwordx2 v[6:7], v[4:5], off
	s_waitcnt_vscnt null, 0x0
	global_atomic_cmpswap_x2 v[9:10], v8, v[2:5], s[6:7] offset:24 glc
	s_waitcnt vmcnt(0)
	v_cmp_eq_u64_e32 vcc_lo, v[9:10], v[4:5]
	v_mov_b32_e32 v4, v9
	v_mov_b32_e32 v5, v10
	s_or_b32 s4, vcc_lo, s4
	s_andn2_b32 exec_lo, exec_lo, s4
	s_cbranch_execnz .LBB12_304
.LBB12_305:
	s_or_b32 exec_lo, exec_lo, s5
	s_getpc_b64 s[8:9]
	s_add_u32 s8, s8, .str.6@rel32@lo+4
	s_addc_u32 s9, s9, .str.6@rel32@hi+12
	s_cmp_lg_u64 s[8:9], 0
	s_cselect_b32 s19, -1, 0
	s_and_b32 vcc_lo, exec_lo, s19
	s_cbranch_vccz .LBB12_384
; %bb.306:
	s_waitcnt vmcnt(0)
	v_and_b32_e32 v33, 2, v0
	v_mov_b32_e32 v6, 0
	v_and_b32_e32 v2, -3, v0
	v_mov_b32_e32 v3, v1
	v_mov_b32_e32 v7, 2
	;; [unrolled: 1-line block ×3, first 2 shown]
	s_mov_b64 s[10:11], 3
	s_branch .LBB12_308
.LBB12_307:                             ;   in Loop: Header=BB12_308 Depth=1
	s_or_b32 exec_lo, exec_lo, s5
	s_sub_u32 s10, s10, s12
	s_subb_u32 s11, s11, s13
	s_add_u32 s8, s8, s12
	s_addc_u32 s9, s9, s13
	s_cmp_lg_u64 s[10:11], 0
	s_cbranch_scc0 .LBB12_383
.LBB12_308:                             ; =>This Loop Header: Depth=1
                                        ;     Child Loop BB12_317 Depth 2
                                        ;     Child Loop BB12_313 Depth 2
	;; [unrolled: 1-line block ×11, first 2 shown]
	v_cmp_lt_u64_e64 s4, s[10:11], 56
	v_cmp_gt_u64_e64 s5, s[10:11], 7
                                        ; implicit-def: $vgpr11_vgpr12
                                        ; implicit-def: $sgpr20
	s_and_b32 s4, s4, exec_lo
	s_cselect_b32 s13, s11, 0
	s_cselect_b32 s12, s10, 56
	s_and_b32 vcc_lo, exec_lo, s5
	s_mov_b32 s4, -1
	s_cbranch_vccz .LBB12_315
; %bb.309:                              ;   in Loop: Header=BB12_308 Depth=1
	s_andn2_b32 vcc_lo, exec_lo, s4
	s_mov_b64 s[4:5], s[8:9]
	s_cbranch_vccz .LBB12_319
.LBB12_310:                             ;   in Loop: Header=BB12_308 Depth=1
	s_cmp_gt_u32 s20, 7
	s_cbranch_scc1 .LBB12_320
.LBB12_311:                             ;   in Loop: Header=BB12_308 Depth=1
	v_mov_b32_e32 v13, 0
	v_mov_b32_e32 v14, 0
	s_cmp_eq_u32 s20, 0
	s_cbranch_scc1 .LBB12_314
; %bb.312:                              ;   in Loop: Header=BB12_308 Depth=1
	s_mov_b64 s[14:15], 0
	s_mov_b64 s[16:17], 0
.LBB12_313:                             ;   Parent Loop BB12_308 Depth=1
                                        ; =>  This Inner Loop Header: Depth=2
	s_add_u32 s22, s4, s16
	s_addc_u32 s23, s5, s17
	s_add_u32 s16, s16, 1
	global_load_ubyte v4, v6, s[22:23]
	s_addc_u32 s17, s17, 0
	s_waitcnt vmcnt(0)
	v_and_b32_e32 v5, 0xffff, v4
	v_lshlrev_b64 v[4:5], s14, v[5:6]
	s_add_u32 s14, s14, 8
	s_addc_u32 s15, s15, 0
	s_cmp_lg_u32 s20, s16
	v_or_b32_e32 v13, v4, v13
	v_or_b32_e32 v14, v5, v14
	s_cbranch_scc1 .LBB12_313
.LBB12_314:                             ;   in Loop: Header=BB12_308 Depth=1
	s_mov_b32 s21, 0
	s_cbranch_execz .LBB12_321
	s_branch .LBB12_322
.LBB12_315:                             ;   in Loop: Header=BB12_308 Depth=1
	v_mov_b32_e32 v11, 0
	v_mov_b32_e32 v12, 0
	s_cmp_eq_u64 s[10:11], 0
	s_mov_b64 s[4:5], 0
	s_cbranch_scc1 .LBB12_318
; %bb.316:                              ;   in Loop: Header=BB12_308 Depth=1
	v_mov_b32_e32 v11, 0
	v_mov_b32_e32 v12, 0
	s_lshl_b64 s[14:15], s[12:13], 3
	s_mov_b64 s[16:17], s[8:9]
.LBB12_317:                             ;   Parent Loop BB12_308 Depth=1
                                        ; =>  This Inner Loop Header: Depth=2
	global_load_ubyte v4, v6, s[16:17]
	s_waitcnt vmcnt(0)
	v_and_b32_e32 v5, 0xffff, v4
	v_lshlrev_b64 v[4:5], s4, v[5:6]
	s_add_u32 s4, s4, 8
	s_addc_u32 s5, s5, 0
	s_add_u32 s16, s16, 1
	s_addc_u32 s17, s17, 0
	s_cmp_lg_u32 s14, s4
	v_or_b32_e32 v11, v4, v11
	v_or_b32_e32 v12, v5, v12
	s_cbranch_scc1 .LBB12_317
.LBB12_318:                             ;   in Loop: Header=BB12_308 Depth=1
	s_mov_b32 s20, 0
	s_mov_b64 s[4:5], s[8:9]
	s_cbranch_execnz .LBB12_310
.LBB12_319:                             ;   in Loop: Header=BB12_308 Depth=1
	global_load_dwordx2 v[11:12], v6, s[8:9]
	s_add_i32 s20, s12, -8
	s_add_u32 s4, s8, 8
	s_addc_u32 s5, s9, 0
	s_cmp_gt_u32 s20, 7
	s_cbranch_scc0 .LBB12_311
.LBB12_320:                             ;   in Loop: Header=BB12_308 Depth=1
                                        ; implicit-def: $vgpr13_vgpr14
                                        ; implicit-def: $sgpr21
.LBB12_321:                             ;   in Loop: Header=BB12_308 Depth=1
	global_load_dwordx2 v[13:14], v6, s[4:5]
	s_add_i32 s21, s20, -8
	s_add_u32 s4, s4, 8
	s_addc_u32 s5, s5, 0
.LBB12_322:                             ;   in Loop: Header=BB12_308 Depth=1
	s_cmp_gt_u32 s21, 7
	s_cbranch_scc1 .LBB12_327
; %bb.323:                              ;   in Loop: Header=BB12_308 Depth=1
	v_mov_b32_e32 v15, 0
	v_mov_b32_e32 v16, 0
	s_cmp_eq_u32 s21, 0
	s_cbranch_scc1 .LBB12_326
; %bb.324:                              ;   in Loop: Header=BB12_308 Depth=1
	s_mov_b64 s[14:15], 0
	s_mov_b64 s[16:17], 0
.LBB12_325:                             ;   Parent Loop BB12_308 Depth=1
                                        ; =>  This Inner Loop Header: Depth=2
	s_add_u32 s22, s4, s16
	s_addc_u32 s23, s5, s17
	s_add_u32 s16, s16, 1
	global_load_ubyte v4, v6, s[22:23]
	s_addc_u32 s17, s17, 0
	s_waitcnt vmcnt(0)
	v_and_b32_e32 v5, 0xffff, v4
	v_lshlrev_b64 v[4:5], s14, v[5:6]
	s_add_u32 s14, s14, 8
	s_addc_u32 s15, s15, 0
	s_cmp_lg_u32 s21, s16
	v_or_b32_e32 v15, v4, v15
	v_or_b32_e32 v16, v5, v16
	s_cbranch_scc1 .LBB12_325
.LBB12_326:                             ;   in Loop: Header=BB12_308 Depth=1
	s_mov_b32 s20, 0
	s_cbranch_execz .LBB12_328
	s_branch .LBB12_329
.LBB12_327:                             ;   in Loop: Header=BB12_308 Depth=1
                                        ; implicit-def: $sgpr20
.LBB12_328:                             ;   in Loop: Header=BB12_308 Depth=1
	global_load_dwordx2 v[15:16], v6, s[4:5]
	s_add_i32 s20, s21, -8
	s_add_u32 s4, s4, 8
	s_addc_u32 s5, s5, 0
.LBB12_329:                             ;   in Loop: Header=BB12_308 Depth=1
	s_cmp_gt_u32 s20, 7
	s_cbranch_scc1 .LBB12_334
; %bb.330:                              ;   in Loop: Header=BB12_308 Depth=1
	v_mov_b32_e32 v17, 0
	v_mov_b32_e32 v18, 0
	s_cmp_eq_u32 s20, 0
	s_cbranch_scc1 .LBB12_333
; %bb.331:                              ;   in Loop: Header=BB12_308 Depth=1
	s_mov_b64 s[14:15], 0
	s_mov_b64 s[16:17], 0
.LBB12_332:                             ;   Parent Loop BB12_308 Depth=1
                                        ; =>  This Inner Loop Header: Depth=2
	s_add_u32 s22, s4, s16
	s_addc_u32 s23, s5, s17
	s_add_u32 s16, s16, 1
	global_load_ubyte v4, v6, s[22:23]
	s_addc_u32 s17, s17, 0
	s_waitcnt vmcnt(0)
	v_and_b32_e32 v5, 0xffff, v4
	v_lshlrev_b64 v[4:5], s14, v[5:6]
	s_add_u32 s14, s14, 8
	s_addc_u32 s15, s15, 0
	s_cmp_lg_u32 s20, s16
	v_or_b32_e32 v17, v4, v17
	v_or_b32_e32 v18, v5, v18
	s_cbranch_scc1 .LBB12_332
.LBB12_333:                             ;   in Loop: Header=BB12_308 Depth=1
	s_mov_b32 s21, 0
	s_cbranch_execz .LBB12_335
	s_branch .LBB12_336
.LBB12_334:                             ;   in Loop: Header=BB12_308 Depth=1
                                        ; implicit-def: $vgpr17_vgpr18
                                        ; implicit-def: $sgpr21
.LBB12_335:                             ;   in Loop: Header=BB12_308 Depth=1
	global_load_dwordx2 v[17:18], v6, s[4:5]
	s_add_i32 s21, s20, -8
	s_add_u32 s4, s4, 8
	s_addc_u32 s5, s5, 0
.LBB12_336:                             ;   in Loop: Header=BB12_308 Depth=1
	s_cmp_gt_u32 s21, 7
	s_cbranch_scc1 .LBB12_341
; %bb.337:                              ;   in Loop: Header=BB12_308 Depth=1
	v_mov_b32_e32 v19, 0
	v_mov_b32_e32 v20, 0
	s_cmp_eq_u32 s21, 0
	s_cbranch_scc1 .LBB12_340
; %bb.338:                              ;   in Loop: Header=BB12_308 Depth=1
	s_mov_b64 s[14:15], 0
	s_mov_b64 s[16:17], 0
.LBB12_339:                             ;   Parent Loop BB12_308 Depth=1
                                        ; =>  This Inner Loop Header: Depth=2
	s_add_u32 s22, s4, s16
	s_addc_u32 s23, s5, s17
	s_add_u32 s16, s16, 1
	global_load_ubyte v4, v6, s[22:23]
	s_addc_u32 s17, s17, 0
	s_waitcnt vmcnt(0)
	v_and_b32_e32 v5, 0xffff, v4
	v_lshlrev_b64 v[4:5], s14, v[5:6]
	s_add_u32 s14, s14, 8
	s_addc_u32 s15, s15, 0
	s_cmp_lg_u32 s21, s16
	v_or_b32_e32 v19, v4, v19
	v_or_b32_e32 v20, v5, v20
	s_cbranch_scc1 .LBB12_339
.LBB12_340:                             ;   in Loop: Header=BB12_308 Depth=1
	s_mov_b32 s20, 0
	s_cbranch_execz .LBB12_342
	s_branch .LBB12_343
.LBB12_341:                             ;   in Loop: Header=BB12_308 Depth=1
                                        ; implicit-def: $sgpr20
.LBB12_342:                             ;   in Loop: Header=BB12_308 Depth=1
	global_load_dwordx2 v[19:20], v6, s[4:5]
	s_add_i32 s20, s21, -8
	s_add_u32 s4, s4, 8
	s_addc_u32 s5, s5, 0
.LBB12_343:                             ;   in Loop: Header=BB12_308 Depth=1
	s_cmp_gt_u32 s20, 7
	s_cbranch_scc1 .LBB12_348
; %bb.344:                              ;   in Loop: Header=BB12_308 Depth=1
	v_mov_b32_e32 v21, 0
	v_mov_b32_e32 v22, 0
	s_cmp_eq_u32 s20, 0
	s_cbranch_scc1 .LBB12_347
; %bb.345:                              ;   in Loop: Header=BB12_308 Depth=1
	s_mov_b64 s[14:15], 0
	s_mov_b64 s[16:17], 0
.LBB12_346:                             ;   Parent Loop BB12_308 Depth=1
                                        ; =>  This Inner Loop Header: Depth=2
	s_add_u32 s22, s4, s16
	s_addc_u32 s23, s5, s17
	s_add_u32 s16, s16, 1
	global_load_ubyte v4, v6, s[22:23]
	s_addc_u32 s17, s17, 0
	s_waitcnt vmcnt(0)
	v_and_b32_e32 v5, 0xffff, v4
	v_lshlrev_b64 v[4:5], s14, v[5:6]
	s_add_u32 s14, s14, 8
	s_addc_u32 s15, s15, 0
	s_cmp_lg_u32 s20, s16
	v_or_b32_e32 v21, v4, v21
	v_or_b32_e32 v22, v5, v22
	s_cbranch_scc1 .LBB12_346
.LBB12_347:                             ;   in Loop: Header=BB12_308 Depth=1
	s_mov_b32 s21, 0
	s_cbranch_execz .LBB12_349
	s_branch .LBB12_350
.LBB12_348:                             ;   in Loop: Header=BB12_308 Depth=1
                                        ; implicit-def: $vgpr21_vgpr22
                                        ; implicit-def: $sgpr21
.LBB12_349:                             ;   in Loop: Header=BB12_308 Depth=1
	global_load_dwordx2 v[21:22], v6, s[4:5]
	s_add_i32 s21, s20, -8
	s_add_u32 s4, s4, 8
	s_addc_u32 s5, s5, 0
.LBB12_350:                             ;   in Loop: Header=BB12_308 Depth=1
	s_cmp_gt_u32 s21, 7
	s_cbranch_scc1 .LBB12_355
; %bb.351:                              ;   in Loop: Header=BB12_308 Depth=1
	v_mov_b32_e32 v23, 0
	v_mov_b32_e32 v24, 0
	s_cmp_eq_u32 s21, 0
	s_cbranch_scc1 .LBB12_354
; %bb.352:                              ;   in Loop: Header=BB12_308 Depth=1
	s_mov_b64 s[14:15], 0
	s_mov_b64 s[16:17], s[4:5]
.LBB12_353:                             ;   Parent Loop BB12_308 Depth=1
                                        ; =>  This Inner Loop Header: Depth=2
	global_load_ubyte v4, v6, s[16:17]
	s_add_i32 s21, s21, -1
	s_waitcnt vmcnt(0)
	v_and_b32_e32 v5, 0xffff, v4
	v_lshlrev_b64 v[4:5], s14, v[5:6]
	s_add_u32 s14, s14, 8
	s_addc_u32 s15, s15, 0
	s_add_u32 s16, s16, 1
	s_addc_u32 s17, s17, 0
	s_cmp_lg_u32 s21, 0
	v_or_b32_e32 v23, v4, v23
	v_or_b32_e32 v24, v5, v24
	s_cbranch_scc1 .LBB12_353
.LBB12_354:                             ;   in Loop: Header=BB12_308 Depth=1
	s_cbranch_execz .LBB12_356
	s_branch .LBB12_357
.LBB12_355:                             ;   in Loop: Header=BB12_308 Depth=1
.LBB12_356:                             ;   in Loop: Header=BB12_308 Depth=1
	global_load_dwordx2 v[23:24], v6, s[4:5]
.LBB12_357:                             ;   in Loop: Header=BB12_308 Depth=1
	v_readfirstlane_b32 s4, v32
	s_waitcnt vmcnt(0)
	v_mov_b32_e32 v4, 0
	v_mov_b32_e32 v5, 0
	v_cmp_eq_u32_e64 s4, s4, v32
	s_and_saveexec_b32 s5, s4
	s_cbranch_execz .LBB12_363
; %bb.358:                              ;   in Loop: Header=BB12_308 Depth=1
	global_load_dwordx2 v[27:28], v6, s[6:7] offset:24 glc dlc
	s_waitcnt vmcnt(0)
	buffer_gl1_inv
	buffer_gl0_inv
	s_clause 0x1
	global_load_dwordx2 v[4:5], v6, s[6:7] offset:40
	global_load_dwordx2 v[9:10], v6, s[6:7]
	s_mov_b32 s14, exec_lo
	s_waitcnt vmcnt(1)
	v_and_b32_e32 v5, v5, v28
	v_and_b32_e32 v4, v4, v27
	v_mul_lo_u32 v5, v5, 24
	v_mul_hi_u32 v25, v4, 24
	v_mul_lo_u32 v4, v4, 24
	v_add_nc_u32_e32 v5, v25, v5
	s_waitcnt vmcnt(0)
	v_add_co_u32 v4, vcc_lo, v9, v4
	v_add_co_ci_u32_e32 v5, vcc_lo, v10, v5, vcc_lo
	global_load_dwordx2 v[25:26], v[4:5], off glc dlc
	s_waitcnt vmcnt(0)
	global_atomic_cmpswap_x2 v[4:5], v6, v[25:28], s[6:7] offset:24 glc
	s_waitcnt vmcnt(0)
	buffer_gl1_inv
	buffer_gl0_inv
	v_cmpx_ne_u64_e64 v[4:5], v[27:28]
	s_cbranch_execz .LBB12_362
; %bb.359:                              ;   in Loop: Header=BB12_308 Depth=1
	s_mov_b32 s15, 0
	.p2align	6
.LBB12_360:                             ;   Parent Loop BB12_308 Depth=1
                                        ; =>  This Inner Loop Header: Depth=2
	s_sleep 1
	s_clause 0x1
	global_load_dwordx2 v[9:10], v6, s[6:7] offset:40
	global_load_dwordx2 v[25:26], v6, s[6:7]
	v_mov_b32_e32 v28, v5
	v_mov_b32_e32 v27, v4
	s_waitcnt vmcnt(1)
	v_and_b32_e32 v4, v9, v27
	v_and_b32_e32 v9, v10, v28
	s_waitcnt vmcnt(0)
	v_mad_u64_u32 v[4:5], null, v4, 24, v[25:26]
	v_mad_u64_u32 v[9:10], null, v9, 24, v[5:6]
	v_mov_b32_e32 v5, v9
	global_load_dwordx2 v[25:26], v[4:5], off glc dlc
	s_waitcnt vmcnt(0)
	global_atomic_cmpswap_x2 v[4:5], v6, v[25:28], s[6:7] offset:24 glc
	s_waitcnt vmcnt(0)
	buffer_gl1_inv
	buffer_gl0_inv
	v_cmp_eq_u64_e32 vcc_lo, v[4:5], v[27:28]
	s_or_b32 s15, vcc_lo, s15
	s_andn2_b32 exec_lo, exec_lo, s15
	s_cbranch_execnz .LBB12_360
; %bb.361:                              ;   in Loop: Header=BB12_308 Depth=1
	s_or_b32 exec_lo, exec_lo, s15
.LBB12_362:                             ;   in Loop: Header=BB12_308 Depth=1
	s_or_b32 exec_lo, exec_lo, s14
.LBB12_363:                             ;   in Loop: Header=BB12_308 Depth=1
	s_or_b32 exec_lo, exec_lo, s5
	s_clause 0x1
	global_load_dwordx2 v[9:10], v6, s[6:7] offset:40
	global_load_dwordx4 v[25:28], v6, s[6:7]
	v_readfirstlane_b32 s14, v4
	v_readfirstlane_b32 s15, v5
	s_mov_b32 s5, exec_lo
	s_waitcnt vmcnt(1)
	v_readfirstlane_b32 s16, v9
	v_readfirstlane_b32 s17, v10
	s_and_b64 s[16:17], s[14:15], s[16:17]
	s_mul_i32 s20, s17, 24
	s_mul_hi_u32 s21, s16, 24
	s_mul_i32 s22, s16, 24
	s_add_i32 s21, s21, s20
	s_waitcnt vmcnt(0)
	v_add_co_u32 v29, vcc_lo, v25, s22
	v_add_co_ci_u32_e32 v30, vcc_lo, s21, v26, vcc_lo
	s_and_saveexec_b32 s20, s4
	s_cbranch_execz .LBB12_365
; %bb.364:                              ;   in Loop: Header=BB12_308 Depth=1
	v_mov_b32_e32 v5, s5
	global_store_dwordx4 v[29:30], v[5:8], off offset:8
.LBB12_365:                             ;   in Loop: Header=BB12_308 Depth=1
	s_or_b32 exec_lo, exec_lo, s20
	s_lshl_b64 s[16:17], s[16:17], 12
	v_cmp_gt_u64_e64 vcc_lo, s[10:11], 56
	v_or_b32_e32 v5, v2, v33
	v_add_co_u32 v27, s5, v27, s16
	v_add_co_ci_u32_e64 v28, s5, s17, v28, s5
	s_lshl_b32 s5, s12, 2
	v_or_b32_e32 v4, 0, v3
	v_cndmask_b32_e32 v2, v5, v2, vcc_lo
	s_add_i32 s5, s5, 28
	v_readfirstlane_b32 s16, v27
	s_and_b32 s5, s5, 0x1e0
	v_cndmask_b32_e32 v10, v4, v3, vcc_lo
	v_readfirstlane_b32 s17, v28
	v_and_or_b32 v9, 0xffffff1f, v2, s5
	global_store_dwordx4 v31, v[9:12], s[16:17]
	global_store_dwordx4 v31, v[13:16], s[16:17] offset:16
	global_store_dwordx4 v31, v[17:20], s[16:17] offset:32
	;; [unrolled: 1-line block ×3, first 2 shown]
	s_and_saveexec_b32 s5, s4
	s_cbranch_execz .LBB12_373
; %bb.366:                              ;   in Loop: Header=BB12_308 Depth=1
	s_clause 0x1
	global_load_dwordx2 v[13:14], v6, s[6:7] offset:32 glc dlc
	global_load_dwordx2 v[2:3], v6, s[6:7] offset:40
	v_mov_b32_e32 v11, s14
	v_mov_b32_e32 v12, s15
	s_waitcnt vmcnt(0)
	v_readfirstlane_b32 s16, v2
	v_readfirstlane_b32 s17, v3
	s_and_b64 s[16:17], s[16:17], s[14:15]
	s_mul_i32 s17, s17, 24
	s_mul_hi_u32 s20, s16, 24
	s_mul_i32 s16, s16, 24
	s_add_i32 s20, s20, s17
	v_add_co_u32 v9, vcc_lo, v25, s16
	v_add_co_ci_u32_e32 v10, vcc_lo, s20, v26, vcc_lo
	s_mov_b32 s16, exec_lo
	global_store_dwordx2 v[9:10], v[13:14], off
	s_waitcnt_vscnt null, 0x0
	global_atomic_cmpswap_x2 v[4:5], v6, v[11:14], s[6:7] offset:32 glc
	s_waitcnt vmcnt(0)
	v_cmpx_ne_u64_e64 v[4:5], v[13:14]
	s_cbranch_execz .LBB12_369
; %bb.367:                              ;   in Loop: Header=BB12_308 Depth=1
	s_mov_b32 s17, 0
.LBB12_368:                             ;   Parent Loop BB12_308 Depth=1
                                        ; =>  This Inner Loop Header: Depth=2
	v_mov_b32_e32 v2, s14
	v_mov_b32_e32 v3, s15
	s_sleep 1
	global_store_dwordx2 v[9:10], v[4:5], off
	s_waitcnt_vscnt null, 0x0
	global_atomic_cmpswap_x2 v[2:3], v6, v[2:5], s[6:7] offset:32 glc
	s_waitcnt vmcnt(0)
	v_cmp_eq_u64_e32 vcc_lo, v[2:3], v[4:5]
	v_mov_b32_e32 v5, v3
	v_mov_b32_e32 v4, v2
	s_or_b32 s17, vcc_lo, s17
	s_andn2_b32 exec_lo, exec_lo, s17
	s_cbranch_execnz .LBB12_368
.LBB12_369:                             ;   in Loop: Header=BB12_308 Depth=1
	s_or_b32 exec_lo, exec_lo, s16
	global_load_dwordx2 v[2:3], v6, s[6:7] offset:16
	s_mov_b32 s17, exec_lo
	s_mov_b32 s16, exec_lo
	v_mbcnt_lo_u32_b32 v4, s17, 0
	v_cmpx_eq_u32_e32 0, v4
	s_cbranch_execz .LBB12_371
; %bb.370:                              ;   in Loop: Header=BB12_308 Depth=1
	s_bcnt1_i32_b32 s17, s17
	v_mov_b32_e32 v5, s17
	s_waitcnt vmcnt(0)
	global_atomic_add_x2 v[2:3], v[5:6], off offset:8
.LBB12_371:                             ;   in Loop: Header=BB12_308 Depth=1
	s_or_b32 exec_lo, exec_lo, s16
	s_waitcnt vmcnt(0)
	global_load_dwordx2 v[9:10], v[2:3], off offset:16
	s_waitcnt vmcnt(0)
	v_cmp_eq_u64_e32 vcc_lo, 0, v[9:10]
	s_cbranch_vccnz .LBB12_373
; %bb.372:                              ;   in Loop: Header=BB12_308 Depth=1
	global_load_dword v5, v[2:3], off offset:24
	s_waitcnt vmcnt(0)
	v_and_b32_e32 v2, 0x7fffff, v5
	s_waitcnt_vscnt null, 0x0
	global_store_dwordx2 v[9:10], v[5:6], off
	v_readfirstlane_b32 m0, v2
	s_sendmsg sendmsg(MSG_INTERRUPT)
.LBB12_373:                             ;   in Loop: Header=BB12_308 Depth=1
	s_or_b32 exec_lo, exec_lo, s5
	v_add_co_u32 v2, vcc_lo, v27, v31
	v_add_co_ci_u32_e32 v3, vcc_lo, 0, v28, vcc_lo
	s_branch .LBB12_377
	.p2align	6
.LBB12_374:                             ;   in Loop: Header=BB12_377 Depth=2
	s_or_b32 exec_lo, exec_lo, s5
	v_readfirstlane_b32 s5, v4
	s_cmp_eq_u32 s5, 0
	s_cbranch_scc1 .LBB12_376
; %bb.375:                              ;   in Loop: Header=BB12_377 Depth=2
	s_sleep 1
	s_cbranch_execnz .LBB12_377
	s_branch .LBB12_379
	.p2align	6
.LBB12_376:                             ;   in Loop: Header=BB12_308 Depth=1
	s_branch .LBB12_379
.LBB12_377:                             ;   Parent Loop BB12_308 Depth=1
                                        ; =>  This Inner Loop Header: Depth=2
	v_mov_b32_e32 v4, 1
	s_and_saveexec_b32 s5, s4
	s_cbranch_execz .LBB12_374
; %bb.378:                              ;   in Loop: Header=BB12_377 Depth=2
	global_load_dword v4, v[29:30], off offset:20 glc dlc
	s_waitcnt vmcnt(0)
	buffer_gl1_inv
	buffer_gl0_inv
	v_and_b32_e32 v4, 1, v4
	s_branch .LBB12_374
.LBB12_379:                             ;   in Loop: Header=BB12_308 Depth=1
	global_load_dwordx4 v[2:5], v[2:3], off
	s_and_saveexec_b32 s5, s4
	s_cbranch_execz .LBB12_307
; %bb.380:                              ;   in Loop: Header=BB12_308 Depth=1
	s_clause 0x2
	global_load_dwordx2 v[4:5], v6, s[6:7] offset:40
	global_load_dwordx2 v[13:14], v6, s[6:7] offset:24 glc dlc
	global_load_dwordx2 v[11:12], v6, s[6:7]
	s_waitcnt vmcnt(2)
	v_add_co_u32 v15, vcc_lo, v4, 1
	v_add_co_ci_u32_e32 v16, vcc_lo, 0, v5, vcc_lo
	v_add_co_u32 v9, vcc_lo, v15, s14
	v_add_co_ci_u32_e32 v10, vcc_lo, s15, v16, vcc_lo
	v_cmp_eq_u64_e32 vcc_lo, 0, v[9:10]
	v_cndmask_b32_e32 v10, v10, v16, vcc_lo
	v_cndmask_b32_e32 v9, v9, v15, vcc_lo
	v_and_b32_e32 v5, v10, v5
	v_and_b32_e32 v4, v9, v4
	v_mul_lo_u32 v5, v5, 24
	v_mul_hi_u32 v15, v4, 24
	v_mul_lo_u32 v4, v4, 24
	v_add_nc_u32_e32 v5, v15, v5
	s_waitcnt vmcnt(0)
	v_add_co_u32 v4, vcc_lo, v11, v4
	v_mov_b32_e32 v11, v13
	v_add_co_ci_u32_e32 v5, vcc_lo, v12, v5, vcc_lo
	v_mov_b32_e32 v12, v14
	global_store_dwordx2 v[4:5], v[13:14], off
	s_waitcnt_vscnt null, 0x0
	global_atomic_cmpswap_x2 v[11:12], v6, v[9:12], s[6:7] offset:24 glc
	s_waitcnt vmcnt(0)
	v_cmp_ne_u64_e32 vcc_lo, v[11:12], v[13:14]
	s_and_b32 exec_lo, exec_lo, vcc_lo
	s_cbranch_execz .LBB12_307
; %bb.381:                              ;   in Loop: Header=BB12_308 Depth=1
	s_mov_b32 s4, 0
.LBB12_382:                             ;   Parent Loop BB12_308 Depth=1
                                        ; =>  This Inner Loop Header: Depth=2
	s_sleep 1
	global_store_dwordx2 v[4:5], v[11:12], off
	s_waitcnt_vscnt null, 0x0
	global_atomic_cmpswap_x2 v[13:14], v6, v[9:12], s[6:7] offset:24 glc
	s_waitcnt vmcnt(0)
	v_cmp_eq_u64_e32 vcc_lo, v[13:14], v[11:12]
	v_mov_b32_e32 v11, v13
	v_mov_b32_e32 v12, v14
	s_or_b32 s4, vcc_lo, s4
	s_andn2_b32 exec_lo, exec_lo, s4
	s_cbranch_execnz .LBB12_382
	s_branch .LBB12_307
.LBB12_383:
	s_mov_b32 s4, 0
	s_branch .LBB12_385
.LBB12_384:
	s_mov_b32 s4, -1
                                        ; implicit-def: $vgpr2_vgpr3
.LBB12_385:
	s_and_b32 vcc_lo, exec_lo, s4
	s_cbranch_vccz .LBB12_413
; %bb.386:
	v_readfirstlane_b32 s4, v32
	v_mov_b32_e32 v8, 0
	v_mov_b32_e32 v9, 0
	v_cmp_eq_u32_e64 s4, s4, v32
	s_and_saveexec_b32 s5, s4
	s_cbranch_execz .LBB12_392
; %bb.387:
	s_waitcnt vmcnt(0)
	v_mov_b32_e32 v2, 0
	s_mov_b32 s8, exec_lo
	global_load_dwordx2 v[5:6], v2, s[6:7] offset:24 glc dlc
	s_waitcnt vmcnt(0)
	buffer_gl1_inv
	buffer_gl0_inv
	s_clause 0x1
	global_load_dwordx2 v[3:4], v2, s[6:7] offset:40
	global_load_dwordx2 v[7:8], v2, s[6:7]
	s_waitcnt vmcnt(1)
	v_and_b32_e32 v4, v4, v6
	v_and_b32_e32 v3, v3, v5
	v_mul_lo_u32 v4, v4, 24
	v_mul_hi_u32 v9, v3, 24
	v_mul_lo_u32 v3, v3, 24
	v_add_nc_u32_e32 v4, v9, v4
	s_waitcnt vmcnt(0)
	v_add_co_u32 v3, vcc_lo, v7, v3
	v_add_co_ci_u32_e32 v4, vcc_lo, v8, v4, vcc_lo
	global_load_dwordx2 v[3:4], v[3:4], off glc dlc
	s_waitcnt vmcnt(0)
	global_atomic_cmpswap_x2 v[8:9], v2, v[3:6], s[6:7] offset:24 glc
	s_waitcnt vmcnt(0)
	buffer_gl1_inv
	buffer_gl0_inv
	v_cmpx_ne_u64_e64 v[8:9], v[5:6]
	s_cbranch_execz .LBB12_391
; %bb.388:
	s_mov_b32 s9, 0
.LBB12_389:                             ; =>This Inner Loop Header: Depth=1
	s_sleep 1
	s_clause 0x1
	global_load_dwordx2 v[3:4], v2, s[6:7] offset:40
	global_load_dwordx2 v[10:11], v2, s[6:7]
	v_mov_b32_e32 v5, v8
	v_mov_b32_e32 v6, v9
	s_waitcnt vmcnt(1)
	v_and_b32_e32 v3, v3, v5
	v_and_b32_e32 v4, v4, v6
	s_waitcnt vmcnt(0)
	v_mad_u64_u32 v[7:8], null, v3, 24, v[10:11]
	v_mov_b32_e32 v3, v8
	v_mad_u64_u32 v[3:4], null, v4, 24, v[3:4]
	v_mov_b32_e32 v8, v3
	global_load_dwordx2 v[3:4], v[7:8], off glc dlc
	s_waitcnt vmcnt(0)
	global_atomic_cmpswap_x2 v[8:9], v2, v[3:6], s[6:7] offset:24 glc
	s_waitcnt vmcnt(0)
	buffer_gl1_inv
	buffer_gl0_inv
	v_cmp_eq_u64_e32 vcc_lo, v[8:9], v[5:6]
	s_or_b32 s9, vcc_lo, s9
	s_andn2_b32 exec_lo, exec_lo, s9
	s_cbranch_execnz .LBB12_389
; %bb.390:
	s_or_b32 exec_lo, exec_lo, s9
.LBB12_391:
	s_or_b32 exec_lo, exec_lo, s8
.LBB12_392:
	s_or_b32 exec_lo, exec_lo, s5
	s_waitcnt vmcnt(0)
	v_mov_b32_e32 v2, 0
	v_readfirstlane_b32 s8, v8
	v_readfirstlane_b32 s9, v9
	s_mov_b32 s5, exec_lo
	s_clause 0x1
	global_load_dwordx2 v[10:11], v2, s[6:7] offset:40
	global_load_dwordx4 v[4:7], v2, s[6:7]
	s_waitcnt vmcnt(1)
	v_readfirstlane_b32 s10, v10
	v_readfirstlane_b32 s11, v11
	s_and_b64 s[10:11], s[8:9], s[10:11]
	s_mul_i32 s12, s11, 24
	s_mul_hi_u32 s13, s10, 24
	s_mul_i32 s14, s10, 24
	s_add_i32 s13, s13, s12
	s_waitcnt vmcnt(0)
	v_add_co_u32 v8, vcc_lo, v4, s14
	v_add_co_ci_u32_e32 v9, vcc_lo, s13, v5, vcc_lo
	s_and_saveexec_b32 s12, s4
	s_cbranch_execz .LBB12_394
; %bb.393:
	v_mov_b32_e32 v10, s5
	v_mov_b32_e32 v11, v2
	;; [unrolled: 1-line block ×4, first 2 shown]
	global_store_dwordx4 v[8:9], v[10:13], off offset:8
.LBB12_394:
	s_or_b32 exec_lo, exec_lo, s12
	s_lshl_b64 s[10:11], s[10:11], 12
	s_mov_b32 s12, 0
	v_add_co_u32 v6, vcc_lo, v6, s10
	v_add_co_ci_u32_e32 v7, vcc_lo, s11, v7, vcc_lo
	s_mov_b32 s13, s12
	v_readfirstlane_b32 s10, v6
	v_add_co_u32 v6, vcc_lo, v6, v31
	s_mov_b32 s14, s12
	s_mov_b32 s15, s12
	v_and_or_b32 v0, 0xffffff1f, v0, 32
	v_mov_b32_e32 v3, v2
	v_readfirstlane_b32 s11, v7
	v_mov_b32_e32 v10, s12
	v_add_co_ci_u32_e32 v7, vcc_lo, 0, v7, vcc_lo
	v_mov_b32_e32 v11, s13
	v_mov_b32_e32 v12, s14
	;; [unrolled: 1-line block ×3, first 2 shown]
	global_store_dwordx4 v31, v[0:3], s[10:11]
	global_store_dwordx4 v31, v[10:13], s[10:11] offset:16
	global_store_dwordx4 v31, v[10:13], s[10:11] offset:32
	;; [unrolled: 1-line block ×3, first 2 shown]
	s_and_saveexec_b32 s5, s4
	s_cbranch_execz .LBB12_402
; %bb.395:
	v_mov_b32_e32 v10, 0
	v_mov_b32_e32 v11, s8
	v_mov_b32_e32 v12, s9
	s_clause 0x1
	global_load_dwordx2 v[13:14], v10, s[6:7] offset:32 glc dlc
	global_load_dwordx2 v[0:1], v10, s[6:7] offset:40
	s_waitcnt vmcnt(0)
	v_readfirstlane_b32 s10, v0
	v_readfirstlane_b32 s11, v1
	s_and_b64 s[10:11], s[10:11], s[8:9]
	s_mul_i32 s11, s11, 24
	s_mul_hi_u32 s12, s10, 24
	s_mul_i32 s10, s10, 24
	s_add_i32 s12, s12, s11
	v_add_co_u32 v4, vcc_lo, v4, s10
	v_add_co_ci_u32_e32 v5, vcc_lo, s12, v5, vcc_lo
	s_mov_b32 s10, exec_lo
	global_store_dwordx2 v[4:5], v[13:14], off
	s_waitcnt_vscnt null, 0x0
	global_atomic_cmpswap_x2 v[2:3], v10, v[11:14], s[6:7] offset:32 glc
	s_waitcnt vmcnt(0)
	v_cmpx_ne_u64_e64 v[2:3], v[13:14]
	s_cbranch_execz .LBB12_398
; %bb.396:
	s_mov_b32 s11, 0
.LBB12_397:                             ; =>This Inner Loop Header: Depth=1
	v_mov_b32_e32 v0, s8
	v_mov_b32_e32 v1, s9
	s_sleep 1
	global_store_dwordx2 v[4:5], v[2:3], off
	s_waitcnt_vscnt null, 0x0
	global_atomic_cmpswap_x2 v[0:1], v10, v[0:3], s[6:7] offset:32 glc
	s_waitcnt vmcnt(0)
	v_cmp_eq_u64_e32 vcc_lo, v[0:1], v[2:3]
	v_mov_b32_e32 v3, v1
	v_mov_b32_e32 v2, v0
	s_or_b32 s11, vcc_lo, s11
	s_andn2_b32 exec_lo, exec_lo, s11
	s_cbranch_execnz .LBB12_397
.LBB12_398:
	s_or_b32 exec_lo, exec_lo, s10
	v_mov_b32_e32 v3, 0
	s_mov_b32 s11, exec_lo
	s_mov_b32 s10, exec_lo
	v_mbcnt_lo_u32_b32 v2, s11, 0
	global_load_dwordx2 v[0:1], v3, s[6:7] offset:16
	v_cmpx_eq_u32_e32 0, v2
	s_cbranch_execz .LBB12_400
; %bb.399:
	s_bcnt1_i32_b32 s11, s11
	v_mov_b32_e32 v2, s11
	s_waitcnt vmcnt(0)
	global_atomic_add_x2 v[0:1], v[2:3], off offset:8
.LBB12_400:
	s_or_b32 exec_lo, exec_lo, s10
	s_waitcnt vmcnt(0)
	global_load_dwordx2 v[2:3], v[0:1], off offset:16
	s_waitcnt vmcnt(0)
	v_cmp_eq_u64_e32 vcc_lo, 0, v[2:3]
	s_cbranch_vccnz .LBB12_402
; %bb.401:
	global_load_dword v0, v[0:1], off offset:24
	v_mov_b32_e32 v1, 0
	s_waitcnt vmcnt(0)
	v_and_b32_e32 v4, 0x7fffff, v0
	s_waitcnt_vscnt null, 0x0
	global_store_dwordx2 v[2:3], v[0:1], off
	v_readfirstlane_b32 m0, v4
	s_sendmsg sendmsg(MSG_INTERRUPT)
.LBB12_402:
	s_or_b32 exec_lo, exec_lo, s5
	s_branch .LBB12_406
	.p2align	6
.LBB12_403:                             ;   in Loop: Header=BB12_406 Depth=1
	s_or_b32 exec_lo, exec_lo, s5
	v_readfirstlane_b32 s5, v0
	s_cmp_eq_u32 s5, 0
	s_cbranch_scc1 .LBB12_405
; %bb.404:                              ;   in Loop: Header=BB12_406 Depth=1
	s_sleep 1
	s_cbranch_execnz .LBB12_406
	s_branch .LBB12_408
.LBB12_405:
	s_branch .LBB12_408
.LBB12_406:                             ; =>This Inner Loop Header: Depth=1
	v_mov_b32_e32 v0, 1
	s_and_saveexec_b32 s5, s4
	s_cbranch_execz .LBB12_403
; %bb.407:                              ;   in Loop: Header=BB12_406 Depth=1
	global_load_dword v0, v[8:9], off offset:20 glc dlc
	s_waitcnt vmcnt(0)
	buffer_gl1_inv
	buffer_gl0_inv
	v_and_b32_e32 v0, 1, v0
	s_branch .LBB12_403
.LBB12_408:
	global_load_dwordx2 v[2:3], v[6:7], off
	s_and_saveexec_b32 s5, s4
	s_cbranch_execz .LBB12_412
; %bb.409:
	v_mov_b32_e32 v8, 0
	s_clause 0x2
	global_load_dwordx2 v[0:1], v8, s[6:7] offset:40
	global_load_dwordx2 v[9:10], v8, s[6:7] offset:24 glc dlc
	global_load_dwordx2 v[6:7], v8, s[6:7]
	s_waitcnt vmcnt(2)
	v_add_co_u32 v11, vcc_lo, v0, 1
	v_add_co_ci_u32_e32 v12, vcc_lo, 0, v1, vcc_lo
	v_add_co_u32 v4, vcc_lo, v11, s8
	v_add_co_ci_u32_e32 v5, vcc_lo, s9, v12, vcc_lo
	v_cmp_eq_u64_e32 vcc_lo, 0, v[4:5]
	v_cndmask_b32_e32 v5, v5, v12, vcc_lo
	v_cndmask_b32_e32 v4, v4, v11, vcc_lo
	v_and_b32_e32 v1, v5, v1
	v_and_b32_e32 v0, v4, v0
	v_mul_lo_u32 v1, v1, 24
	v_mul_hi_u32 v11, v0, 24
	v_mul_lo_u32 v0, v0, 24
	v_add_nc_u32_e32 v1, v11, v1
	s_waitcnt vmcnt(0)
	v_add_co_u32 v0, vcc_lo, v6, v0
	v_mov_b32_e32 v6, v9
	v_add_co_ci_u32_e32 v1, vcc_lo, v7, v1, vcc_lo
	v_mov_b32_e32 v7, v10
	global_store_dwordx2 v[0:1], v[9:10], off
	s_waitcnt_vscnt null, 0x0
	global_atomic_cmpswap_x2 v[6:7], v8, v[4:7], s[6:7] offset:24 glc
	s_waitcnt vmcnt(0)
	v_cmp_ne_u64_e32 vcc_lo, v[6:7], v[9:10]
	s_and_b32 exec_lo, exec_lo, vcc_lo
	s_cbranch_execz .LBB12_412
; %bb.410:
	s_mov_b32 s4, 0
.LBB12_411:                             ; =>This Inner Loop Header: Depth=1
	s_sleep 1
	global_store_dwordx2 v[0:1], v[6:7], off
	s_waitcnt_vscnt null, 0x0
	global_atomic_cmpswap_x2 v[9:10], v8, v[4:7], s[6:7] offset:24 glc
	s_waitcnt vmcnt(0)
	v_cmp_eq_u64_e32 vcc_lo, v[9:10], v[6:7]
	v_mov_b32_e32 v6, v9
	v_mov_b32_e32 v7, v10
	s_or_b32 s4, vcc_lo, s4
	s_andn2_b32 exec_lo, exec_lo, s4
	s_cbranch_execnz .LBB12_411
.LBB12_412:
	s_or_b32 exec_lo, exec_lo, s5
.LBB12_413:
	v_readfirstlane_b32 s4, v32
	s_waitcnt vmcnt(0)
	v_mov_b32_e32 v0, 0
	v_mov_b32_e32 v1, 0
	v_cmp_eq_u32_e64 s4, s4, v32
	s_and_saveexec_b32 s5, s4
	s_cbranch_execz .LBB12_419
; %bb.414:
	v_mov_b32_e32 v4, 0
	s_mov_b32 s8, exec_lo
	global_load_dwordx2 v[7:8], v4, s[6:7] offset:24 glc dlc
	s_waitcnt vmcnt(0)
	buffer_gl1_inv
	buffer_gl0_inv
	s_clause 0x1
	global_load_dwordx2 v[0:1], v4, s[6:7] offset:40
	global_load_dwordx2 v[5:6], v4, s[6:7]
	s_waitcnt vmcnt(1)
	v_and_b32_e32 v1, v1, v8
	v_and_b32_e32 v0, v0, v7
	v_mul_lo_u32 v1, v1, 24
	v_mul_hi_u32 v9, v0, 24
	v_mul_lo_u32 v0, v0, 24
	v_add_nc_u32_e32 v1, v9, v1
	s_waitcnt vmcnt(0)
	v_add_co_u32 v0, vcc_lo, v5, v0
	v_add_co_ci_u32_e32 v1, vcc_lo, v6, v1, vcc_lo
	global_load_dwordx2 v[5:6], v[0:1], off glc dlc
	s_waitcnt vmcnt(0)
	global_atomic_cmpswap_x2 v[0:1], v4, v[5:8], s[6:7] offset:24 glc
	s_waitcnt vmcnt(0)
	buffer_gl1_inv
	buffer_gl0_inv
	v_cmpx_ne_u64_e64 v[0:1], v[7:8]
	s_cbranch_execz .LBB12_418
; %bb.415:
	s_mov_b32 s9, 0
.LBB12_416:                             ; =>This Inner Loop Header: Depth=1
	s_sleep 1
	s_clause 0x1
	global_load_dwordx2 v[5:6], v4, s[6:7] offset:40
	global_load_dwordx2 v[9:10], v4, s[6:7]
	v_mov_b32_e32 v8, v1
	v_mov_b32_e32 v7, v0
	s_waitcnt vmcnt(1)
	v_and_b32_e32 v0, v5, v7
	v_and_b32_e32 v5, v6, v8
	s_waitcnt vmcnt(0)
	v_mad_u64_u32 v[0:1], null, v0, 24, v[9:10]
	v_mad_u64_u32 v[5:6], null, v5, 24, v[1:2]
	v_mov_b32_e32 v1, v5
	global_load_dwordx2 v[5:6], v[0:1], off glc dlc
	s_waitcnt vmcnt(0)
	global_atomic_cmpswap_x2 v[0:1], v4, v[5:8], s[6:7] offset:24 glc
	s_waitcnt vmcnt(0)
	buffer_gl1_inv
	buffer_gl0_inv
	v_cmp_eq_u64_e32 vcc_lo, v[0:1], v[7:8]
	s_or_b32 s9, vcc_lo, s9
	s_andn2_b32 exec_lo, exec_lo, s9
	s_cbranch_execnz .LBB12_416
; %bb.417:
	s_or_b32 exec_lo, exec_lo, s9
.LBB12_418:
	s_or_b32 exec_lo, exec_lo, s8
.LBB12_419:
	s_or_b32 exec_lo, exec_lo, s5
	v_mov_b32_e32 v5, 0
	v_readfirstlane_b32 s8, v0
	v_readfirstlane_b32 s9, v1
	s_mov_b32 s5, exec_lo
	s_clause 0x1
	global_load_dwordx2 v[10:11], v5, s[6:7] offset:40
	global_load_dwordx4 v[6:9], v5, s[6:7]
	s_waitcnt vmcnt(1)
	v_readfirstlane_b32 s10, v10
	v_readfirstlane_b32 s11, v11
	s_and_b64 s[10:11], s[8:9], s[10:11]
	s_mul_i32 s12, s11, 24
	s_mul_hi_u32 s13, s10, 24
	s_mul_i32 s14, s10, 24
	s_add_i32 s13, s13, s12
	s_waitcnt vmcnt(0)
	v_add_co_u32 v10, vcc_lo, v6, s14
	v_add_co_ci_u32_e32 v11, vcc_lo, s13, v7, vcc_lo
	s_and_saveexec_b32 s12, s4
	s_cbranch_execz .LBB12_421
; %bb.420:
	v_mov_b32_e32 v4, s5
	v_mov_b32_e32 v13, v5
	;; [unrolled: 1-line block ×5, first 2 shown]
	global_store_dwordx4 v[10:11], v[12:15], off offset:8
.LBB12_421:
	s_or_b32 exec_lo, exec_lo, s12
	s_lshl_b64 s[10:11], s[10:11], 12
	s_mov_b32 s12, 0
	v_add_co_u32 v0, vcc_lo, v8, s10
	v_add_co_ci_u32_e32 v1, vcc_lo, s11, v9, vcc_lo
	s_mov_b32 s13, s12
	s_mov_b32 s14, s12
	;; [unrolled: 1-line block ×3, first 2 shown]
	v_and_or_b32 v2, 0xffffff1d, v2, 34
	v_mov_b32_e32 v4, 10
	v_readfirstlane_b32 s10, v0
	v_readfirstlane_b32 s11, v1
	v_mov_b32_e32 v12, s12
	v_mov_b32_e32 v13, s13
	;; [unrolled: 1-line block ×4, first 2 shown]
	global_store_dwordx4 v31, v[2:5], s[10:11]
	global_store_dwordx4 v31, v[12:15], s[10:11] offset:16
	global_store_dwordx4 v31, v[12:15], s[10:11] offset:32
	;; [unrolled: 1-line block ×3, first 2 shown]
	s_and_saveexec_b32 s5, s4
	s_cbranch_execz .LBB12_429
; %bb.422:
	v_mov_b32_e32 v8, 0
	v_mov_b32_e32 v12, s8
	;; [unrolled: 1-line block ×3, first 2 shown]
	s_clause 0x1
	global_load_dwordx2 v[14:15], v8, s[6:7] offset:32 glc dlc
	global_load_dwordx2 v[0:1], v8, s[6:7] offset:40
	s_waitcnt vmcnt(0)
	v_readfirstlane_b32 s10, v0
	v_readfirstlane_b32 s11, v1
	s_and_b64 s[10:11], s[10:11], s[8:9]
	s_mul_i32 s11, s11, 24
	s_mul_hi_u32 s12, s10, 24
	s_mul_i32 s10, s10, 24
	s_add_i32 s12, s12, s11
	v_add_co_u32 v4, vcc_lo, v6, s10
	v_add_co_ci_u32_e32 v5, vcc_lo, s12, v7, vcc_lo
	s_mov_b32 s10, exec_lo
	global_store_dwordx2 v[4:5], v[14:15], off
	s_waitcnt_vscnt null, 0x0
	global_atomic_cmpswap_x2 v[2:3], v8, v[12:15], s[6:7] offset:32 glc
	s_waitcnt vmcnt(0)
	v_cmpx_ne_u64_e64 v[2:3], v[14:15]
	s_cbranch_execz .LBB12_425
; %bb.423:
	s_mov_b32 s11, 0
.LBB12_424:                             ; =>This Inner Loop Header: Depth=1
	v_mov_b32_e32 v0, s8
	v_mov_b32_e32 v1, s9
	s_sleep 1
	global_store_dwordx2 v[4:5], v[2:3], off
	s_waitcnt_vscnt null, 0x0
	global_atomic_cmpswap_x2 v[0:1], v8, v[0:3], s[6:7] offset:32 glc
	s_waitcnt vmcnt(0)
	v_cmp_eq_u64_e32 vcc_lo, v[0:1], v[2:3]
	v_mov_b32_e32 v3, v1
	v_mov_b32_e32 v2, v0
	s_or_b32 s11, vcc_lo, s11
	s_andn2_b32 exec_lo, exec_lo, s11
	s_cbranch_execnz .LBB12_424
.LBB12_425:
	s_or_b32 exec_lo, exec_lo, s10
	v_mov_b32_e32 v3, 0
	s_mov_b32 s11, exec_lo
	s_mov_b32 s10, exec_lo
	v_mbcnt_lo_u32_b32 v2, s11, 0
	global_load_dwordx2 v[0:1], v3, s[6:7] offset:16
	v_cmpx_eq_u32_e32 0, v2
	s_cbranch_execz .LBB12_427
; %bb.426:
	s_bcnt1_i32_b32 s11, s11
	v_mov_b32_e32 v2, s11
	s_waitcnt vmcnt(0)
	global_atomic_add_x2 v[0:1], v[2:3], off offset:8
.LBB12_427:
	s_or_b32 exec_lo, exec_lo, s10
	s_waitcnt vmcnt(0)
	global_load_dwordx2 v[2:3], v[0:1], off offset:16
	s_waitcnt vmcnt(0)
	v_cmp_eq_u64_e32 vcc_lo, 0, v[2:3]
	s_cbranch_vccnz .LBB12_429
; %bb.428:
	global_load_dword v0, v[0:1], off offset:24
	v_mov_b32_e32 v1, 0
	s_waitcnt vmcnt(0)
	v_and_b32_e32 v4, 0x7fffff, v0
	s_waitcnt_vscnt null, 0x0
	global_store_dwordx2 v[2:3], v[0:1], off
	v_readfirstlane_b32 m0, v4
	s_sendmsg sendmsg(MSG_INTERRUPT)
.LBB12_429:
	s_or_b32 exec_lo, exec_lo, s5
	s_branch .LBB12_433
	.p2align	6
.LBB12_430:                             ;   in Loop: Header=BB12_433 Depth=1
	s_or_b32 exec_lo, exec_lo, s5
	v_readfirstlane_b32 s5, v0
	s_cmp_eq_u32 s5, 0
	s_cbranch_scc1 .LBB12_432
; %bb.431:                              ;   in Loop: Header=BB12_433 Depth=1
	s_sleep 1
	s_cbranch_execnz .LBB12_433
	s_branch .LBB12_435
	.p2align	6
.LBB12_432:
	s_branch .LBB12_435
.LBB12_433:                             ; =>This Inner Loop Header: Depth=1
	v_mov_b32_e32 v0, 1
	s_and_saveexec_b32 s5, s4
	s_cbranch_execz .LBB12_430
; %bb.434:                              ;   in Loop: Header=BB12_433 Depth=1
	global_load_dword v0, v[10:11], off offset:20 glc dlc
	s_waitcnt vmcnt(0)
	buffer_gl1_inv
	buffer_gl0_inv
	v_and_b32_e32 v0, 1, v0
	s_branch .LBB12_430
.LBB12_435:
	s_and_saveexec_b32 s5, s4
	s_cbranch_execz .LBB12_439
; %bb.436:
	v_mov_b32_e32 v6, 0
	s_clause 0x2
	global_load_dwordx2 v[2:3], v6, s[6:7] offset:40
	global_load_dwordx2 v[7:8], v6, s[6:7] offset:24 glc dlc
	global_load_dwordx2 v[4:5], v6, s[6:7]
	s_waitcnt vmcnt(2)
	v_add_co_u32 v9, vcc_lo, v2, 1
	v_add_co_ci_u32_e32 v10, vcc_lo, 0, v3, vcc_lo
	v_add_co_u32 v0, vcc_lo, v9, s8
	v_add_co_ci_u32_e32 v1, vcc_lo, s9, v10, vcc_lo
	v_cmp_eq_u64_e32 vcc_lo, 0, v[0:1]
	v_cndmask_b32_e32 v1, v1, v10, vcc_lo
	v_cndmask_b32_e32 v0, v0, v9, vcc_lo
	v_and_b32_e32 v3, v1, v3
	v_and_b32_e32 v2, v0, v2
	v_mul_lo_u32 v3, v3, 24
	v_mul_hi_u32 v9, v2, 24
	v_mul_lo_u32 v2, v2, 24
	v_add_nc_u32_e32 v3, v9, v3
	s_waitcnt vmcnt(0)
	v_add_co_u32 v4, vcc_lo, v4, v2
	v_mov_b32_e32 v2, v7
	v_add_co_ci_u32_e32 v5, vcc_lo, v5, v3, vcc_lo
	v_mov_b32_e32 v3, v8
	global_store_dwordx2 v[4:5], v[7:8], off
	s_waitcnt_vscnt null, 0x0
	global_atomic_cmpswap_x2 v[2:3], v6, v[0:3], s[6:7] offset:24 glc
	s_waitcnt vmcnt(0)
	v_cmp_ne_u64_e32 vcc_lo, v[2:3], v[7:8]
	s_and_b32 exec_lo, exec_lo, vcc_lo
	s_cbranch_execz .LBB12_439
; %bb.437:
	s_mov_b32 s4, 0
.LBB12_438:                             ; =>This Inner Loop Header: Depth=1
	s_sleep 1
	global_store_dwordx2 v[4:5], v[2:3], off
	s_waitcnt_vscnt null, 0x0
	global_atomic_cmpswap_x2 v[7:8], v6, v[0:3], s[6:7] offset:24 glc
	s_waitcnt vmcnt(0)
	v_cmp_eq_u64_e32 vcc_lo, v[7:8], v[2:3]
	v_mov_b32_e32 v2, v7
	v_mov_b32_e32 v3, v8
	s_or_b32 s4, vcc_lo, s4
	s_andn2_b32 exec_lo, exec_lo, s4
	s_cbranch_execnz .LBB12_438
.LBB12_439:
	s_or_b32 exec_lo, exec_lo, s5
	v_readfirstlane_b32 s4, v32
	v_mov_b32_e32 v6, 0
	v_mov_b32_e32 v7, 0
	v_cmp_eq_u32_e64 s4, s4, v32
	s_and_saveexec_b32 s5, s4
	s_cbranch_execz .LBB12_445
; %bb.440:
	v_mov_b32_e32 v0, 0
	s_mov_b32 s8, exec_lo
	global_load_dwordx2 v[3:4], v0, s[6:7] offset:24 glc dlc
	s_waitcnt vmcnt(0)
	buffer_gl1_inv
	buffer_gl0_inv
	s_clause 0x1
	global_load_dwordx2 v[1:2], v0, s[6:7] offset:40
	global_load_dwordx2 v[5:6], v0, s[6:7]
	s_waitcnt vmcnt(1)
	v_and_b32_e32 v2, v2, v4
	v_and_b32_e32 v1, v1, v3
	v_mul_lo_u32 v2, v2, 24
	v_mul_hi_u32 v7, v1, 24
	v_mul_lo_u32 v1, v1, 24
	v_add_nc_u32_e32 v2, v7, v2
	s_waitcnt vmcnt(0)
	v_add_co_u32 v1, vcc_lo, v5, v1
	v_add_co_ci_u32_e32 v2, vcc_lo, v6, v2, vcc_lo
	global_load_dwordx2 v[1:2], v[1:2], off glc dlc
	s_waitcnt vmcnt(0)
	global_atomic_cmpswap_x2 v[6:7], v0, v[1:4], s[6:7] offset:24 glc
	s_waitcnt vmcnt(0)
	buffer_gl1_inv
	buffer_gl0_inv
	v_cmpx_ne_u64_e64 v[6:7], v[3:4]
	s_cbranch_execz .LBB12_444
; %bb.441:
	s_mov_b32 s9, 0
.LBB12_442:                             ; =>This Inner Loop Header: Depth=1
	s_sleep 1
	s_clause 0x1
	global_load_dwordx2 v[1:2], v0, s[6:7] offset:40
	global_load_dwordx2 v[8:9], v0, s[6:7]
	v_mov_b32_e32 v3, v6
	v_mov_b32_e32 v4, v7
	s_waitcnt vmcnt(1)
	v_and_b32_e32 v1, v1, v3
	v_and_b32_e32 v2, v2, v4
	s_waitcnt vmcnt(0)
	v_mad_u64_u32 v[5:6], null, v1, 24, v[8:9]
	v_mov_b32_e32 v1, v6
	v_mad_u64_u32 v[1:2], null, v2, 24, v[1:2]
	v_mov_b32_e32 v6, v1
	global_load_dwordx2 v[1:2], v[5:6], off glc dlc
	s_waitcnt vmcnt(0)
	global_atomic_cmpswap_x2 v[6:7], v0, v[1:4], s[6:7] offset:24 glc
	s_waitcnt vmcnt(0)
	buffer_gl1_inv
	buffer_gl0_inv
	v_cmp_eq_u64_e32 vcc_lo, v[6:7], v[3:4]
	s_or_b32 s9, vcc_lo, s9
	s_andn2_b32 exec_lo, exec_lo, s9
	s_cbranch_execnz .LBB12_442
; %bb.443:
	s_or_b32 exec_lo, exec_lo, s9
.LBB12_444:
	s_or_b32 exec_lo, exec_lo, s8
.LBB12_445:
	s_or_b32 exec_lo, exec_lo, s5
	v_mov_b32_e32 v5, 0
	v_readfirstlane_b32 s8, v6
	v_readfirstlane_b32 s9, v7
	s_mov_b32 s5, exec_lo
	s_clause 0x1
	global_load_dwordx2 v[8:9], v5, s[6:7] offset:40
	global_load_dwordx4 v[0:3], v5, s[6:7]
	s_waitcnt vmcnt(1)
	v_readfirstlane_b32 s10, v8
	v_readfirstlane_b32 s11, v9
	s_and_b64 s[10:11], s[8:9], s[10:11]
	s_mul_i32 s12, s11, 24
	s_mul_hi_u32 s13, s10, 24
	s_mul_i32 s14, s10, 24
	s_add_i32 s13, s13, s12
	s_waitcnt vmcnt(0)
	v_add_co_u32 v8, vcc_lo, v0, s14
	v_add_co_ci_u32_e32 v9, vcc_lo, s13, v1, vcc_lo
	s_and_saveexec_b32 s12, s4
	s_cbranch_execz .LBB12_447
; %bb.446:
	v_mov_b32_e32 v4, s5
	v_mov_b32_e32 v6, 2
	;; [unrolled: 1-line block ×3, first 2 shown]
	global_store_dwordx4 v[8:9], v[4:7], off offset:8
.LBB12_447:
	s_or_b32 exec_lo, exec_lo, s12
	s_lshl_b64 s[10:11], s[10:11], 12
	s_mov_b32 s12, 0
	v_add_co_u32 v2, vcc_lo, v2, s10
	v_add_co_ci_u32_e32 v3, vcc_lo, s11, v3, vcc_lo
	s_mov_b32 s13, s12
	v_add_co_u32 v10, vcc_lo, v2, v31
	s_mov_b32 s14, s12
	s_mov_b32 s15, s12
	v_mov_b32_e32 v4, 33
	v_mov_b32_e32 v6, v5
	;; [unrolled: 1-line block ×3, first 2 shown]
	v_readfirstlane_b32 s10, v2
	v_readfirstlane_b32 s11, v3
	v_mov_b32_e32 v12, s12
	v_add_co_ci_u32_e32 v11, vcc_lo, 0, v3, vcc_lo
	v_mov_b32_e32 v13, s13
	v_mov_b32_e32 v14, s14
	;; [unrolled: 1-line block ×3, first 2 shown]
	global_store_dwordx4 v31, v[4:7], s[10:11]
	global_store_dwordx4 v31, v[12:15], s[10:11] offset:16
	global_store_dwordx4 v31, v[12:15], s[10:11] offset:32
	;; [unrolled: 1-line block ×3, first 2 shown]
	s_and_saveexec_b32 s5, s4
	s_cbranch_execz .LBB12_455
; %bb.448:
	v_mov_b32_e32 v6, 0
	v_mov_b32_e32 v12, s8
	v_mov_b32_e32 v13, s9
	s_clause 0x1
	global_load_dwordx2 v[14:15], v6, s[6:7] offset:32 glc dlc
	global_load_dwordx2 v[2:3], v6, s[6:7] offset:40
	s_waitcnt vmcnt(0)
	v_readfirstlane_b32 s10, v2
	v_readfirstlane_b32 s11, v3
	s_and_b64 s[10:11], s[10:11], s[8:9]
	s_mul_i32 s11, s11, 24
	s_mul_hi_u32 s12, s10, 24
	s_mul_i32 s10, s10, 24
	s_add_i32 s12, s12, s11
	v_add_co_u32 v4, vcc_lo, v0, s10
	v_add_co_ci_u32_e32 v5, vcc_lo, s12, v1, vcc_lo
	s_mov_b32 s10, exec_lo
	global_store_dwordx2 v[4:5], v[14:15], off
	s_waitcnt_vscnt null, 0x0
	global_atomic_cmpswap_x2 v[2:3], v6, v[12:15], s[6:7] offset:32 glc
	s_waitcnt vmcnt(0)
	v_cmpx_ne_u64_e64 v[2:3], v[14:15]
	s_cbranch_execz .LBB12_451
; %bb.449:
	s_mov_b32 s11, 0
.LBB12_450:                             ; =>This Inner Loop Header: Depth=1
	v_mov_b32_e32 v0, s8
	v_mov_b32_e32 v1, s9
	s_sleep 1
	global_store_dwordx2 v[4:5], v[2:3], off
	s_waitcnt_vscnt null, 0x0
	global_atomic_cmpswap_x2 v[0:1], v6, v[0:3], s[6:7] offset:32 glc
	s_waitcnt vmcnt(0)
	v_cmp_eq_u64_e32 vcc_lo, v[0:1], v[2:3]
	v_mov_b32_e32 v3, v1
	v_mov_b32_e32 v2, v0
	s_or_b32 s11, vcc_lo, s11
	s_andn2_b32 exec_lo, exec_lo, s11
	s_cbranch_execnz .LBB12_450
.LBB12_451:
	s_or_b32 exec_lo, exec_lo, s10
	v_mov_b32_e32 v3, 0
	s_mov_b32 s11, exec_lo
	s_mov_b32 s10, exec_lo
	v_mbcnt_lo_u32_b32 v2, s11, 0
	global_load_dwordx2 v[0:1], v3, s[6:7] offset:16
	v_cmpx_eq_u32_e32 0, v2
	s_cbranch_execz .LBB12_453
; %bb.452:
	s_bcnt1_i32_b32 s11, s11
	v_mov_b32_e32 v2, s11
	s_waitcnt vmcnt(0)
	global_atomic_add_x2 v[0:1], v[2:3], off offset:8
.LBB12_453:
	s_or_b32 exec_lo, exec_lo, s10
	s_waitcnt vmcnt(0)
	global_load_dwordx2 v[2:3], v[0:1], off offset:16
	s_waitcnt vmcnt(0)
	v_cmp_eq_u64_e32 vcc_lo, 0, v[2:3]
	s_cbranch_vccnz .LBB12_455
; %bb.454:
	global_load_dword v0, v[0:1], off offset:24
	v_mov_b32_e32 v1, 0
	s_waitcnt vmcnt(0)
	v_and_b32_e32 v4, 0x7fffff, v0
	s_waitcnt_vscnt null, 0x0
	global_store_dwordx2 v[2:3], v[0:1], off
	v_readfirstlane_b32 m0, v4
	s_sendmsg sendmsg(MSG_INTERRUPT)
.LBB12_455:
	s_or_b32 exec_lo, exec_lo, s5
	s_branch .LBB12_459
	.p2align	6
.LBB12_456:                             ;   in Loop: Header=BB12_459 Depth=1
	s_or_b32 exec_lo, exec_lo, s5
	v_readfirstlane_b32 s5, v0
	s_cmp_eq_u32 s5, 0
	s_cbranch_scc1 .LBB12_458
; %bb.457:                              ;   in Loop: Header=BB12_459 Depth=1
	s_sleep 1
	s_cbranch_execnz .LBB12_459
	s_branch .LBB12_461
	.p2align	6
.LBB12_458:
	s_branch .LBB12_461
.LBB12_459:                             ; =>This Inner Loop Header: Depth=1
	v_mov_b32_e32 v0, 1
	s_and_saveexec_b32 s5, s4
	s_cbranch_execz .LBB12_456
; %bb.460:                              ;   in Loop: Header=BB12_459 Depth=1
	global_load_dword v0, v[8:9], off offset:20 glc dlc
	s_waitcnt vmcnt(0)
	buffer_gl1_inv
	buffer_gl0_inv
	v_and_b32_e32 v0, 1, v0
	s_branch .LBB12_456
.LBB12_461:
	global_load_dwordx2 v[4:5], v[10:11], off
	s_and_saveexec_b32 s5, s4
	s_cbranch_execz .LBB12_465
; %bb.462:
	v_mov_b32_e32 v8, 0
	s_clause 0x2
	global_load_dwordx2 v[2:3], v8, s[6:7] offset:40
	global_load_dwordx2 v[9:10], v8, s[6:7] offset:24 glc dlc
	global_load_dwordx2 v[6:7], v8, s[6:7]
	s_waitcnt vmcnt(2)
	v_add_co_u32 v11, vcc_lo, v2, 1
	v_add_co_ci_u32_e32 v12, vcc_lo, 0, v3, vcc_lo
	v_add_co_u32 v0, vcc_lo, v11, s8
	v_add_co_ci_u32_e32 v1, vcc_lo, s9, v12, vcc_lo
	v_cmp_eq_u64_e32 vcc_lo, 0, v[0:1]
	v_cndmask_b32_e32 v1, v1, v12, vcc_lo
	v_cndmask_b32_e32 v0, v0, v11, vcc_lo
	v_and_b32_e32 v3, v1, v3
	v_and_b32_e32 v2, v0, v2
	v_mul_lo_u32 v3, v3, 24
	v_mul_hi_u32 v11, v2, 24
	v_mul_lo_u32 v2, v2, 24
	v_add_nc_u32_e32 v3, v11, v3
	s_waitcnt vmcnt(0)
	v_add_co_u32 v6, vcc_lo, v6, v2
	v_mov_b32_e32 v2, v9
	v_add_co_ci_u32_e32 v7, vcc_lo, v7, v3, vcc_lo
	v_mov_b32_e32 v3, v10
	global_store_dwordx2 v[6:7], v[9:10], off
	s_waitcnt_vscnt null, 0x0
	global_atomic_cmpswap_x2 v[2:3], v8, v[0:3], s[6:7] offset:24 glc
	s_waitcnt vmcnt(0)
	v_cmp_ne_u64_e32 vcc_lo, v[2:3], v[9:10]
	s_and_b32 exec_lo, exec_lo, vcc_lo
	s_cbranch_execz .LBB12_465
; %bb.463:
	s_mov_b32 s4, 0
.LBB12_464:                             ; =>This Inner Loop Header: Depth=1
	s_sleep 1
	global_store_dwordx2 v[6:7], v[2:3], off
	s_waitcnt_vscnt null, 0x0
	global_atomic_cmpswap_x2 v[9:10], v8, v[0:3], s[6:7] offset:24 glc
	s_waitcnt vmcnt(0)
	v_cmp_eq_u64_e32 vcc_lo, v[9:10], v[2:3]
	v_mov_b32_e32 v2, v9
	v_mov_b32_e32 v3, v10
	s_or_b32 s4, vcc_lo, s4
	s_andn2_b32 exec_lo, exec_lo, s4
	s_cbranch_execnz .LBB12_464
.LBB12_465:
	s_or_b32 exec_lo, exec_lo, s5
	s_and_b32 vcc_lo, exec_lo, s18
	s_cbranch_vccz .LBB12_544
; %bb.466:
	s_waitcnt vmcnt(0)
	v_and_b32_e32 v28, 2, v4
	v_mov_b32_e32 v7, 0
	v_and_b32_e32 v0, -3, v4
	v_mov_b32_e32 v1, v5
	v_mov_b32_e32 v8, 2
	;; [unrolled: 1-line block ×3, first 2 shown]
	s_mov_b64 s[10:11], 3
	s_getpc_b64 s[8:9]
	s_add_u32 s8, s8, .str.5@rel32@lo+4
	s_addc_u32 s9, s9, .str.5@rel32@hi+12
	s_branch .LBB12_468
.LBB12_467:                             ;   in Loop: Header=BB12_468 Depth=1
	s_or_b32 exec_lo, exec_lo, s5
	s_sub_u32 s10, s10, s12
	s_subb_u32 s11, s11, s13
	s_add_u32 s8, s8, s12
	s_addc_u32 s9, s9, s13
	s_cmp_lg_u64 s[10:11], 0
	s_cbranch_scc0 .LBB12_543
.LBB12_468:                             ; =>This Loop Header: Depth=1
                                        ;     Child Loop BB12_477 Depth 2
                                        ;     Child Loop BB12_473 Depth 2
                                        ;     Child Loop BB12_485 Depth 2
                                        ;     Child Loop BB12_492 Depth 2
                                        ;     Child Loop BB12_499 Depth 2
                                        ;     Child Loop BB12_506 Depth 2
                                        ;     Child Loop BB12_513 Depth 2
                                        ;     Child Loop BB12_520 Depth 2
                                        ;     Child Loop BB12_528 Depth 2
                                        ;     Child Loop BB12_537 Depth 2
                                        ;     Child Loop BB12_542 Depth 2
	v_cmp_lt_u64_e64 s4, s[10:11], 56
	v_cmp_gt_u64_e64 s5, s[10:11], 7
                                        ; implicit-def: $vgpr2_vgpr3
                                        ; implicit-def: $sgpr20
	s_and_b32 s4, s4, exec_lo
	s_cselect_b32 s13, s11, 0
	s_cselect_b32 s12, s10, 56
	s_and_b32 vcc_lo, exec_lo, s5
	s_mov_b32 s4, -1
	s_cbranch_vccz .LBB12_475
; %bb.469:                              ;   in Loop: Header=BB12_468 Depth=1
	s_andn2_b32 vcc_lo, exec_lo, s4
	s_mov_b64 s[4:5], s[8:9]
	s_cbranch_vccz .LBB12_479
.LBB12_470:                             ;   in Loop: Header=BB12_468 Depth=1
	s_cmp_gt_u32 s20, 7
	s_cbranch_scc1 .LBB12_480
.LBB12_471:                             ;   in Loop: Header=BB12_468 Depth=1
	v_mov_b32_e32 v10, 0
	v_mov_b32_e32 v11, 0
	s_cmp_eq_u32 s20, 0
	s_cbranch_scc1 .LBB12_474
; %bb.472:                              ;   in Loop: Header=BB12_468 Depth=1
	s_mov_b64 s[14:15], 0
	s_mov_b64 s[16:17], 0
.LBB12_473:                             ;   Parent Loop BB12_468 Depth=1
                                        ; =>  This Inner Loop Header: Depth=2
	s_add_u32 s22, s4, s16
	s_addc_u32 s23, s5, s17
	s_add_u32 s16, s16, 1
	global_load_ubyte v6, v7, s[22:23]
	s_addc_u32 s17, s17, 0
	s_waitcnt vmcnt(0)
	v_and_b32_e32 v6, 0xffff, v6
	v_lshlrev_b64 v[12:13], s14, v[6:7]
	s_add_u32 s14, s14, 8
	s_addc_u32 s15, s15, 0
	s_cmp_lg_u32 s20, s16
	v_or_b32_e32 v10, v12, v10
	v_or_b32_e32 v11, v13, v11
	s_cbranch_scc1 .LBB12_473
.LBB12_474:                             ;   in Loop: Header=BB12_468 Depth=1
	s_mov_b32 s21, 0
	s_cbranch_execz .LBB12_481
	s_branch .LBB12_482
.LBB12_475:                             ;   in Loop: Header=BB12_468 Depth=1
	s_waitcnt vmcnt(0)
	v_mov_b32_e32 v2, 0
	v_mov_b32_e32 v3, 0
	s_cmp_eq_u64 s[10:11], 0
	s_mov_b64 s[4:5], 0
	s_cbranch_scc1 .LBB12_478
; %bb.476:                              ;   in Loop: Header=BB12_468 Depth=1
	v_mov_b32_e32 v2, 0
	v_mov_b32_e32 v3, 0
	s_lshl_b64 s[14:15], s[12:13], 3
	s_mov_b64 s[16:17], s[8:9]
.LBB12_477:                             ;   Parent Loop BB12_468 Depth=1
                                        ; =>  This Inner Loop Header: Depth=2
	global_load_ubyte v6, v7, s[16:17]
	s_waitcnt vmcnt(0)
	v_and_b32_e32 v6, 0xffff, v6
	v_lshlrev_b64 v[10:11], s4, v[6:7]
	s_add_u32 s4, s4, 8
	s_addc_u32 s5, s5, 0
	s_add_u32 s16, s16, 1
	s_addc_u32 s17, s17, 0
	s_cmp_lg_u32 s14, s4
	v_or_b32_e32 v2, v10, v2
	v_or_b32_e32 v3, v11, v3
	s_cbranch_scc1 .LBB12_477
.LBB12_478:                             ;   in Loop: Header=BB12_468 Depth=1
	s_mov_b32 s20, 0
	s_mov_b64 s[4:5], s[8:9]
	s_cbranch_execnz .LBB12_470
.LBB12_479:                             ;   in Loop: Header=BB12_468 Depth=1
	global_load_dwordx2 v[2:3], v7, s[8:9]
	s_add_i32 s20, s12, -8
	s_add_u32 s4, s8, 8
	s_addc_u32 s5, s9, 0
	s_cmp_gt_u32 s20, 7
	s_cbranch_scc0 .LBB12_471
.LBB12_480:                             ;   in Loop: Header=BB12_468 Depth=1
                                        ; implicit-def: $vgpr10_vgpr11
                                        ; implicit-def: $sgpr21
.LBB12_481:                             ;   in Loop: Header=BB12_468 Depth=1
	global_load_dwordx2 v[10:11], v7, s[4:5]
	s_add_i32 s21, s20, -8
	s_add_u32 s4, s4, 8
	s_addc_u32 s5, s5, 0
.LBB12_482:                             ;   in Loop: Header=BB12_468 Depth=1
	s_cmp_gt_u32 s21, 7
	s_cbranch_scc1 .LBB12_487
; %bb.483:                              ;   in Loop: Header=BB12_468 Depth=1
	v_mov_b32_e32 v12, 0
	v_mov_b32_e32 v13, 0
	s_cmp_eq_u32 s21, 0
	s_cbranch_scc1 .LBB12_486
; %bb.484:                              ;   in Loop: Header=BB12_468 Depth=1
	s_mov_b64 s[14:15], 0
	s_mov_b64 s[16:17], 0
.LBB12_485:                             ;   Parent Loop BB12_468 Depth=1
                                        ; =>  This Inner Loop Header: Depth=2
	s_add_u32 s22, s4, s16
	s_addc_u32 s23, s5, s17
	s_add_u32 s16, s16, 1
	global_load_ubyte v6, v7, s[22:23]
	s_addc_u32 s17, s17, 0
	s_waitcnt vmcnt(0)
	v_and_b32_e32 v6, 0xffff, v6
	v_lshlrev_b64 v[14:15], s14, v[6:7]
	s_add_u32 s14, s14, 8
	s_addc_u32 s15, s15, 0
	s_cmp_lg_u32 s21, s16
	v_or_b32_e32 v12, v14, v12
	v_or_b32_e32 v13, v15, v13
	s_cbranch_scc1 .LBB12_485
.LBB12_486:                             ;   in Loop: Header=BB12_468 Depth=1
	s_mov_b32 s20, 0
	s_cbranch_execz .LBB12_488
	s_branch .LBB12_489
.LBB12_487:                             ;   in Loop: Header=BB12_468 Depth=1
                                        ; implicit-def: $sgpr20
.LBB12_488:                             ;   in Loop: Header=BB12_468 Depth=1
	global_load_dwordx2 v[12:13], v7, s[4:5]
	s_add_i32 s20, s21, -8
	s_add_u32 s4, s4, 8
	s_addc_u32 s5, s5, 0
.LBB12_489:                             ;   in Loop: Header=BB12_468 Depth=1
	s_cmp_gt_u32 s20, 7
	s_cbranch_scc1 .LBB12_494
; %bb.490:                              ;   in Loop: Header=BB12_468 Depth=1
	v_mov_b32_e32 v14, 0
	v_mov_b32_e32 v15, 0
	s_cmp_eq_u32 s20, 0
	s_cbranch_scc1 .LBB12_493
; %bb.491:                              ;   in Loop: Header=BB12_468 Depth=1
	s_mov_b64 s[14:15], 0
	s_mov_b64 s[16:17], 0
.LBB12_492:                             ;   Parent Loop BB12_468 Depth=1
                                        ; =>  This Inner Loop Header: Depth=2
	s_add_u32 s22, s4, s16
	s_addc_u32 s23, s5, s17
	s_add_u32 s16, s16, 1
	global_load_ubyte v6, v7, s[22:23]
	s_addc_u32 s17, s17, 0
	s_waitcnt vmcnt(0)
	v_and_b32_e32 v6, 0xffff, v6
	v_lshlrev_b64 v[16:17], s14, v[6:7]
	s_add_u32 s14, s14, 8
	s_addc_u32 s15, s15, 0
	s_cmp_lg_u32 s20, s16
	v_or_b32_e32 v14, v16, v14
	v_or_b32_e32 v15, v17, v15
	s_cbranch_scc1 .LBB12_492
.LBB12_493:                             ;   in Loop: Header=BB12_468 Depth=1
	s_mov_b32 s21, 0
	s_cbranch_execz .LBB12_495
	s_branch .LBB12_496
.LBB12_494:                             ;   in Loop: Header=BB12_468 Depth=1
                                        ; implicit-def: $vgpr14_vgpr15
                                        ; implicit-def: $sgpr21
.LBB12_495:                             ;   in Loop: Header=BB12_468 Depth=1
	global_load_dwordx2 v[14:15], v7, s[4:5]
	s_add_i32 s21, s20, -8
	s_add_u32 s4, s4, 8
	s_addc_u32 s5, s5, 0
.LBB12_496:                             ;   in Loop: Header=BB12_468 Depth=1
	s_cmp_gt_u32 s21, 7
	s_cbranch_scc1 .LBB12_501
; %bb.497:                              ;   in Loop: Header=BB12_468 Depth=1
	v_mov_b32_e32 v16, 0
	v_mov_b32_e32 v17, 0
	s_cmp_eq_u32 s21, 0
	s_cbranch_scc1 .LBB12_500
; %bb.498:                              ;   in Loop: Header=BB12_468 Depth=1
	s_mov_b64 s[14:15], 0
	s_mov_b64 s[16:17], 0
.LBB12_499:                             ;   Parent Loop BB12_468 Depth=1
                                        ; =>  This Inner Loop Header: Depth=2
	s_add_u32 s22, s4, s16
	s_addc_u32 s23, s5, s17
	s_add_u32 s16, s16, 1
	global_load_ubyte v6, v7, s[22:23]
	s_addc_u32 s17, s17, 0
	s_waitcnt vmcnt(0)
	v_and_b32_e32 v6, 0xffff, v6
	v_lshlrev_b64 v[18:19], s14, v[6:7]
	s_add_u32 s14, s14, 8
	s_addc_u32 s15, s15, 0
	s_cmp_lg_u32 s21, s16
	v_or_b32_e32 v16, v18, v16
	v_or_b32_e32 v17, v19, v17
	s_cbranch_scc1 .LBB12_499
.LBB12_500:                             ;   in Loop: Header=BB12_468 Depth=1
	s_mov_b32 s20, 0
	s_cbranch_execz .LBB12_502
	s_branch .LBB12_503
.LBB12_501:                             ;   in Loop: Header=BB12_468 Depth=1
                                        ; implicit-def: $sgpr20
.LBB12_502:                             ;   in Loop: Header=BB12_468 Depth=1
	global_load_dwordx2 v[16:17], v7, s[4:5]
	s_add_i32 s20, s21, -8
	s_add_u32 s4, s4, 8
	s_addc_u32 s5, s5, 0
.LBB12_503:                             ;   in Loop: Header=BB12_468 Depth=1
	s_cmp_gt_u32 s20, 7
	s_cbranch_scc1 .LBB12_508
; %bb.504:                              ;   in Loop: Header=BB12_468 Depth=1
	v_mov_b32_e32 v18, 0
	v_mov_b32_e32 v19, 0
	s_cmp_eq_u32 s20, 0
	s_cbranch_scc1 .LBB12_507
; %bb.505:                              ;   in Loop: Header=BB12_468 Depth=1
	s_mov_b64 s[14:15], 0
	s_mov_b64 s[16:17], 0
.LBB12_506:                             ;   Parent Loop BB12_468 Depth=1
                                        ; =>  This Inner Loop Header: Depth=2
	s_add_u32 s22, s4, s16
	s_addc_u32 s23, s5, s17
	s_add_u32 s16, s16, 1
	global_load_ubyte v6, v7, s[22:23]
	s_addc_u32 s17, s17, 0
	s_waitcnt vmcnt(0)
	v_and_b32_e32 v6, 0xffff, v6
	v_lshlrev_b64 v[20:21], s14, v[6:7]
	s_add_u32 s14, s14, 8
	s_addc_u32 s15, s15, 0
	s_cmp_lg_u32 s20, s16
	v_or_b32_e32 v18, v20, v18
	v_or_b32_e32 v19, v21, v19
	s_cbranch_scc1 .LBB12_506
.LBB12_507:                             ;   in Loop: Header=BB12_468 Depth=1
	s_mov_b32 s21, 0
	s_cbranch_execz .LBB12_509
	s_branch .LBB12_510
.LBB12_508:                             ;   in Loop: Header=BB12_468 Depth=1
                                        ; implicit-def: $vgpr18_vgpr19
                                        ; implicit-def: $sgpr21
.LBB12_509:                             ;   in Loop: Header=BB12_468 Depth=1
	global_load_dwordx2 v[18:19], v7, s[4:5]
	s_add_i32 s21, s20, -8
	s_add_u32 s4, s4, 8
	s_addc_u32 s5, s5, 0
.LBB12_510:                             ;   in Loop: Header=BB12_468 Depth=1
	s_cmp_gt_u32 s21, 7
	s_cbranch_scc1 .LBB12_515
; %bb.511:                              ;   in Loop: Header=BB12_468 Depth=1
	v_mov_b32_e32 v20, 0
	v_mov_b32_e32 v21, 0
	s_cmp_eq_u32 s21, 0
	s_cbranch_scc1 .LBB12_514
; %bb.512:                              ;   in Loop: Header=BB12_468 Depth=1
	s_mov_b64 s[14:15], 0
	s_mov_b64 s[16:17], s[4:5]
.LBB12_513:                             ;   Parent Loop BB12_468 Depth=1
                                        ; =>  This Inner Loop Header: Depth=2
	global_load_ubyte v6, v7, s[16:17]
	s_add_i32 s21, s21, -1
	s_waitcnt vmcnt(0)
	v_and_b32_e32 v6, 0xffff, v6
	v_lshlrev_b64 v[22:23], s14, v[6:7]
	s_add_u32 s14, s14, 8
	s_addc_u32 s15, s15, 0
	s_add_u32 s16, s16, 1
	s_addc_u32 s17, s17, 0
	s_cmp_lg_u32 s21, 0
	v_or_b32_e32 v20, v22, v20
	v_or_b32_e32 v21, v23, v21
	s_cbranch_scc1 .LBB12_513
.LBB12_514:                             ;   in Loop: Header=BB12_468 Depth=1
	s_cbranch_execz .LBB12_516
	s_branch .LBB12_517
.LBB12_515:                             ;   in Loop: Header=BB12_468 Depth=1
.LBB12_516:                             ;   in Loop: Header=BB12_468 Depth=1
	global_load_dwordx2 v[20:21], v7, s[4:5]
.LBB12_517:                             ;   in Loop: Header=BB12_468 Depth=1
	v_readfirstlane_b32 s4, v32
	v_mov_b32_e32 v26, 0
	v_mov_b32_e32 v27, 0
	v_cmp_eq_u32_e64 s4, s4, v32
	s_and_saveexec_b32 s5, s4
	s_cbranch_execz .LBB12_523
; %bb.518:                              ;   in Loop: Header=BB12_468 Depth=1
	global_load_dwordx2 v[24:25], v7, s[6:7] offset:24 glc dlc
	s_waitcnt vmcnt(0)
	buffer_gl1_inv
	buffer_gl0_inv
	s_clause 0x1
	global_load_dwordx2 v[22:23], v7, s[6:7] offset:40
	global_load_dwordx2 v[26:27], v7, s[6:7]
	s_mov_b32 s14, exec_lo
	s_waitcnt vmcnt(1)
	v_and_b32_e32 v6, v23, v25
	v_and_b32_e32 v22, v22, v24
	v_mul_lo_u32 v6, v6, 24
	v_mul_hi_u32 v23, v22, 24
	v_mul_lo_u32 v22, v22, 24
	v_add_nc_u32_e32 v6, v23, v6
	s_waitcnt vmcnt(0)
	v_add_co_u32 v22, vcc_lo, v26, v22
	v_add_co_ci_u32_e32 v23, vcc_lo, v27, v6, vcc_lo
	global_load_dwordx2 v[22:23], v[22:23], off glc dlc
	s_waitcnt vmcnt(0)
	global_atomic_cmpswap_x2 v[26:27], v7, v[22:25], s[6:7] offset:24 glc
	s_waitcnt vmcnt(0)
	buffer_gl1_inv
	buffer_gl0_inv
	v_cmpx_ne_u64_e64 v[26:27], v[24:25]
	s_cbranch_execz .LBB12_522
; %bb.519:                              ;   in Loop: Header=BB12_468 Depth=1
	s_mov_b32 s15, 0
	.p2align	6
.LBB12_520:                             ;   Parent Loop BB12_468 Depth=1
                                        ; =>  This Inner Loop Header: Depth=2
	s_sleep 1
	s_clause 0x1
	global_load_dwordx2 v[22:23], v7, s[6:7] offset:40
	global_load_dwordx2 v[29:30], v7, s[6:7]
	v_mov_b32_e32 v24, v26
	v_mov_b32_e32 v25, v27
	s_waitcnt vmcnt(1)
	v_and_b32_e32 v6, v22, v24
	v_and_b32_e32 v22, v23, v25
	s_waitcnt vmcnt(0)
	v_mad_u64_u32 v[26:27], null, v6, 24, v[29:30]
	v_mov_b32_e32 v6, v27
	v_mad_u64_u32 v[22:23], null, v22, 24, v[6:7]
	v_mov_b32_e32 v27, v22
	global_load_dwordx2 v[22:23], v[26:27], off glc dlc
	s_waitcnt vmcnt(0)
	global_atomic_cmpswap_x2 v[26:27], v7, v[22:25], s[6:7] offset:24 glc
	s_waitcnt vmcnt(0)
	buffer_gl1_inv
	buffer_gl0_inv
	v_cmp_eq_u64_e32 vcc_lo, v[26:27], v[24:25]
	s_or_b32 s15, vcc_lo, s15
	s_andn2_b32 exec_lo, exec_lo, s15
	s_cbranch_execnz .LBB12_520
; %bb.521:                              ;   in Loop: Header=BB12_468 Depth=1
	s_or_b32 exec_lo, exec_lo, s15
.LBB12_522:                             ;   in Loop: Header=BB12_468 Depth=1
	s_or_b32 exec_lo, exec_lo, s14
.LBB12_523:                             ;   in Loop: Header=BB12_468 Depth=1
	s_or_b32 exec_lo, exec_lo, s5
	s_clause 0x1
	global_load_dwordx2 v[29:30], v7, s[6:7] offset:40
	global_load_dwordx4 v[22:25], v7, s[6:7]
	v_readfirstlane_b32 s14, v26
	v_readfirstlane_b32 s15, v27
	s_mov_b32 s5, exec_lo
	s_waitcnt vmcnt(1)
	v_readfirstlane_b32 s16, v29
	v_readfirstlane_b32 s17, v30
	s_and_b64 s[16:17], s[14:15], s[16:17]
	s_mul_i32 s20, s17, 24
	s_mul_hi_u32 s21, s16, 24
	s_mul_i32 s22, s16, 24
	s_add_i32 s21, s21, s20
	s_waitcnt vmcnt(0)
	v_add_co_u32 v26, vcc_lo, v22, s22
	v_add_co_ci_u32_e32 v27, vcc_lo, s21, v23, vcc_lo
	s_and_saveexec_b32 s20, s4
	s_cbranch_execz .LBB12_525
; %bb.524:                              ;   in Loop: Header=BB12_468 Depth=1
	v_mov_b32_e32 v6, s5
	global_store_dwordx4 v[26:27], v[6:9], off offset:8
.LBB12_525:                             ;   in Loop: Header=BB12_468 Depth=1
	s_or_b32 exec_lo, exec_lo, s20
	s_lshl_b64 s[16:17], s[16:17], 12
	v_cmp_gt_u64_e64 vcc_lo, s[10:11], 56
	v_or_b32_e32 v29, v0, v28
	v_add_co_u32 v24, s5, v24, s16
	v_add_co_ci_u32_e64 v25, s5, s17, v25, s5
	s_lshl_b32 s5, s12, 2
	v_or_b32_e32 v6, 0, v1
	v_cndmask_b32_e32 v0, v29, v0, vcc_lo
	s_add_i32 s5, s5, 28
	v_readfirstlane_b32 s16, v24
	s_and_b32 s5, s5, 0x1e0
	v_cndmask_b32_e32 v1, v6, v1, vcc_lo
	v_readfirstlane_b32 s17, v25
	v_and_or_b32 v0, 0xffffff1f, v0, s5
	global_store_dwordx4 v31, v[0:3], s[16:17]
	global_store_dwordx4 v31, v[10:13], s[16:17] offset:16
	global_store_dwordx4 v31, v[14:17], s[16:17] offset:32
	;; [unrolled: 1-line block ×3, first 2 shown]
	s_and_saveexec_b32 s5, s4
	s_cbranch_execz .LBB12_533
; %bb.526:                              ;   in Loop: Header=BB12_468 Depth=1
	s_clause 0x1
	global_load_dwordx2 v[14:15], v7, s[6:7] offset:32 glc dlc
	global_load_dwordx2 v[0:1], v7, s[6:7] offset:40
	v_mov_b32_e32 v12, s14
	v_mov_b32_e32 v13, s15
	s_waitcnt vmcnt(0)
	v_readfirstlane_b32 s16, v0
	v_readfirstlane_b32 s17, v1
	s_and_b64 s[16:17], s[16:17], s[14:15]
	s_mul_i32 s17, s17, 24
	s_mul_hi_u32 s20, s16, 24
	s_mul_i32 s16, s16, 24
	s_add_i32 s20, s20, s17
	v_add_co_u32 v10, vcc_lo, v22, s16
	v_add_co_ci_u32_e32 v11, vcc_lo, s20, v23, vcc_lo
	s_mov_b32 s16, exec_lo
	global_store_dwordx2 v[10:11], v[14:15], off
	s_waitcnt_vscnt null, 0x0
	global_atomic_cmpswap_x2 v[2:3], v7, v[12:15], s[6:7] offset:32 glc
	s_waitcnt vmcnt(0)
	v_cmpx_ne_u64_e64 v[2:3], v[14:15]
	s_cbranch_execz .LBB12_529
; %bb.527:                              ;   in Loop: Header=BB12_468 Depth=1
	s_mov_b32 s17, 0
.LBB12_528:                             ;   Parent Loop BB12_468 Depth=1
                                        ; =>  This Inner Loop Header: Depth=2
	v_mov_b32_e32 v0, s14
	v_mov_b32_e32 v1, s15
	s_sleep 1
	global_store_dwordx2 v[10:11], v[2:3], off
	s_waitcnt_vscnt null, 0x0
	global_atomic_cmpswap_x2 v[0:1], v7, v[0:3], s[6:7] offset:32 glc
	s_waitcnt vmcnt(0)
	v_cmp_eq_u64_e32 vcc_lo, v[0:1], v[2:3]
	v_mov_b32_e32 v3, v1
	v_mov_b32_e32 v2, v0
	s_or_b32 s17, vcc_lo, s17
	s_andn2_b32 exec_lo, exec_lo, s17
	s_cbranch_execnz .LBB12_528
.LBB12_529:                             ;   in Loop: Header=BB12_468 Depth=1
	s_or_b32 exec_lo, exec_lo, s16
	global_load_dwordx2 v[0:1], v7, s[6:7] offset:16
	s_mov_b32 s17, exec_lo
	s_mov_b32 s16, exec_lo
	v_mbcnt_lo_u32_b32 v2, s17, 0
	v_cmpx_eq_u32_e32 0, v2
	s_cbranch_execz .LBB12_531
; %bb.530:                              ;   in Loop: Header=BB12_468 Depth=1
	s_bcnt1_i32_b32 s17, s17
	v_mov_b32_e32 v6, s17
	s_waitcnt vmcnt(0)
	global_atomic_add_x2 v[0:1], v[6:7], off offset:8
.LBB12_531:                             ;   in Loop: Header=BB12_468 Depth=1
	s_or_b32 exec_lo, exec_lo, s16
	s_waitcnt vmcnt(0)
	global_load_dwordx2 v[2:3], v[0:1], off offset:16
	s_waitcnt vmcnt(0)
	v_cmp_eq_u64_e32 vcc_lo, 0, v[2:3]
	s_cbranch_vccnz .LBB12_533
; %bb.532:                              ;   in Loop: Header=BB12_468 Depth=1
	global_load_dword v6, v[0:1], off offset:24
	s_waitcnt vmcnt(0)
	v_and_b32_e32 v0, 0x7fffff, v6
	s_waitcnt_vscnt null, 0x0
	global_store_dwordx2 v[2:3], v[6:7], off
	v_readfirstlane_b32 m0, v0
	s_sendmsg sendmsg(MSG_INTERRUPT)
.LBB12_533:                             ;   in Loop: Header=BB12_468 Depth=1
	s_or_b32 exec_lo, exec_lo, s5
	v_add_co_u32 v0, vcc_lo, v24, v31
	v_add_co_ci_u32_e32 v1, vcc_lo, 0, v25, vcc_lo
	s_branch .LBB12_537
	.p2align	6
.LBB12_534:                             ;   in Loop: Header=BB12_537 Depth=2
	s_or_b32 exec_lo, exec_lo, s5
	v_readfirstlane_b32 s5, v2
	s_cmp_eq_u32 s5, 0
	s_cbranch_scc1 .LBB12_536
; %bb.535:                              ;   in Loop: Header=BB12_537 Depth=2
	s_sleep 1
	s_cbranch_execnz .LBB12_537
	s_branch .LBB12_539
	.p2align	6
.LBB12_536:                             ;   in Loop: Header=BB12_468 Depth=1
	s_branch .LBB12_539
.LBB12_537:                             ;   Parent Loop BB12_468 Depth=1
                                        ; =>  This Inner Loop Header: Depth=2
	v_mov_b32_e32 v2, 1
	s_and_saveexec_b32 s5, s4
	s_cbranch_execz .LBB12_534
; %bb.538:                              ;   in Loop: Header=BB12_537 Depth=2
	global_load_dword v2, v[26:27], off offset:20 glc dlc
	s_waitcnt vmcnt(0)
	buffer_gl1_inv
	buffer_gl0_inv
	v_and_b32_e32 v2, 1, v2
	s_branch .LBB12_534
.LBB12_539:                             ;   in Loop: Header=BB12_468 Depth=1
	global_load_dwordx4 v[0:3], v[0:1], off
	s_and_saveexec_b32 s5, s4
	s_cbranch_execz .LBB12_467
; %bb.540:                              ;   in Loop: Header=BB12_468 Depth=1
	s_clause 0x2
	global_load_dwordx2 v[2:3], v7, s[6:7] offset:40
	global_load_dwordx2 v[14:15], v7, s[6:7] offset:24 glc dlc
	global_load_dwordx2 v[12:13], v7, s[6:7]
	s_waitcnt vmcnt(2)
	v_add_co_u32 v6, vcc_lo, v2, 1
	v_add_co_ci_u32_e32 v16, vcc_lo, 0, v3, vcc_lo
	v_add_co_u32 v10, vcc_lo, v6, s14
	v_add_co_ci_u32_e32 v11, vcc_lo, s15, v16, vcc_lo
	v_cmp_eq_u64_e32 vcc_lo, 0, v[10:11]
	v_cndmask_b32_e32 v11, v11, v16, vcc_lo
	v_cndmask_b32_e32 v10, v10, v6, vcc_lo
	v_and_b32_e32 v3, v11, v3
	v_and_b32_e32 v2, v10, v2
	v_mul_lo_u32 v3, v3, 24
	v_mul_hi_u32 v6, v2, 24
	v_mul_lo_u32 v2, v2, 24
	v_add_nc_u32_e32 v3, v6, v3
	s_waitcnt vmcnt(0)
	v_add_co_u32 v2, vcc_lo, v12, v2
	v_mov_b32_e32 v12, v14
	v_add_co_ci_u32_e32 v3, vcc_lo, v13, v3, vcc_lo
	v_mov_b32_e32 v13, v15
	global_store_dwordx2 v[2:3], v[14:15], off
	s_waitcnt_vscnt null, 0x0
	global_atomic_cmpswap_x2 v[12:13], v7, v[10:13], s[6:7] offset:24 glc
	s_waitcnt vmcnt(0)
	v_cmp_ne_u64_e32 vcc_lo, v[12:13], v[14:15]
	s_and_b32 exec_lo, exec_lo, vcc_lo
	s_cbranch_execz .LBB12_467
; %bb.541:                              ;   in Loop: Header=BB12_468 Depth=1
	s_mov_b32 s4, 0
.LBB12_542:                             ;   Parent Loop BB12_468 Depth=1
                                        ; =>  This Inner Loop Header: Depth=2
	s_sleep 1
	global_store_dwordx2 v[2:3], v[12:13], off
	s_waitcnt_vscnt null, 0x0
	global_atomic_cmpswap_x2 v[14:15], v7, v[10:13], s[6:7] offset:24 glc
	s_waitcnt vmcnt(0)
	v_cmp_eq_u64_e32 vcc_lo, v[14:15], v[12:13]
	v_mov_b32_e32 v12, v14
	v_mov_b32_e32 v13, v15
	s_or_b32 s4, vcc_lo, s4
	s_andn2_b32 exec_lo, exec_lo, s4
	s_cbranch_execnz .LBB12_542
	s_branch .LBB12_467
.LBB12_543:
	s_mov_b32 s4, 0
	s_branch .LBB12_545
.LBB12_544:
	s_mov_b32 s4, -1
                                        ; implicit-def: $vgpr0_vgpr1
.LBB12_545:
	s_and_b32 vcc_lo, exec_lo, s4
	s_cbranch_vccz .LBB12_573
; %bb.546:
	v_readfirstlane_b32 s4, v32
	v_mov_b32_e32 v7, 0
	v_mov_b32_e32 v8, 0
	v_cmp_eq_u32_e64 s4, s4, v32
	s_and_saveexec_b32 s5, s4
	s_cbranch_execz .LBB12_552
; %bb.547:
	s_waitcnt vmcnt(0)
	v_mov_b32_e32 v0, 0
	s_mov_b32 s8, exec_lo
	global_load_dwordx2 v[9:10], v0, s[6:7] offset:24 glc dlc
	s_waitcnt vmcnt(0)
	buffer_gl1_inv
	buffer_gl0_inv
	s_clause 0x1
	global_load_dwordx2 v[1:2], v0, s[6:7] offset:40
	global_load_dwordx2 v[6:7], v0, s[6:7]
	s_waitcnt vmcnt(1)
	v_and_b32_e32 v2, v2, v10
	v_and_b32_e32 v1, v1, v9
	v_mul_lo_u32 v2, v2, 24
	v_mul_hi_u32 v3, v1, 24
	v_mul_lo_u32 v1, v1, 24
	v_add_nc_u32_e32 v2, v3, v2
	s_waitcnt vmcnt(0)
	v_add_co_u32 v1, vcc_lo, v6, v1
	v_add_co_ci_u32_e32 v2, vcc_lo, v7, v2, vcc_lo
	global_load_dwordx2 v[7:8], v[1:2], off glc dlc
	s_waitcnt vmcnt(0)
	global_atomic_cmpswap_x2 v[7:8], v0, v[7:10], s[6:7] offset:24 glc
	s_waitcnt vmcnt(0)
	buffer_gl1_inv
	buffer_gl0_inv
	v_cmpx_ne_u64_e64 v[7:8], v[9:10]
	s_cbranch_execz .LBB12_551
; %bb.548:
	s_mov_b32 s9, 0
.LBB12_549:                             ; =>This Inner Loop Header: Depth=1
	s_sleep 1
	s_clause 0x1
	global_load_dwordx2 v[1:2], v0, s[6:7] offset:40
	global_load_dwordx2 v[11:12], v0, s[6:7]
	v_mov_b32_e32 v10, v8
	v_mov_b32_e32 v9, v7
	s_waitcnt vmcnt(1)
	v_and_b32_e32 v1, v1, v9
	v_and_b32_e32 v2, v2, v10
	s_waitcnt vmcnt(0)
	v_mad_u64_u32 v[6:7], null, v1, 24, v[11:12]
	v_mov_b32_e32 v1, v7
	v_mad_u64_u32 v[1:2], null, v2, 24, v[1:2]
	v_mov_b32_e32 v7, v1
	global_load_dwordx2 v[7:8], v[6:7], off glc dlc
	s_waitcnt vmcnt(0)
	global_atomic_cmpswap_x2 v[7:8], v0, v[7:10], s[6:7] offset:24 glc
	s_waitcnt vmcnt(0)
	buffer_gl1_inv
	buffer_gl0_inv
	v_cmp_eq_u64_e32 vcc_lo, v[7:8], v[9:10]
	s_or_b32 s9, vcc_lo, s9
	s_andn2_b32 exec_lo, exec_lo, s9
	s_cbranch_execnz .LBB12_549
; %bb.550:
	s_or_b32 exec_lo, exec_lo, s9
.LBB12_551:
	s_or_b32 exec_lo, exec_lo, s8
.LBB12_552:
	s_or_b32 exec_lo, exec_lo, s5
	v_mov_b32_e32 v6, 0
	v_readfirstlane_b32 s8, v7
	v_readfirstlane_b32 s9, v8
	s_mov_b32 s5, exec_lo
	s_clause 0x1
	global_load_dwordx2 v[9:10], v6, s[6:7] offset:40
	global_load_dwordx4 v[0:3], v6, s[6:7]
	s_waitcnt vmcnt(1)
	v_readfirstlane_b32 s10, v9
	v_readfirstlane_b32 s11, v10
	s_and_b64 s[10:11], s[8:9], s[10:11]
	s_mul_i32 s12, s11, 24
	s_mul_hi_u32 s13, s10, 24
	s_mul_i32 s14, s10, 24
	s_add_i32 s13, s13, s12
	s_waitcnt vmcnt(0)
	v_add_co_u32 v8, vcc_lo, v0, s14
	v_add_co_ci_u32_e32 v9, vcc_lo, s13, v1, vcc_lo
	s_and_saveexec_b32 s12, s4
	s_cbranch_execz .LBB12_554
; %bb.553:
	v_mov_b32_e32 v10, s5
	v_mov_b32_e32 v11, v6
	;; [unrolled: 1-line block ×4, first 2 shown]
	global_store_dwordx4 v[8:9], v[10:13], off offset:8
.LBB12_554:
	s_or_b32 exec_lo, exec_lo, s12
	s_lshl_b64 s[10:11], s[10:11], 12
	s_mov_b32 s12, 0
	v_add_co_u32 v2, vcc_lo, v2, s10
	v_add_co_ci_u32_e32 v3, vcc_lo, s11, v3, vcc_lo
	s_mov_b32 s13, s12
	v_add_co_u32 v10, vcc_lo, v2, v31
	s_mov_b32 s14, s12
	s_mov_b32 s15, s12
	v_and_or_b32 v4, 0xffffff1f, v4, 32
	v_mov_b32_e32 v7, v6
	v_readfirstlane_b32 s10, v2
	v_readfirstlane_b32 s11, v3
	v_mov_b32_e32 v12, s12
	v_add_co_ci_u32_e32 v11, vcc_lo, 0, v3, vcc_lo
	v_mov_b32_e32 v13, s13
	v_mov_b32_e32 v14, s14
	;; [unrolled: 1-line block ×3, first 2 shown]
	global_store_dwordx4 v31, v[4:7], s[10:11]
	global_store_dwordx4 v31, v[12:15], s[10:11] offset:16
	global_store_dwordx4 v31, v[12:15], s[10:11] offset:32
	;; [unrolled: 1-line block ×3, first 2 shown]
	s_and_saveexec_b32 s5, s4
	s_cbranch_execz .LBB12_562
; %bb.555:
	v_mov_b32_e32 v6, 0
	v_mov_b32_e32 v12, s8
	;; [unrolled: 1-line block ×3, first 2 shown]
	s_clause 0x1
	global_load_dwordx2 v[14:15], v6, s[6:7] offset:32 glc dlc
	global_load_dwordx2 v[2:3], v6, s[6:7] offset:40
	s_waitcnt vmcnt(0)
	v_readfirstlane_b32 s10, v2
	v_readfirstlane_b32 s11, v3
	s_and_b64 s[10:11], s[10:11], s[8:9]
	s_mul_i32 s11, s11, 24
	s_mul_hi_u32 s12, s10, 24
	s_mul_i32 s10, s10, 24
	s_add_i32 s12, s12, s11
	v_add_co_u32 v4, vcc_lo, v0, s10
	v_add_co_ci_u32_e32 v5, vcc_lo, s12, v1, vcc_lo
	s_mov_b32 s10, exec_lo
	global_store_dwordx2 v[4:5], v[14:15], off
	s_waitcnt_vscnt null, 0x0
	global_atomic_cmpswap_x2 v[2:3], v6, v[12:15], s[6:7] offset:32 glc
	s_waitcnt vmcnt(0)
	v_cmpx_ne_u64_e64 v[2:3], v[14:15]
	s_cbranch_execz .LBB12_558
; %bb.556:
	s_mov_b32 s11, 0
.LBB12_557:                             ; =>This Inner Loop Header: Depth=1
	v_mov_b32_e32 v0, s8
	v_mov_b32_e32 v1, s9
	s_sleep 1
	global_store_dwordx2 v[4:5], v[2:3], off
	s_waitcnt_vscnt null, 0x0
	global_atomic_cmpswap_x2 v[0:1], v6, v[0:3], s[6:7] offset:32 glc
	s_waitcnt vmcnt(0)
	v_cmp_eq_u64_e32 vcc_lo, v[0:1], v[2:3]
	v_mov_b32_e32 v3, v1
	v_mov_b32_e32 v2, v0
	s_or_b32 s11, vcc_lo, s11
	s_andn2_b32 exec_lo, exec_lo, s11
	s_cbranch_execnz .LBB12_557
.LBB12_558:
	s_or_b32 exec_lo, exec_lo, s10
	v_mov_b32_e32 v3, 0
	s_mov_b32 s11, exec_lo
	s_mov_b32 s10, exec_lo
	v_mbcnt_lo_u32_b32 v2, s11, 0
	global_load_dwordx2 v[0:1], v3, s[6:7] offset:16
	v_cmpx_eq_u32_e32 0, v2
	s_cbranch_execz .LBB12_560
; %bb.559:
	s_bcnt1_i32_b32 s11, s11
	v_mov_b32_e32 v2, s11
	s_waitcnt vmcnt(0)
	global_atomic_add_x2 v[0:1], v[2:3], off offset:8
.LBB12_560:
	s_or_b32 exec_lo, exec_lo, s10
	s_waitcnt vmcnt(0)
	global_load_dwordx2 v[2:3], v[0:1], off offset:16
	s_waitcnt vmcnt(0)
	v_cmp_eq_u64_e32 vcc_lo, 0, v[2:3]
	s_cbranch_vccnz .LBB12_562
; %bb.561:
	global_load_dword v0, v[0:1], off offset:24
	v_mov_b32_e32 v1, 0
	s_waitcnt vmcnt(0)
	v_and_b32_e32 v4, 0x7fffff, v0
	s_waitcnt_vscnt null, 0x0
	global_store_dwordx2 v[2:3], v[0:1], off
	v_readfirstlane_b32 m0, v4
	s_sendmsg sendmsg(MSG_INTERRUPT)
.LBB12_562:
	s_or_b32 exec_lo, exec_lo, s5
	s_branch .LBB12_566
	.p2align	6
.LBB12_563:                             ;   in Loop: Header=BB12_566 Depth=1
	s_or_b32 exec_lo, exec_lo, s5
	v_readfirstlane_b32 s5, v0
	s_cmp_eq_u32 s5, 0
	s_cbranch_scc1 .LBB12_565
; %bb.564:                              ;   in Loop: Header=BB12_566 Depth=1
	s_sleep 1
	s_cbranch_execnz .LBB12_566
	s_branch .LBB12_568
.LBB12_565:
	s_branch .LBB12_568
.LBB12_566:                             ; =>This Inner Loop Header: Depth=1
	v_mov_b32_e32 v0, 1
	s_and_saveexec_b32 s5, s4
	s_cbranch_execz .LBB12_563
; %bb.567:                              ;   in Loop: Header=BB12_566 Depth=1
	global_load_dword v0, v[8:9], off offset:20 glc dlc
	s_waitcnt vmcnt(0)
	buffer_gl1_inv
	buffer_gl0_inv
	v_and_b32_e32 v0, 1, v0
	s_branch .LBB12_563
.LBB12_568:
	global_load_dwordx2 v[0:1], v[10:11], off
	s_and_saveexec_b32 s5, s4
	s_cbranch_execz .LBB12_572
; %bb.569:
	v_mov_b32_e32 v8, 0
	s_clause 0x2
	global_load_dwordx2 v[4:5], v8, s[6:7] offset:40
	global_load_dwordx2 v[9:10], v8, s[6:7] offset:24 glc dlc
	global_load_dwordx2 v[6:7], v8, s[6:7]
	s_waitcnt vmcnt(2)
	v_add_co_u32 v11, vcc_lo, v4, 1
	v_add_co_ci_u32_e32 v12, vcc_lo, 0, v5, vcc_lo
	v_add_co_u32 v2, vcc_lo, v11, s8
	v_add_co_ci_u32_e32 v3, vcc_lo, s9, v12, vcc_lo
	v_cmp_eq_u64_e32 vcc_lo, 0, v[2:3]
	v_cndmask_b32_e32 v3, v3, v12, vcc_lo
	v_cndmask_b32_e32 v2, v2, v11, vcc_lo
	v_and_b32_e32 v5, v3, v5
	v_and_b32_e32 v4, v2, v4
	v_mul_lo_u32 v5, v5, 24
	v_mul_hi_u32 v11, v4, 24
	v_mul_lo_u32 v4, v4, 24
	v_add_nc_u32_e32 v5, v11, v5
	s_waitcnt vmcnt(0)
	v_add_co_u32 v6, vcc_lo, v6, v4
	v_mov_b32_e32 v4, v9
	v_add_co_ci_u32_e32 v7, vcc_lo, v7, v5, vcc_lo
	v_mov_b32_e32 v5, v10
	global_store_dwordx2 v[6:7], v[9:10], off
	s_waitcnt_vscnt null, 0x0
	global_atomic_cmpswap_x2 v[4:5], v8, v[2:5], s[6:7] offset:24 glc
	s_waitcnt vmcnt(0)
	v_cmp_ne_u64_e32 vcc_lo, v[4:5], v[9:10]
	s_and_b32 exec_lo, exec_lo, vcc_lo
	s_cbranch_execz .LBB12_572
; %bb.570:
	s_mov_b32 s4, 0
.LBB12_571:                             ; =>This Inner Loop Header: Depth=1
	s_sleep 1
	global_store_dwordx2 v[6:7], v[4:5], off
	s_waitcnt_vscnt null, 0x0
	global_atomic_cmpswap_x2 v[9:10], v8, v[2:5], s[6:7] offset:24 glc
	s_waitcnt vmcnt(0)
	v_cmp_eq_u64_e32 vcc_lo, v[9:10], v[4:5]
	v_mov_b32_e32 v4, v9
	v_mov_b32_e32 v5, v10
	s_or_b32 s4, vcc_lo, s4
	s_andn2_b32 exec_lo, exec_lo, s4
	s_cbranch_execnz .LBB12_571
.LBB12_572:
	s_or_b32 exec_lo, exec_lo, s5
.LBB12_573:
	s_getpc_b64 s[8:9]
	s_add_u32 s8, s8, .str.1@rel32@lo+4
	s_addc_u32 s9, s9, .str.1@rel32@hi+12
	s_cmp_lg_u64 s[8:9], 0
	s_cbranch_scc0 .LBB12_652
; %bb.574:
	s_waitcnt vmcnt(0)
	v_and_b32_e32 v6, -3, v0
	v_mov_b32_e32 v7, v1
	v_mov_b32_e32 v3, 0
	v_mov_b32_e32 v4, 2
	v_mov_b32_e32 v5, 1
	s_mov_b64 s[10:11], 0x53
	s_branch .LBB12_576
.LBB12_575:                             ;   in Loop: Header=BB12_576 Depth=1
	s_or_b32 exec_lo, exec_lo, s5
	s_sub_u32 s10, s10, s12
	s_subb_u32 s11, s11, s13
	s_add_u32 s8, s8, s12
	s_addc_u32 s9, s9, s13
	s_cmp_lg_u64 s[10:11], 0
	s_cbranch_scc0 .LBB12_651
.LBB12_576:                             ; =>This Loop Header: Depth=1
                                        ;     Child Loop BB12_585 Depth 2
                                        ;     Child Loop BB12_581 Depth 2
	;; [unrolled: 1-line block ×11, first 2 shown]
	v_cmp_lt_u64_e64 s4, s[10:11], 56
	v_cmp_gt_u64_e64 s5, s[10:11], 7
                                        ; implicit-def: $sgpr20
	s_and_b32 s4, s4, exec_lo
	s_cselect_b32 s13, s11, 0
	s_cselect_b32 s12, s10, 56
	s_and_b32 vcc_lo, exec_lo, s5
	s_mov_b32 s4, -1
	s_cbranch_vccz .LBB12_583
; %bb.577:                              ;   in Loop: Header=BB12_576 Depth=1
	s_andn2_b32 vcc_lo, exec_lo, s4
	s_mov_b64 s[4:5], s[8:9]
	s_cbranch_vccz .LBB12_587
.LBB12_578:                             ;   in Loop: Header=BB12_576 Depth=1
	s_cmp_gt_u32 s20, 7
	s_cbranch_scc1 .LBB12_588
.LBB12_579:                             ;   in Loop: Header=BB12_576 Depth=1
	v_mov_b32_e32 v10, 0
	v_mov_b32_e32 v11, 0
	s_cmp_eq_u32 s20, 0
	s_cbranch_scc1 .LBB12_582
; %bb.580:                              ;   in Loop: Header=BB12_576 Depth=1
	s_mov_b64 s[14:15], 0
	s_mov_b64 s[16:17], 0
.LBB12_581:                             ;   Parent Loop BB12_576 Depth=1
                                        ; =>  This Inner Loop Header: Depth=2
	s_add_u32 s22, s4, s16
	s_addc_u32 s23, s5, s17
	s_add_u32 s16, s16, 1
	global_load_ubyte v2, v3, s[22:23]
	s_addc_u32 s17, s17, 0
	s_waitcnt vmcnt(0)
	v_and_b32_e32 v2, 0xffff, v2
	v_lshlrev_b64 v[12:13], s14, v[2:3]
	s_add_u32 s14, s14, 8
	s_addc_u32 s15, s15, 0
	s_cmp_lg_u32 s20, s16
	v_or_b32_e32 v10, v12, v10
	v_or_b32_e32 v11, v13, v11
	s_cbranch_scc1 .LBB12_581
.LBB12_582:                             ;   in Loop: Header=BB12_576 Depth=1
	s_mov_b32 s21, 0
	s_cbranch_execz .LBB12_589
	s_branch .LBB12_590
.LBB12_583:                             ;   in Loop: Header=BB12_576 Depth=1
	s_waitcnt vmcnt(0)
	v_mov_b32_e32 v8, 0
	v_mov_b32_e32 v9, 0
	s_cmp_eq_u64 s[10:11], 0
	s_mov_b64 s[4:5], 0
	s_cbranch_scc1 .LBB12_586
; %bb.584:                              ;   in Loop: Header=BB12_576 Depth=1
	v_mov_b32_e32 v8, 0
	v_mov_b32_e32 v9, 0
	s_lshl_b64 s[14:15], s[12:13], 3
	s_mov_b64 s[16:17], s[8:9]
.LBB12_585:                             ;   Parent Loop BB12_576 Depth=1
                                        ; =>  This Inner Loop Header: Depth=2
	global_load_ubyte v2, v3, s[16:17]
	s_waitcnt vmcnt(0)
	v_and_b32_e32 v2, 0xffff, v2
	v_lshlrev_b64 v[10:11], s4, v[2:3]
	s_add_u32 s4, s4, 8
	s_addc_u32 s5, s5, 0
	s_add_u32 s16, s16, 1
	s_addc_u32 s17, s17, 0
	s_cmp_lg_u32 s14, s4
	v_or_b32_e32 v8, v10, v8
	v_or_b32_e32 v9, v11, v9
	s_cbranch_scc1 .LBB12_585
.LBB12_586:                             ;   in Loop: Header=BB12_576 Depth=1
	s_mov_b32 s20, 0
	s_mov_b64 s[4:5], s[8:9]
	s_cbranch_execnz .LBB12_578
.LBB12_587:                             ;   in Loop: Header=BB12_576 Depth=1
	global_load_dwordx2 v[8:9], v3, s[8:9]
	s_add_i32 s20, s12, -8
	s_add_u32 s4, s8, 8
	s_addc_u32 s5, s9, 0
	s_cmp_gt_u32 s20, 7
	s_cbranch_scc0 .LBB12_579
.LBB12_588:                             ;   in Loop: Header=BB12_576 Depth=1
                                        ; implicit-def: $vgpr10_vgpr11
                                        ; implicit-def: $sgpr21
.LBB12_589:                             ;   in Loop: Header=BB12_576 Depth=1
	global_load_dwordx2 v[10:11], v3, s[4:5]
	s_add_i32 s21, s20, -8
	s_add_u32 s4, s4, 8
	s_addc_u32 s5, s5, 0
.LBB12_590:                             ;   in Loop: Header=BB12_576 Depth=1
	s_cmp_gt_u32 s21, 7
	s_cbranch_scc1 .LBB12_595
; %bb.591:                              ;   in Loop: Header=BB12_576 Depth=1
	v_mov_b32_e32 v12, 0
	v_mov_b32_e32 v13, 0
	s_cmp_eq_u32 s21, 0
	s_cbranch_scc1 .LBB12_594
; %bb.592:                              ;   in Loop: Header=BB12_576 Depth=1
	s_mov_b64 s[14:15], 0
	s_mov_b64 s[16:17], 0
.LBB12_593:                             ;   Parent Loop BB12_576 Depth=1
                                        ; =>  This Inner Loop Header: Depth=2
	s_add_u32 s22, s4, s16
	s_addc_u32 s23, s5, s17
	s_add_u32 s16, s16, 1
	global_load_ubyte v2, v3, s[22:23]
	s_addc_u32 s17, s17, 0
	s_waitcnt vmcnt(0)
	v_and_b32_e32 v2, 0xffff, v2
	v_lshlrev_b64 v[14:15], s14, v[2:3]
	s_add_u32 s14, s14, 8
	s_addc_u32 s15, s15, 0
	s_cmp_lg_u32 s21, s16
	v_or_b32_e32 v12, v14, v12
	v_or_b32_e32 v13, v15, v13
	s_cbranch_scc1 .LBB12_593
.LBB12_594:                             ;   in Loop: Header=BB12_576 Depth=1
	s_mov_b32 s20, 0
	s_cbranch_execz .LBB12_596
	s_branch .LBB12_597
.LBB12_595:                             ;   in Loop: Header=BB12_576 Depth=1
                                        ; implicit-def: $sgpr20
.LBB12_596:                             ;   in Loop: Header=BB12_576 Depth=1
	global_load_dwordx2 v[12:13], v3, s[4:5]
	s_add_i32 s20, s21, -8
	s_add_u32 s4, s4, 8
	s_addc_u32 s5, s5, 0
.LBB12_597:                             ;   in Loop: Header=BB12_576 Depth=1
	s_cmp_gt_u32 s20, 7
	s_cbranch_scc1 .LBB12_602
; %bb.598:                              ;   in Loop: Header=BB12_576 Depth=1
	v_mov_b32_e32 v14, 0
	v_mov_b32_e32 v15, 0
	s_cmp_eq_u32 s20, 0
	s_cbranch_scc1 .LBB12_601
; %bb.599:                              ;   in Loop: Header=BB12_576 Depth=1
	s_mov_b64 s[14:15], 0
	s_mov_b64 s[16:17], 0
.LBB12_600:                             ;   Parent Loop BB12_576 Depth=1
                                        ; =>  This Inner Loop Header: Depth=2
	s_add_u32 s22, s4, s16
	s_addc_u32 s23, s5, s17
	s_add_u32 s16, s16, 1
	global_load_ubyte v2, v3, s[22:23]
	s_addc_u32 s17, s17, 0
	s_waitcnt vmcnt(0)
	v_and_b32_e32 v2, 0xffff, v2
	v_lshlrev_b64 v[16:17], s14, v[2:3]
	s_add_u32 s14, s14, 8
	s_addc_u32 s15, s15, 0
	s_cmp_lg_u32 s20, s16
	v_or_b32_e32 v14, v16, v14
	v_or_b32_e32 v15, v17, v15
	s_cbranch_scc1 .LBB12_600
.LBB12_601:                             ;   in Loop: Header=BB12_576 Depth=1
	s_mov_b32 s21, 0
	s_cbranch_execz .LBB12_603
	s_branch .LBB12_604
.LBB12_602:                             ;   in Loop: Header=BB12_576 Depth=1
                                        ; implicit-def: $vgpr14_vgpr15
                                        ; implicit-def: $sgpr21
.LBB12_603:                             ;   in Loop: Header=BB12_576 Depth=1
	global_load_dwordx2 v[14:15], v3, s[4:5]
	s_add_i32 s21, s20, -8
	s_add_u32 s4, s4, 8
	s_addc_u32 s5, s5, 0
.LBB12_604:                             ;   in Loop: Header=BB12_576 Depth=1
	s_cmp_gt_u32 s21, 7
	s_cbranch_scc1 .LBB12_609
; %bb.605:                              ;   in Loop: Header=BB12_576 Depth=1
	v_mov_b32_e32 v16, 0
	v_mov_b32_e32 v17, 0
	s_cmp_eq_u32 s21, 0
	s_cbranch_scc1 .LBB12_608
; %bb.606:                              ;   in Loop: Header=BB12_576 Depth=1
	s_mov_b64 s[14:15], 0
	s_mov_b64 s[16:17], 0
.LBB12_607:                             ;   Parent Loop BB12_576 Depth=1
                                        ; =>  This Inner Loop Header: Depth=2
	s_add_u32 s22, s4, s16
	s_addc_u32 s23, s5, s17
	s_add_u32 s16, s16, 1
	global_load_ubyte v2, v3, s[22:23]
	s_addc_u32 s17, s17, 0
	s_waitcnt vmcnt(0)
	v_and_b32_e32 v2, 0xffff, v2
	v_lshlrev_b64 v[18:19], s14, v[2:3]
	s_add_u32 s14, s14, 8
	s_addc_u32 s15, s15, 0
	s_cmp_lg_u32 s21, s16
	v_or_b32_e32 v16, v18, v16
	v_or_b32_e32 v17, v19, v17
	s_cbranch_scc1 .LBB12_607
.LBB12_608:                             ;   in Loop: Header=BB12_576 Depth=1
	s_mov_b32 s20, 0
	s_cbranch_execz .LBB12_610
	s_branch .LBB12_611
.LBB12_609:                             ;   in Loop: Header=BB12_576 Depth=1
                                        ; implicit-def: $sgpr20
.LBB12_610:                             ;   in Loop: Header=BB12_576 Depth=1
	global_load_dwordx2 v[16:17], v3, s[4:5]
	s_add_i32 s20, s21, -8
	s_add_u32 s4, s4, 8
	s_addc_u32 s5, s5, 0
.LBB12_611:                             ;   in Loop: Header=BB12_576 Depth=1
	s_cmp_gt_u32 s20, 7
	s_cbranch_scc1 .LBB12_616
; %bb.612:                              ;   in Loop: Header=BB12_576 Depth=1
	v_mov_b32_e32 v18, 0
	v_mov_b32_e32 v19, 0
	s_cmp_eq_u32 s20, 0
	s_cbranch_scc1 .LBB12_615
; %bb.613:                              ;   in Loop: Header=BB12_576 Depth=1
	s_mov_b64 s[14:15], 0
	s_mov_b64 s[16:17], 0
.LBB12_614:                             ;   Parent Loop BB12_576 Depth=1
                                        ; =>  This Inner Loop Header: Depth=2
	s_add_u32 s22, s4, s16
	s_addc_u32 s23, s5, s17
	s_add_u32 s16, s16, 1
	global_load_ubyte v2, v3, s[22:23]
	s_addc_u32 s17, s17, 0
	s_waitcnt vmcnt(0)
	v_and_b32_e32 v2, 0xffff, v2
	v_lshlrev_b64 v[20:21], s14, v[2:3]
	s_add_u32 s14, s14, 8
	s_addc_u32 s15, s15, 0
	s_cmp_lg_u32 s20, s16
	v_or_b32_e32 v18, v20, v18
	v_or_b32_e32 v19, v21, v19
	s_cbranch_scc1 .LBB12_614
.LBB12_615:                             ;   in Loop: Header=BB12_576 Depth=1
	s_mov_b32 s21, 0
	s_cbranch_execz .LBB12_617
	s_branch .LBB12_618
.LBB12_616:                             ;   in Loop: Header=BB12_576 Depth=1
                                        ; implicit-def: $vgpr18_vgpr19
                                        ; implicit-def: $sgpr21
.LBB12_617:                             ;   in Loop: Header=BB12_576 Depth=1
	global_load_dwordx2 v[18:19], v3, s[4:5]
	s_add_i32 s21, s20, -8
	s_add_u32 s4, s4, 8
	s_addc_u32 s5, s5, 0
.LBB12_618:                             ;   in Loop: Header=BB12_576 Depth=1
	s_cmp_gt_u32 s21, 7
	s_cbranch_scc1 .LBB12_623
; %bb.619:                              ;   in Loop: Header=BB12_576 Depth=1
	v_mov_b32_e32 v20, 0
	v_mov_b32_e32 v21, 0
	s_cmp_eq_u32 s21, 0
	s_cbranch_scc1 .LBB12_622
; %bb.620:                              ;   in Loop: Header=BB12_576 Depth=1
	s_mov_b64 s[14:15], 0
	s_mov_b64 s[16:17], s[4:5]
.LBB12_621:                             ;   Parent Loop BB12_576 Depth=1
                                        ; =>  This Inner Loop Header: Depth=2
	global_load_ubyte v2, v3, s[16:17]
	s_add_i32 s21, s21, -1
	s_waitcnt vmcnt(0)
	v_and_b32_e32 v2, 0xffff, v2
	v_lshlrev_b64 v[22:23], s14, v[2:3]
	s_add_u32 s14, s14, 8
	s_addc_u32 s15, s15, 0
	s_add_u32 s16, s16, 1
	s_addc_u32 s17, s17, 0
	s_cmp_lg_u32 s21, 0
	v_or_b32_e32 v20, v22, v20
	v_or_b32_e32 v21, v23, v21
	s_cbranch_scc1 .LBB12_621
.LBB12_622:                             ;   in Loop: Header=BB12_576 Depth=1
	s_cbranch_execz .LBB12_624
	s_branch .LBB12_625
.LBB12_623:                             ;   in Loop: Header=BB12_576 Depth=1
.LBB12_624:                             ;   in Loop: Header=BB12_576 Depth=1
	global_load_dwordx2 v[20:21], v3, s[4:5]
.LBB12_625:                             ;   in Loop: Header=BB12_576 Depth=1
	v_readfirstlane_b32 s4, v32
	v_mov_b32_e32 v26, 0
	v_mov_b32_e32 v27, 0
	v_cmp_eq_u32_e64 s4, s4, v32
	s_and_saveexec_b32 s5, s4
	s_cbranch_execz .LBB12_631
; %bb.626:                              ;   in Loop: Header=BB12_576 Depth=1
	global_load_dwordx2 v[24:25], v3, s[6:7] offset:24 glc dlc
	s_waitcnt vmcnt(0)
	buffer_gl1_inv
	buffer_gl0_inv
	s_clause 0x1
	global_load_dwordx2 v[22:23], v3, s[6:7] offset:40
	global_load_dwordx2 v[26:27], v3, s[6:7]
	s_mov_b32 s14, exec_lo
	s_waitcnt vmcnt(1)
	v_and_b32_e32 v2, v23, v25
	v_and_b32_e32 v22, v22, v24
	v_mul_lo_u32 v2, v2, 24
	v_mul_hi_u32 v23, v22, 24
	v_mul_lo_u32 v22, v22, 24
	v_add_nc_u32_e32 v2, v23, v2
	s_waitcnt vmcnt(0)
	v_add_co_u32 v22, vcc_lo, v26, v22
	v_add_co_ci_u32_e32 v23, vcc_lo, v27, v2, vcc_lo
	global_load_dwordx2 v[22:23], v[22:23], off glc dlc
	s_waitcnt vmcnt(0)
	global_atomic_cmpswap_x2 v[26:27], v3, v[22:25], s[6:7] offset:24 glc
	s_waitcnt vmcnt(0)
	buffer_gl1_inv
	buffer_gl0_inv
	v_cmpx_ne_u64_e64 v[26:27], v[24:25]
	s_cbranch_execz .LBB12_630
; %bb.627:                              ;   in Loop: Header=BB12_576 Depth=1
	s_mov_b32 s15, 0
	.p2align	6
.LBB12_628:                             ;   Parent Loop BB12_576 Depth=1
                                        ; =>  This Inner Loop Header: Depth=2
	s_sleep 1
	s_clause 0x1
	global_load_dwordx2 v[22:23], v3, s[6:7] offset:40
	global_load_dwordx2 v[28:29], v3, s[6:7]
	v_mov_b32_e32 v24, v26
	v_mov_b32_e32 v25, v27
	s_waitcnt vmcnt(1)
	v_and_b32_e32 v2, v22, v24
	v_and_b32_e32 v22, v23, v25
	s_waitcnt vmcnt(0)
	v_mad_u64_u32 v[26:27], null, v2, 24, v[28:29]
	v_mov_b32_e32 v2, v27
	v_mad_u64_u32 v[22:23], null, v22, 24, v[2:3]
	v_mov_b32_e32 v27, v22
	global_load_dwordx2 v[22:23], v[26:27], off glc dlc
	s_waitcnt vmcnt(0)
	global_atomic_cmpswap_x2 v[26:27], v3, v[22:25], s[6:7] offset:24 glc
	s_waitcnt vmcnt(0)
	buffer_gl1_inv
	buffer_gl0_inv
	v_cmp_eq_u64_e32 vcc_lo, v[26:27], v[24:25]
	s_or_b32 s15, vcc_lo, s15
	s_andn2_b32 exec_lo, exec_lo, s15
	s_cbranch_execnz .LBB12_628
; %bb.629:                              ;   in Loop: Header=BB12_576 Depth=1
	s_or_b32 exec_lo, exec_lo, s15
.LBB12_630:                             ;   in Loop: Header=BB12_576 Depth=1
	s_or_b32 exec_lo, exec_lo, s14
.LBB12_631:                             ;   in Loop: Header=BB12_576 Depth=1
	s_or_b32 exec_lo, exec_lo, s5
	s_clause 0x1
	global_load_dwordx2 v[28:29], v3, s[6:7] offset:40
	global_load_dwordx4 v[22:25], v3, s[6:7]
	v_readfirstlane_b32 s14, v26
	v_readfirstlane_b32 s15, v27
	s_mov_b32 s5, exec_lo
	s_waitcnt vmcnt(1)
	v_readfirstlane_b32 s16, v28
	v_readfirstlane_b32 s17, v29
	s_and_b64 s[16:17], s[14:15], s[16:17]
	s_mul_i32 s20, s17, 24
	s_mul_hi_u32 s21, s16, 24
	s_mul_i32 s22, s16, 24
	s_add_i32 s21, s21, s20
	s_waitcnt vmcnt(0)
	v_add_co_u32 v26, vcc_lo, v22, s22
	v_add_co_ci_u32_e32 v27, vcc_lo, s21, v23, vcc_lo
	s_and_saveexec_b32 s20, s4
	s_cbranch_execz .LBB12_633
; %bb.632:                              ;   in Loop: Header=BB12_576 Depth=1
	v_mov_b32_e32 v2, s5
	global_store_dwordx4 v[26:27], v[2:5], off offset:8
.LBB12_633:                             ;   in Loop: Header=BB12_576 Depth=1
	s_or_b32 exec_lo, exec_lo, s20
	s_lshl_b64 s[16:17], s[16:17], 12
	v_or_b32_e32 v2, 2, v6
	v_add_co_u32 v24, vcc_lo, v24, s16
	v_add_co_ci_u32_e32 v25, vcc_lo, s17, v25, vcc_lo
	v_cmp_gt_u64_e64 vcc_lo, s[10:11], 56
	s_lshl_b32 s5, s12, 2
	v_readfirstlane_b32 s16, v24
	s_add_i32 s5, s5, 28
	v_readfirstlane_b32 s17, v25
	s_and_b32 s5, s5, 0x1e0
	v_cndmask_b32_e32 v2, v2, v6, vcc_lo
	v_and_or_b32 v6, 0xffffff1f, v2, s5
	global_store_dwordx4 v31, v[10:13], s[16:17] offset:16
	global_store_dwordx4 v31, v[6:9], s[16:17]
	global_store_dwordx4 v31, v[14:17], s[16:17] offset:32
	global_store_dwordx4 v31, v[18:21], s[16:17] offset:48
	s_and_saveexec_b32 s5, s4
	s_cbranch_execz .LBB12_641
; %bb.634:                              ;   in Loop: Header=BB12_576 Depth=1
	s_clause 0x1
	global_load_dwordx2 v[14:15], v3, s[6:7] offset:32 glc dlc
	global_load_dwordx2 v[6:7], v3, s[6:7] offset:40
	v_mov_b32_e32 v12, s14
	v_mov_b32_e32 v13, s15
	s_waitcnt vmcnt(0)
	v_readfirstlane_b32 s16, v6
	v_readfirstlane_b32 s17, v7
	s_and_b64 s[16:17], s[16:17], s[14:15]
	s_mul_i32 s17, s17, 24
	s_mul_hi_u32 s20, s16, 24
	s_mul_i32 s16, s16, 24
	s_add_i32 s20, s20, s17
	v_add_co_u32 v10, vcc_lo, v22, s16
	v_add_co_ci_u32_e32 v11, vcc_lo, s20, v23, vcc_lo
	s_mov_b32 s16, exec_lo
	global_store_dwordx2 v[10:11], v[14:15], off
	s_waitcnt_vscnt null, 0x0
	global_atomic_cmpswap_x2 v[8:9], v3, v[12:15], s[6:7] offset:32 glc
	s_waitcnt vmcnt(0)
	v_cmpx_ne_u64_e64 v[8:9], v[14:15]
	s_cbranch_execz .LBB12_637
; %bb.635:                              ;   in Loop: Header=BB12_576 Depth=1
	s_mov_b32 s17, 0
.LBB12_636:                             ;   Parent Loop BB12_576 Depth=1
                                        ; =>  This Inner Loop Header: Depth=2
	v_mov_b32_e32 v6, s14
	v_mov_b32_e32 v7, s15
	s_sleep 1
	global_store_dwordx2 v[10:11], v[8:9], off
	s_waitcnt_vscnt null, 0x0
	global_atomic_cmpswap_x2 v[6:7], v3, v[6:9], s[6:7] offset:32 glc
	s_waitcnt vmcnt(0)
	v_cmp_eq_u64_e32 vcc_lo, v[6:7], v[8:9]
	v_mov_b32_e32 v9, v7
	v_mov_b32_e32 v8, v6
	s_or_b32 s17, vcc_lo, s17
	s_andn2_b32 exec_lo, exec_lo, s17
	s_cbranch_execnz .LBB12_636
.LBB12_637:                             ;   in Loop: Header=BB12_576 Depth=1
	s_or_b32 exec_lo, exec_lo, s16
	global_load_dwordx2 v[6:7], v3, s[6:7] offset:16
	s_mov_b32 s17, exec_lo
	s_mov_b32 s16, exec_lo
	v_mbcnt_lo_u32_b32 v2, s17, 0
	v_cmpx_eq_u32_e32 0, v2
	s_cbranch_execz .LBB12_639
; %bb.638:                              ;   in Loop: Header=BB12_576 Depth=1
	s_bcnt1_i32_b32 s17, s17
	v_mov_b32_e32 v2, s17
	s_waitcnt vmcnt(0)
	global_atomic_add_x2 v[6:7], v[2:3], off offset:8
.LBB12_639:                             ;   in Loop: Header=BB12_576 Depth=1
	s_or_b32 exec_lo, exec_lo, s16
	s_waitcnt vmcnt(0)
	global_load_dwordx2 v[8:9], v[6:7], off offset:16
	s_waitcnt vmcnt(0)
	v_cmp_eq_u64_e32 vcc_lo, 0, v[8:9]
	s_cbranch_vccnz .LBB12_641
; %bb.640:                              ;   in Loop: Header=BB12_576 Depth=1
	global_load_dword v2, v[6:7], off offset:24
	s_waitcnt vmcnt(0)
	v_and_b32_e32 v6, 0x7fffff, v2
	s_waitcnt_vscnt null, 0x0
	global_store_dwordx2 v[8:9], v[2:3], off
	v_readfirstlane_b32 m0, v6
	s_sendmsg sendmsg(MSG_INTERRUPT)
.LBB12_641:                             ;   in Loop: Header=BB12_576 Depth=1
	s_or_b32 exec_lo, exec_lo, s5
	v_add_co_u32 v6, vcc_lo, v24, v31
	v_add_co_ci_u32_e32 v7, vcc_lo, 0, v25, vcc_lo
	s_branch .LBB12_645
	.p2align	6
.LBB12_642:                             ;   in Loop: Header=BB12_645 Depth=2
	s_or_b32 exec_lo, exec_lo, s5
	v_readfirstlane_b32 s5, v2
	s_cmp_eq_u32 s5, 0
	s_cbranch_scc1 .LBB12_644
; %bb.643:                              ;   in Loop: Header=BB12_645 Depth=2
	s_sleep 1
	s_cbranch_execnz .LBB12_645
	s_branch .LBB12_647
	.p2align	6
.LBB12_644:                             ;   in Loop: Header=BB12_576 Depth=1
	s_branch .LBB12_647
.LBB12_645:                             ;   Parent Loop BB12_576 Depth=1
                                        ; =>  This Inner Loop Header: Depth=2
	v_mov_b32_e32 v2, 1
	s_and_saveexec_b32 s5, s4
	s_cbranch_execz .LBB12_642
; %bb.646:                              ;   in Loop: Header=BB12_645 Depth=2
	global_load_dword v2, v[26:27], off offset:20 glc dlc
	s_waitcnt vmcnt(0)
	buffer_gl1_inv
	buffer_gl0_inv
	v_and_b32_e32 v2, 1, v2
	s_branch .LBB12_642
.LBB12_647:                             ;   in Loop: Header=BB12_576 Depth=1
	global_load_dwordx4 v[6:9], v[6:7], off
	s_and_saveexec_b32 s5, s4
	s_cbranch_execz .LBB12_575
; %bb.648:                              ;   in Loop: Header=BB12_576 Depth=1
	s_clause 0x2
	global_load_dwordx2 v[10:11], v3, s[6:7] offset:40
	global_load_dwordx2 v[14:15], v3, s[6:7] offset:24 glc dlc
	global_load_dwordx2 v[12:13], v3, s[6:7]
	s_waitcnt vmcnt(2)
	v_add_co_u32 v2, vcc_lo, v10, 1
	v_add_co_ci_u32_e32 v16, vcc_lo, 0, v11, vcc_lo
	v_add_co_u32 v8, vcc_lo, v2, s14
	v_add_co_ci_u32_e32 v9, vcc_lo, s15, v16, vcc_lo
	v_cmp_eq_u64_e32 vcc_lo, 0, v[8:9]
	v_cndmask_b32_e32 v9, v9, v16, vcc_lo
	v_cndmask_b32_e32 v8, v8, v2, vcc_lo
	v_and_b32_e32 v2, v9, v11
	v_and_b32_e32 v10, v8, v10
	v_mul_lo_u32 v2, v2, 24
	v_mul_hi_u32 v11, v10, 24
	v_mul_lo_u32 v10, v10, 24
	v_add_nc_u32_e32 v2, v11, v2
	s_waitcnt vmcnt(0)
	v_add_co_u32 v12, vcc_lo, v12, v10
	v_mov_b32_e32 v10, v14
	v_mov_b32_e32 v11, v15
	v_add_co_ci_u32_e32 v13, vcc_lo, v13, v2, vcc_lo
	global_store_dwordx2 v[12:13], v[14:15], off
	s_waitcnt_vscnt null, 0x0
	global_atomic_cmpswap_x2 v[10:11], v3, v[8:11], s[6:7] offset:24 glc
	s_waitcnt vmcnt(0)
	v_cmp_ne_u64_e32 vcc_lo, v[10:11], v[14:15]
	s_and_b32 exec_lo, exec_lo, vcc_lo
	s_cbranch_execz .LBB12_575
; %bb.649:                              ;   in Loop: Header=BB12_576 Depth=1
	s_mov_b32 s4, 0
.LBB12_650:                             ;   Parent Loop BB12_576 Depth=1
                                        ; =>  This Inner Loop Header: Depth=2
	s_sleep 1
	global_store_dwordx2 v[12:13], v[10:11], off
	s_waitcnt_vscnt null, 0x0
	global_atomic_cmpswap_x2 v[14:15], v3, v[8:11], s[6:7] offset:24 glc
	s_waitcnt vmcnt(0)
	v_cmp_eq_u64_e32 vcc_lo, v[14:15], v[10:11]
	v_mov_b32_e32 v10, v14
	v_mov_b32_e32 v11, v15
	s_or_b32 s4, vcc_lo, s4
	s_andn2_b32 exec_lo, exec_lo, s4
	s_cbranch_execnz .LBB12_650
	s_branch .LBB12_575
.LBB12_651:
	s_mov_b32 s4, 0
	s_branch .LBB12_653
.LBB12_652:
	s_mov_b32 s4, -1
.LBB12_653:
	s_and_b32 vcc_lo, exec_lo, s4
	s_cbranch_vccz .LBB12_681
; %bb.654:
	v_readfirstlane_b32 s4, v32
	s_waitcnt vmcnt(0)
	v_mov_b32_e32 v8, 0
	v_mov_b32_e32 v9, 0
	v_cmp_eq_u32_e64 s4, s4, v32
	s_and_saveexec_b32 s5, s4
	s_cbranch_execz .LBB12_660
; %bb.655:
	v_mov_b32_e32 v2, 0
	s_mov_b32 s8, exec_lo
	global_load_dwordx2 v[5:6], v2, s[6:7] offset:24 glc dlc
	s_waitcnt vmcnt(0)
	buffer_gl1_inv
	buffer_gl0_inv
	s_clause 0x1
	global_load_dwordx2 v[3:4], v2, s[6:7] offset:40
	global_load_dwordx2 v[7:8], v2, s[6:7]
	s_waitcnt vmcnt(1)
	v_and_b32_e32 v4, v4, v6
	v_and_b32_e32 v3, v3, v5
	v_mul_lo_u32 v4, v4, 24
	v_mul_hi_u32 v9, v3, 24
	v_mul_lo_u32 v3, v3, 24
	v_add_nc_u32_e32 v4, v9, v4
	s_waitcnt vmcnt(0)
	v_add_co_u32 v3, vcc_lo, v7, v3
	v_add_co_ci_u32_e32 v4, vcc_lo, v8, v4, vcc_lo
	global_load_dwordx2 v[3:4], v[3:4], off glc dlc
	s_waitcnt vmcnt(0)
	global_atomic_cmpswap_x2 v[8:9], v2, v[3:6], s[6:7] offset:24 glc
	s_waitcnt vmcnt(0)
	buffer_gl1_inv
	buffer_gl0_inv
	v_cmpx_ne_u64_e64 v[8:9], v[5:6]
	s_cbranch_execz .LBB12_659
; %bb.656:
	s_mov_b32 s9, 0
.LBB12_657:                             ; =>This Inner Loop Header: Depth=1
	s_sleep 1
	s_clause 0x1
	global_load_dwordx2 v[3:4], v2, s[6:7] offset:40
	global_load_dwordx2 v[10:11], v2, s[6:7]
	v_mov_b32_e32 v5, v8
	v_mov_b32_e32 v6, v9
	s_waitcnt vmcnt(1)
	v_and_b32_e32 v3, v3, v5
	v_and_b32_e32 v4, v4, v6
	s_waitcnt vmcnt(0)
	v_mad_u64_u32 v[7:8], null, v3, 24, v[10:11]
	v_mov_b32_e32 v3, v8
	v_mad_u64_u32 v[3:4], null, v4, 24, v[3:4]
	v_mov_b32_e32 v8, v3
	global_load_dwordx2 v[3:4], v[7:8], off glc dlc
	s_waitcnt vmcnt(0)
	global_atomic_cmpswap_x2 v[8:9], v2, v[3:6], s[6:7] offset:24 glc
	s_waitcnt vmcnt(0)
	buffer_gl1_inv
	buffer_gl0_inv
	v_cmp_eq_u64_e32 vcc_lo, v[8:9], v[5:6]
	s_or_b32 s9, vcc_lo, s9
	s_andn2_b32 exec_lo, exec_lo, s9
	s_cbranch_execnz .LBB12_657
; %bb.658:
	s_or_b32 exec_lo, exec_lo, s9
.LBB12_659:
	s_or_b32 exec_lo, exec_lo, s8
.LBB12_660:
	s_or_b32 exec_lo, exec_lo, s5
	v_mov_b32_e32 v2, 0
	v_readfirstlane_b32 s8, v8
	v_readfirstlane_b32 s9, v9
	s_mov_b32 s5, exec_lo
	s_clause 0x1
	global_load_dwordx2 v[10:11], v2, s[6:7] offset:40
	global_load_dwordx4 v[4:7], v2, s[6:7]
	s_waitcnt vmcnt(1)
	v_readfirstlane_b32 s10, v10
	v_readfirstlane_b32 s11, v11
	s_and_b64 s[10:11], s[8:9], s[10:11]
	s_mul_i32 s12, s11, 24
	s_mul_hi_u32 s13, s10, 24
	s_mul_i32 s14, s10, 24
	s_add_i32 s13, s13, s12
	s_waitcnt vmcnt(0)
	v_add_co_u32 v8, vcc_lo, v4, s14
	v_add_co_ci_u32_e32 v9, vcc_lo, s13, v5, vcc_lo
	s_and_saveexec_b32 s12, s4
	s_cbranch_execz .LBB12_662
; %bb.661:
	v_mov_b32_e32 v10, s5
	v_mov_b32_e32 v11, v2
	;; [unrolled: 1-line block ×4, first 2 shown]
	global_store_dwordx4 v[8:9], v[10:13], off offset:8
.LBB12_662:
	s_or_b32 exec_lo, exec_lo, s12
	s_lshl_b64 s[10:11], s[10:11], 12
	s_mov_b32 s12, 0
	v_add_co_u32 v6, vcc_lo, v6, s10
	v_add_co_ci_u32_e32 v7, vcc_lo, s11, v7, vcc_lo
	s_mov_b32 s13, s12
	s_mov_b32 s14, s12
	;; [unrolled: 1-line block ×3, first 2 shown]
	v_and_or_b32 v0, 0xffffff1d, v0, 34
	v_mov_b32_e32 v3, v2
	v_readfirstlane_b32 s10, v6
	v_readfirstlane_b32 s11, v7
	v_mov_b32_e32 v10, s12
	v_mov_b32_e32 v11, s13
	;; [unrolled: 1-line block ×4, first 2 shown]
	global_store_dwordx4 v31, v[0:3], s[10:11]
	global_store_dwordx4 v31, v[10:13], s[10:11] offset:16
	global_store_dwordx4 v31, v[10:13], s[10:11] offset:32
	;; [unrolled: 1-line block ×3, first 2 shown]
	s_and_saveexec_b32 s5, s4
	s_cbranch_execz .LBB12_670
; %bb.663:
	v_mov_b32_e32 v6, 0
	v_mov_b32_e32 v10, s8
	;; [unrolled: 1-line block ×3, first 2 shown]
	s_clause 0x1
	global_load_dwordx2 v[12:13], v6, s[6:7] offset:32 glc dlc
	global_load_dwordx2 v[0:1], v6, s[6:7] offset:40
	s_waitcnt vmcnt(0)
	v_readfirstlane_b32 s10, v0
	v_readfirstlane_b32 s11, v1
	s_and_b64 s[10:11], s[10:11], s[8:9]
	s_mul_i32 s11, s11, 24
	s_mul_hi_u32 s12, s10, 24
	s_mul_i32 s10, s10, 24
	s_add_i32 s12, s12, s11
	v_add_co_u32 v4, vcc_lo, v4, s10
	v_add_co_ci_u32_e32 v5, vcc_lo, s12, v5, vcc_lo
	s_mov_b32 s10, exec_lo
	global_store_dwordx2 v[4:5], v[12:13], off
	s_waitcnt_vscnt null, 0x0
	global_atomic_cmpswap_x2 v[2:3], v6, v[10:13], s[6:7] offset:32 glc
	s_waitcnt vmcnt(0)
	v_cmpx_ne_u64_e64 v[2:3], v[12:13]
	s_cbranch_execz .LBB12_666
; %bb.664:
	s_mov_b32 s11, 0
.LBB12_665:                             ; =>This Inner Loop Header: Depth=1
	v_mov_b32_e32 v0, s8
	v_mov_b32_e32 v1, s9
	s_sleep 1
	global_store_dwordx2 v[4:5], v[2:3], off
	s_waitcnt_vscnt null, 0x0
	global_atomic_cmpswap_x2 v[0:1], v6, v[0:3], s[6:7] offset:32 glc
	s_waitcnt vmcnt(0)
	v_cmp_eq_u64_e32 vcc_lo, v[0:1], v[2:3]
	v_mov_b32_e32 v3, v1
	v_mov_b32_e32 v2, v0
	s_or_b32 s11, vcc_lo, s11
	s_andn2_b32 exec_lo, exec_lo, s11
	s_cbranch_execnz .LBB12_665
.LBB12_666:
	s_or_b32 exec_lo, exec_lo, s10
	v_mov_b32_e32 v3, 0
	s_mov_b32 s11, exec_lo
	s_mov_b32 s10, exec_lo
	v_mbcnt_lo_u32_b32 v2, s11, 0
	global_load_dwordx2 v[0:1], v3, s[6:7] offset:16
	v_cmpx_eq_u32_e32 0, v2
	s_cbranch_execz .LBB12_668
; %bb.667:
	s_bcnt1_i32_b32 s11, s11
	v_mov_b32_e32 v2, s11
	s_waitcnt vmcnt(0)
	global_atomic_add_x2 v[0:1], v[2:3], off offset:8
.LBB12_668:
	s_or_b32 exec_lo, exec_lo, s10
	s_waitcnt vmcnt(0)
	global_load_dwordx2 v[2:3], v[0:1], off offset:16
	s_waitcnt vmcnt(0)
	v_cmp_eq_u64_e32 vcc_lo, 0, v[2:3]
	s_cbranch_vccnz .LBB12_670
; %bb.669:
	global_load_dword v0, v[0:1], off offset:24
	v_mov_b32_e32 v1, 0
	s_waitcnt vmcnt(0)
	v_and_b32_e32 v4, 0x7fffff, v0
	s_waitcnt_vscnt null, 0x0
	global_store_dwordx2 v[2:3], v[0:1], off
	v_readfirstlane_b32 m0, v4
	s_sendmsg sendmsg(MSG_INTERRUPT)
.LBB12_670:
	s_or_b32 exec_lo, exec_lo, s5
	s_branch .LBB12_674
	.p2align	6
.LBB12_671:                             ;   in Loop: Header=BB12_674 Depth=1
	s_or_b32 exec_lo, exec_lo, s5
	v_readfirstlane_b32 s5, v0
	s_cmp_eq_u32 s5, 0
	s_cbranch_scc1 .LBB12_673
; %bb.672:                              ;   in Loop: Header=BB12_674 Depth=1
	s_sleep 1
	s_cbranch_execnz .LBB12_674
	s_branch .LBB12_676
.LBB12_673:
	s_branch .LBB12_676
.LBB12_674:                             ; =>This Inner Loop Header: Depth=1
	v_mov_b32_e32 v0, 1
	s_and_saveexec_b32 s5, s4
	s_cbranch_execz .LBB12_671
; %bb.675:                              ;   in Loop: Header=BB12_674 Depth=1
	global_load_dword v0, v[8:9], off offset:20 glc dlc
	s_waitcnt vmcnt(0)
	buffer_gl1_inv
	buffer_gl0_inv
	v_and_b32_e32 v0, 1, v0
	s_branch .LBB12_671
.LBB12_676:
	s_and_saveexec_b32 s5, s4
	s_cbranch_execz .LBB12_680
; %bb.677:
	v_mov_b32_e32 v6, 0
	s_clause 0x2
	global_load_dwordx2 v[2:3], v6, s[6:7] offset:40
	global_load_dwordx2 v[7:8], v6, s[6:7] offset:24 glc dlc
	global_load_dwordx2 v[4:5], v6, s[6:7]
	s_waitcnt vmcnt(2)
	v_add_co_u32 v9, vcc_lo, v2, 1
	v_add_co_ci_u32_e32 v10, vcc_lo, 0, v3, vcc_lo
	v_add_co_u32 v0, vcc_lo, v9, s8
	v_add_co_ci_u32_e32 v1, vcc_lo, s9, v10, vcc_lo
	v_cmp_eq_u64_e32 vcc_lo, 0, v[0:1]
	v_cndmask_b32_e32 v1, v1, v10, vcc_lo
	v_cndmask_b32_e32 v0, v0, v9, vcc_lo
	v_and_b32_e32 v3, v1, v3
	v_and_b32_e32 v2, v0, v2
	v_mul_lo_u32 v3, v3, 24
	v_mul_hi_u32 v9, v2, 24
	v_mul_lo_u32 v2, v2, 24
	v_add_nc_u32_e32 v3, v9, v3
	s_waitcnt vmcnt(0)
	v_add_co_u32 v4, vcc_lo, v4, v2
	v_mov_b32_e32 v2, v7
	v_add_co_ci_u32_e32 v5, vcc_lo, v5, v3, vcc_lo
	v_mov_b32_e32 v3, v8
	global_store_dwordx2 v[4:5], v[7:8], off
	s_waitcnt_vscnt null, 0x0
	global_atomic_cmpswap_x2 v[2:3], v6, v[0:3], s[6:7] offset:24 glc
	s_waitcnt vmcnt(0)
	v_cmp_ne_u64_e32 vcc_lo, v[2:3], v[7:8]
	s_and_b32 exec_lo, exec_lo, vcc_lo
	s_cbranch_execz .LBB12_680
; %bb.678:
	s_mov_b32 s4, 0
.LBB12_679:                             ; =>This Inner Loop Header: Depth=1
	s_sleep 1
	global_store_dwordx2 v[4:5], v[2:3], off
	s_waitcnt_vscnt null, 0x0
	global_atomic_cmpswap_x2 v[7:8], v6, v[0:3], s[6:7] offset:24 glc
	s_waitcnt vmcnt(0)
	v_cmp_eq_u64_e32 vcc_lo, v[7:8], v[2:3]
	v_mov_b32_e32 v2, v7
	v_mov_b32_e32 v3, v8
	s_or_b32 s4, vcc_lo, s4
	s_andn2_b32 exec_lo, exec_lo, s4
	s_cbranch_execnz .LBB12_679
.LBB12_680:
	s_or_b32 exec_lo, exec_lo, s5
.LBB12_681:
	v_readfirstlane_b32 s4, v32
	s_waitcnt vmcnt(0)
	v_mov_b32_e32 v6, 0
	v_mov_b32_e32 v7, 0
	v_cmp_eq_u32_e64 s4, s4, v32
	s_and_saveexec_b32 s5, s4
	s_cbranch_execz .LBB12_687
; %bb.682:
	v_mov_b32_e32 v0, 0
	s_mov_b32 s8, exec_lo
	global_load_dwordx2 v[3:4], v0, s[6:7] offset:24 glc dlc
	s_waitcnt vmcnt(0)
	buffer_gl1_inv
	buffer_gl0_inv
	s_clause 0x1
	global_load_dwordx2 v[1:2], v0, s[6:7] offset:40
	global_load_dwordx2 v[5:6], v0, s[6:7]
	s_waitcnt vmcnt(1)
	v_and_b32_e32 v2, v2, v4
	v_and_b32_e32 v1, v1, v3
	v_mul_lo_u32 v2, v2, 24
	v_mul_hi_u32 v7, v1, 24
	v_mul_lo_u32 v1, v1, 24
	v_add_nc_u32_e32 v2, v7, v2
	s_waitcnt vmcnt(0)
	v_add_co_u32 v1, vcc_lo, v5, v1
	v_add_co_ci_u32_e32 v2, vcc_lo, v6, v2, vcc_lo
	global_load_dwordx2 v[1:2], v[1:2], off glc dlc
	s_waitcnt vmcnt(0)
	global_atomic_cmpswap_x2 v[6:7], v0, v[1:4], s[6:7] offset:24 glc
	s_waitcnt vmcnt(0)
	buffer_gl1_inv
	buffer_gl0_inv
	v_cmpx_ne_u64_e64 v[6:7], v[3:4]
	s_cbranch_execz .LBB12_686
; %bb.683:
	s_mov_b32 s9, 0
.LBB12_684:                             ; =>This Inner Loop Header: Depth=1
	s_sleep 1
	s_clause 0x1
	global_load_dwordx2 v[1:2], v0, s[6:7] offset:40
	global_load_dwordx2 v[8:9], v0, s[6:7]
	v_mov_b32_e32 v3, v6
	v_mov_b32_e32 v4, v7
	s_waitcnt vmcnt(1)
	v_and_b32_e32 v1, v1, v3
	v_and_b32_e32 v2, v2, v4
	s_waitcnt vmcnt(0)
	v_mad_u64_u32 v[5:6], null, v1, 24, v[8:9]
	v_mov_b32_e32 v1, v6
	v_mad_u64_u32 v[1:2], null, v2, 24, v[1:2]
	v_mov_b32_e32 v6, v1
	global_load_dwordx2 v[1:2], v[5:6], off glc dlc
	s_waitcnt vmcnt(0)
	global_atomic_cmpswap_x2 v[6:7], v0, v[1:4], s[6:7] offset:24 glc
	s_waitcnt vmcnt(0)
	buffer_gl1_inv
	buffer_gl0_inv
	v_cmp_eq_u64_e32 vcc_lo, v[6:7], v[3:4]
	s_or_b32 s9, vcc_lo, s9
	s_andn2_b32 exec_lo, exec_lo, s9
	s_cbranch_execnz .LBB12_684
; %bb.685:
	s_or_b32 exec_lo, exec_lo, s9
.LBB12_686:
	s_or_b32 exec_lo, exec_lo, s8
.LBB12_687:
	s_or_b32 exec_lo, exec_lo, s5
	v_mov_b32_e32 v5, 0
	v_readfirstlane_b32 s8, v6
	v_readfirstlane_b32 s9, v7
	s_mov_b32 s5, exec_lo
	s_clause 0x1
	global_load_dwordx2 v[8:9], v5, s[6:7] offset:40
	global_load_dwordx4 v[0:3], v5, s[6:7]
	s_waitcnt vmcnt(1)
	v_readfirstlane_b32 s10, v8
	v_readfirstlane_b32 s11, v9
	s_and_b64 s[10:11], s[8:9], s[10:11]
	s_mul_i32 s12, s11, 24
	s_mul_hi_u32 s13, s10, 24
	s_mul_i32 s14, s10, 24
	s_add_i32 s13, s13, s12
	s_waitcnt vmcnt(0)
	v_add_co_u32 v8, vcc_lo, v0, s14
	v_add_co_ci_u32_e32 v9, vcc_lo, s13, v1, vcc_lo
	s_and_saveexec_b32 s12, s4
	s_cbranch_execz .LBB12_689
; %bb.688:
	v_mov_b32_e32 v4, s5
	v_mov_b32_e32 v6, 2
	;; [unrolled: 1-line block ×3, first 2 shown]
	global_store_dwordx4 v[8:9], v[4:7], off offset:8
.LBB12_689:
	s_or_b32 exec_lo, exec_lo, s12
	s_lshl_b64 s[10:11], s[10:11], 12
	s_mov_b32 s12, 0
	v_add_co_u32 v2, vcc_lo, v2, s10
	v_add_co_ci_u32_e32 v3, vcc_lo, s11, v3, vcc_lo
	s_mov_b32 s13, s12
	v_add_co_u32 v10, vcc_lo, v2, v31
	s_mov_b32 s14, s12
	s_mov_b32 s15, s12
	v_mov_b32_e32 v4, 33
	v_mov_b32_e32 v6, v5
	v_mov_b32_e32 v7, v5
	v_readfirstlane_b32 s10, v2
	v_readfirstlane_b32 s11, v3
	v_mov_b32_e32 v12, s12
	v_add_co_ci_u32_e32 v11, vcc_lo, 0, v3, vcc_lo
	v_mov_b32_e32 v13, s13
	v_mov_b32_e32 v14, s14
	;; [unrolled: 1-line block ×3, first 2 shown]
	global_store_dwordx4 v31, v[4:7], s[10:11]
	global_store_dwordx4 v31, v[12:15], s[10:11] offset:16
	global_store_dwordx4 v31, v[12:15], s[10:11] offset:32
	;; [unrolled: 1-line block ×3, first 2 shown]
	s_and_saveexec_b32 s5, s4
	s_cbranch_execz .LBB12_697
; %bb.690:
	v_mov_b32_e32 v6, 0
	v_mov_b32_e32 v12, s8
	;; [unrolled: 1-line block ×3, first 2 shown]
	s_clause 0x1
	global_load_dwordx2 v[14:15], v6, s[6:7] offset:32 glc dlc
	global_load_dwordx2 v[2:3], v6, s[6:7] offset:40
	s_waitcnt vmcnt(0)
	v_readfirstlane_b32 s10, v2
	v_readfirstlane_b32 s11, v3
	s_and_b64 s[10:11], s[10:11], s[8:9]
	s_mul_i32 s11, s11, 24
	s_mul_hi_u32 s12, s10, 24
	s_mul_i32 s10, s10, 24
	s_add_i32 s12, s12, s11
	v_add_co_u32 v4, vcc_lo, v0, s10
	v_add_co_ci_u32_e32 v5, vcc_lo, s12, v1, vcc_lo
	s_mov_b32 s10, exec_lo
	global_store_dwordx2 v[4:5], v[14:15], off
	s_waitcnt_vscnt null, 0x0
	global_atomic_cmpswap_x2 v[2:3], v6, v[12:15], s[6:7] offset:32 glc
	s_waitcnt vmcnt(0)
	v_cmpx_ne_u64_e64 v[2:3], v[14:15]
	s_cbranch_execz .LBB12_693
; %bb.691:
	s_mov_b32 s11, 0
.LBB12_692:                             ; =>This Inner Loop Header: Depth=1
	v_mov_b32_e32 v0, s8
	v_mov_b32_e32 v1, s9
	s_sleep 1
	global_store_dwordx2 v[4:5], v[2:3], off
	s_waitcnt_vscnt null, 0x0
	global_atomic_cmpswap_x2 v[0:1], v6, v[0:3], s[6:7] offset:32 glc
	s_waitcnt vmcnt(0)
	v_cmp_eq_u64_e32 vcc_lo, v[0:1], v[2:3]
	v_mov_b32_e32 v3, v1
	v_mov_b32_e32 v2, v0
	s_or_b32 s11, vcc_lo, s11
	s_andn2_b32 exec_lo, exec_lo, s11
	s_cbranch_execnz .LBB12_692
.LBB12_693:
	s_or_b32 exec_lo, exec_lo, s10
	v_mov_b32_e32 v3, 0
	s_mov_b32 s11, exec_lo
	s_mov_b32 s10, exec_lo
	v_mbcnt_lo_u32_b32 v2, s11, 0
	global_load_dwordx2 v[0:1], v3, s[6:7] offset:16
	v_cmpx_eq_u32_e32 0, v2
	s_cbranch_execz .LBB12_695
; %bb.694:
	s_bcnt1_i32_b32 s11, s11
	v_mov_b32_e32 v2, s11
	s_waitcnt vmcnt(0)
	global_atomic_add_x2 v[0:1], v[2:3], off offset:8
.LBB12_695:
	s_or_b32 exec_lo, exec_lo, s10
	s_waitcnt vmcnt(0)
	global_load_dwordx2 v[2:3], v[0:1], off offset:16
	s_waitcnt vmcnt(0)
	v_cmp_eq_u64_e32 vcc_lo, 0, v[2:3]
	s_cbranch_vccnz .LBB12_697
; %bb.696:
	global_load_dword v0, v[0:1], off offset:24
	v_mov_b32_e32 v1, 0
	s_waitcnt vmcnt(0)
	v_and_b32_e32 v4, 0x7fffff, v0
	s_waitcnt_vscnt null, 0x0
	global_store_dwordx2 v[2:3], v[0:1], off
	v_readfirstlane_b32 m0, v4
	s_sendmsg sendmsg(MSG_INTERRUPT)
.LBB12_697:
	s_or_b32 exec_lo, exec_lo, s5
	s_branch .LBB12_701
	.p2align	6
.LBB12_698:                             ;   in Loop: Header=BB12_701 Depth=1
	s_or_b32 exec_lo, exec_lo, s5
	v_readfirstlane_b32 s5, v0
	s_cmp_eq_u32 s5, 0
	s_cbranch_scc1 .LBB12_700
; %bb.699:                              ;   in Loop: Header=BB12_701 Depth=1
	s_sleep 1
	s_cbranch_execnz .LBB12_701
	s_branch .LBB12_703
	.p2align	6
.LBB12_700:
	s_branch .LBB12_703
.LBB12_701:                             ; =>This Inner Loop Header: Depth=1
	v_mov_b32_e32 v0, 1
	s_and_saveexec_b32 s5, s4
	s_cbranch_execz .LBB12_698
; %bb.702:                              ;   in Loop: Header=BB12_701 Depth=1
	global_load_dword v0, v[8:9], off offset:20 glc dlc
	s_waitcnt vmcnt(0)
	buffer_gl1_inv
	buffer_gl0_inv
	v_and_b32_e32 v0, 1, v0
	s_branch .LBB12_698
.LBB12_703:
	global_load_dwordx2 v[0:1], v[10:11], off
	s_and_saveexec_b32 s5, s4
	s_cbranch_execz .LBB12_707
; %bb.704:
	v_mov_b32_e32 v8, 0
	s_clause 0x2
	global_load_dwordx2 v[4:5], v8, s[6:7] offset:40
	global_load_dwordx2 v[9:10], v8, s[6:7] offset:24 glc dlc
	global_load_dwordx2 v[6:7], v8, s[6:7]
	s_waitcnt vmcnt(2)
	v_add_co_u32 v11, vcc_lo, v4, 1
	v_add_co_ci_u32_e32 v12, vcc_lo, 0, v5, vcc_lo
	v_add_co_u32 v2, vcc_lo, v11, s8
	v_add_co_ci_u32_e32 v3, vcc_lo, s9, v12, vcc_lo
	v_cmp_eq_u64_e32 vcc_lo, 0, v[2:3]
	v_cndmask_b32_e32 v3, v3, v12, vcc_lo
	v_cndmask_b32_e32 v2, v2, v11, vcc_lo
	v_and_b32_e32 v5, v3, v5
	v_and_b32_e32 v4, v2, v4
	v_mul_lo_u32 v5, v5, 24
	v_mul_hi_u32 v11, v4, 24
	v_mul_lo_u32 v4, v4, 24
	v_add_nc_u32_e32 v5, v11, v5
	s_waitcnt vmcnt(0)
	v_add_co_u32 v6, vcc_lo, v6, v4
	v_mov_b32_e32 v4, v9
	v_add_co_ci_u32_e32 v7, vcc_lo, v7, v5, vcc_lo
	v_mov_b32_e32 v5, v10
	global_store_dwordx2 v[6:7], v[9:10], off
	s_waitcnt_vscnt null, 0x0
	global_atomic_cmpswap_x2 v[4:5], v8, v[2:5], s[6:7] offset:24 glc
	s_waitcnt vmcnt(0)
	v_cmp_ne_u64_e32 vcc_lo, v[4:5], v[9:10]
	s_and_b32 exec_lo, exec_lo, vcc_lo
	s_cbranch_execz .LBB12_707
; %bb.705:
	s_mov_b32 s4, 0
.LBB12_706:                             ; =>This Inner Loop Header: Depth=1
	s_sleep 1
	global_store_dwordx2 v[6:7], v[4:5], off
	s_waitcnt_vscnt null, 0x0
	global_atomic_cmpswap_x2 v[9:10], v8, v[2:5], s[6:7] offset:24 glc
	s_waitcnt vmcnt(0)
	v_cmp_eq_u64_e32 vcc_lo, v[9:10], v[4:5]
	v_mov_b32_e32 v4, v9
	v_mov_b32_e32 v5, v10
	s_or_b32 s4, vcc_lo, s4
	s_andn2_b32 exec_lo, exec_lo, s4
	s_cbranch_execnz .LBB12_706
.LBB12_707:
	s_or_b32 exec_lo, exec_lo, s5
	s_and_b32 vcc_lo, exec_lo, s19
	s_cbranch_vccz .LBB12_786
; %bb.708:
	s_waitcnt vmcnt(0)
	v_and_b32_e32 v33, 2, v0
	v_mov_b32_e32 v6, 0
	v_and_b32_e32 v2, -3, v0
	v_mov_b32_e32 v3, v1
	v_mov_b32_e32 v7, 2
	v_mov_b32_e32 v8, 1
	s_mov_b64 s[10:11], 3
	s_getpc_b64 s[8:9]
	s_add_u32 s8, s8, .str.6@rel32@lo+4
	s_addc_u32 s9, s9, .str.6@rel32@hi+12
	s_branch .LBB12_710
.LBB12_709:                             ;   in Loop: Header=BB12_710 Depth=1
	s_or_b32 exec_lo, exec_lo, s5
	s_sub_u32 s10, s10, s12
	s_subb_u32 s11, s11, s13
	s_add_u32 s8, s8, s12
	s_addc_u32 s9, s9, s13
	s_cmp_lg_u64 s[10:11], 0
	s_cbranch_scc0 .LBB12_785
.LBB12_710:                             ; =>This Loop Header: Depth=1
                                        ;     Child Loop BB12_719 Depth 2
                                        ;     Child Loop BB12_715 Depth 2
	;; [unrolled: 1-line block ×11, first 2 shown]
	v_cmp_lt_u64_e64 s4, s[10:11], 56
	v_cmp_gt_u64_e64 s5, s[10:11], 7
                                        ; implicit-def: $vgpr11_vgpr12
                                        ; implicit-def: $sgpr20
	s_and_b32 s4, s4, exec_lo
	s_cselect_b32 s13, s11, 0
	s_cselect_b32 s12, s10, 56
	s_and_b32 vcc_lo, exec_lo, s5
	s_mov_b32 s4, -1
	s_cbranch_vccz .LBB12_717
; %bb.711:                              ;   in Loop: Header=BB12_710 Depth=1
	s_andn2_b32 vcc_lo, exec_lo, s4
	s_mov_b64 s[4:5], s[8:9]
	s_cbranch_vccz .LBB12_721
.LBB12_712:                             ;   in Loop: Header=BB12_710 Depth=1
	s_cmp_gt_u32 s20, 7
	s_cbranch_scc1 .LBB12_722
.LBB12_713:                             ;   in Loop: Header=BB12_710 Depth=1
	v_mov_b32_e32 v13, 0
	v_mov_b32_e32 v14, 0
	s_cmp_eq_u32 s20, 0
	s_cbranch_scc1 .LBB12_716
; %bb.714:                              ;   in Loop: Header=BB12_710 Depth=1
	s_mov_b64 s[14:15], 0
	s_mov_b64 s[16:17], 0
.LBB12_715:                             ;   Parent Loop BB12_710 Depth=1
                                        ; =>  This Inner Loop Header: Depth=2
	s_add_u32 s22, s4, s16
	s_addc_u32 s23, s5, s17
	s_add_u32 s16, s16, 1
	global_load_ubyte v4, v6, s[22:23]
	s_addc_u32 s17, s17, 0
	s_waitcnt vmcnt(0)
	v_and_b32_e32 v5, 0xffff, v4
	v_lshlrev_b64 v[4:5], s14, v[5:6]
	s_add_u32 s14, s14, 8
	s_addc_u32 s15, s15, 0
	s_cmp_lg_u32 s20, s16
	v_or_b32_e32 v13, v4, v13
	v_or_b32_e32 v14, v5, v14
	s_cbranch_scc1 .LBB12_715
.LBB12_716:                             ;   in Loop: Header=BB12_710 Depth=1
	s_mov_b32 s21, 0
	s_cbranch_execz .LBB12_723
	s_branch .LBB12_724
.LBB12_717:                             ;   in Loop: Header=BB12_710 Depth=1
	v_mov_b32_e32 v11, 0
	v_mov_b32_e32 v12, 0
	s_cmp_eq_u64 s[10:11], 0
	s_mov_b64 s[4:5], 0
	s_cbranch_scc1 .LBB12_720
; %bb.718:                              ;   in Loop: Header=BB12_710 Depth=1
	v_mov_b32_e32 v11, 0
	v_mov_b32_e32 v12, 0
	s_lshl_b64 s[14:15], s[12:13], 3
	s_mov_b64 s[16:17], s[8:9]
.LBB12_719:                             ;   Parent Loop BB12_710 Depth=1
                                        ; =>  This Inner Loop Header: Depth=2
	global_load_ubyte v4, v6, s[16:17]
	s_waitcnt vmcnt(0)
	v_and_b32_e32 v5, 0xffff, v4
	v_lshlrev_b64 v[4:5], s4, v[5:6]
	s_add_u32 s4, s4, 8
	s_addc_u32 s5, s5, 0
	s_add_u32 s16, s16, 1
	s_addc_u32 s17, s17, 0
	s_cmp_lg_u32 s14, s4
	v_or_b32_e32 v11, v4, v11
	v_or_b32_e32 v12, v5, v12
	s_cbranch_scc1 .LBB12_719
.LBB12_720:                             ;   in Loop: Header=BB12_710 Depth=1
	s_mov_b32 s20, 0
	s_mov_b64 s[4:5], s[8:9]
	s_cbranch_execnz .LBB12_712
.LBB12_721:                             ;   in Loop: Header=BB12_710 Depth=1
	global_load_dwordx2 v[11:12], v6, s[8:9]
	s_add_i32 s20, s12, -8
	s_add_u32 s4, s8, 8
	s_addc_u32 s5, s9, 0
	s_cmp_gt_u32 s20, 7
	s_cbranch_scc0 .LBB12_713
.LBB12_722:                             ;   in Loop: Header=BB12_710 Depth=1
                                        ; implicit-def: $vgpr13_vgpr14
                                        ; implicit-def: $sgpr21
.LBB12_723:                             ;   in Loop: Header=BB12_710 Depth=1
	global_load_dwordx2 v[13:14], v6, s[4:5]
	s_add_i32 s21, s20, -8
	s_add_u32 s4, s4, 8
	s_addc_u32 s5, s5, 0
.LBB12_724:                             ;   in Loop: Header=BB12_710 Depth=1
	s_cmp_gt_u32 s21, 7
	s_cbranch_scc1 .LBB12_729
; %bb.725:                              ;   in Loop: Header=BB12_710 Depth=1
	v_mov_b32_e32 v15, 0
	v_mov_b32_e32 v16, 0
	s_cmp_eq_u32 s21, 0
	s_cbranch_scc1 .LBB12_728
; %bb.726:                              ;   in Loop: Header=BB12_710 Depth=1
	s_mov_b64 s[14:15], 0
	s_mov_b64 s[16:17], 0
.LBB12_727:                             ;   Parent Loop BB12_710 Depth=1
                                        ; =>  This Inner Loop Header: Depth=2
	s_add_u32 s22, s4, s16
	s_addc_u32 s23, s5, s17
	s_add_u32 s16, s16, 1
	global_load_ubyte v4, v6, s[22:23]
	s_addc_u32 s17, s17, 0
	s_waitcnt vmcnt(0)
	v_and_b32_e32 v5, 0xffff, v4
	v_lshlrev_b64 v[4:5], s14, v[5:6]
	s_add_u32 s14, s14, 8
	s_addc_u32 s15, s15, 0
	s_cmp_lg_u32 s21, s16
	v_or_b32_e32 v15, v4, v15
	v_or_b32_e32 v16, v5, v16
	s_cbranch_scc1 .LBB12_727
.LBB12_728:                             ;   in Loop: Header=BB12_710 Depth=1
	s_mov_b32 s20, 0
	s_cbranch_execz .LBB12_730
	s_branch .LBB12_731
.LBB12_729:                             ;   in Loop: Header=BB12_710 Depth=1
                                        ; implicit-def: $sgpr20
.LBB12_730:                             ;   in Loop: Header=BB12_710 Depth=1
	global_load_dwordx2 v[15:16], v6, s[4:5]
	s_add_i32 s20, s21, -8
	s_add_u32 s4, s4, 8
	s_addc_u32 s5, s5, 0
.LBB12_731:                             ;   in Loop: Header=BB12_710 Depth=1
	s_cmp_gt_u32 s20, 7
	s_cbranch_scc1 .LBB12_736
; %bb.732:                              ;   in Loop: Header=BB12_710 Depth=1
	v_mov_b32_e32 v17, 0
	v_mov_b32_e32 v18, 0
	s_cmp_eq_u32 s20, 0
	s_cbranch_scc1 .LBB12_735
; %bb.733:                              ;   in Loop: Header=BB12_710 Depth=1
	s_mov_b64 s[14:15], 0
	s_mov_b64 s[16:17], 0
.LBB12_734:                             ;   Parent Loop BB12_710 Depth=1
                                        ; =>  This Inner Loop Header: Depth=2
	s_add_u32 s22, s4, s16
	s_addc_u32 s23, s5, s17
	s_add_u32 s16, s16, 1
	global_load_ubyte v4, v6, s[22:23]
	s_addc_u32 s17, s17, 0
	s_waitcnt vmcnt(0)
	v_and_b32_e32 v5, 0xffff, v4
	v_lshlrev_b64 v[4:5], s14, v[5:6]
	s_add_u32 s14, s14, 8
	s_addc_u32 s15, s15, 0
	s_cmp_lg_u32 s20, s16
	v_or_b32_e32 v17, v4, v17
	v_or_b32_e32 v18, v5, v18
	s_cbranch_scc1 .LBB12_734
.LBB12_735:                             ;   in Loop: Header=BB12_710 Depth=1
	s_mov_b32 s21, 0
	s_cbranch_execz .LBB12_737
	s_branch .LBB12_738
.LBB12_736:                             ;   in Loop: Header=BB12_710 Depth=1
                                        ; implicit-def: $vgpr17_vgpr18
                                        ; implicit-def: $sgpr21
.LBB12_737:                             ;   in Loop: Header=BB12_710 Depth=1
	global_load_dwordx2 v[17:18], v6, s[4:5]
	s_add_i32 s21, s20, -8
	s_add_u32 s4, s4, 8
	s_addc_u32 s5, s5, 0
.LBB12_738:                             ;   in Loop: Header=BB12_710 Depth=1
	s_cmp_gt_u32 s21, 7
	s_cbranch_scc1 .LBB12_743
; %bb.739:                              ;   in Loop: Header=BB12_710 Depth=1
	v_mov_b32_e32 v19, 0
	v_mov_b32_e32 v20, 0
	s_cmp_eq_u32 s21, 0
	s_cbranch_scc1 .LBB12_742
; %bb.740:                              ;   in Loop: Header=BB12_710 Depth=1
	s_mov_b64 s[14:15], 0
	s_mov_b64 s[16:17], 0
.LBB12_741:                             ;   Parent Loop BB12_710 Depth=1
                                        ; =>  This Inner Loop Header: Depth=2
	s_add_u32 s22, s4, s16
	s_addc_u32 s23, s5, s17
	s_add_u32 s16, s16, 1
	global_load_ubyte v4, v6, s[22:23]
	s_addc_u32 s17, s17, 0
	s_waitcnt vmcnt(0)
	v_and_b32_e32 v5, 0xffff, v4
	v_lshlrev_b64 v[4:5], s14, v[5:6]
	s_add_u32 s14, s14, 8
	s_addc_u32 s15, s15, 0
	s_cmp_lg_u32 s21, s16
	v_or_b32_e32 v19, v4, v19
	v_or_b32_e32 v20, v5, v20
	s_cbranch_scc1 .LBB12_741
.LBB12_742:                             ;   in Loop: Header=BB12_710 Depth=1
	s_mov_b32 s20, 0
	s_cbranch_execz .LBB12_744
	s_branch .LBB12_745
.LBB12_743:                             ;   in Loop: Header=BB12_710 Depth=1
                                        ; implicit-def: $sgpr20
.LBB12_744:                             ;   in Loop: Header=BB12_710 Depth=1
	global_load_dwordx2 v[19:20], v6, s[4:5]
	s_add_i32 s20, s21, -8
	s_add_u32 s4, s4, 8
	s_addc_u32 s5, s5, 0
.LBB12_745:                             ;   in Loop: Header=BB12_710 Depth=1
	s_cmp_gt_u32 s20, 7
	s_cbranch_scc1 .LBB12_750
; %bb.746:                              ;   in Loop: Header=BB12_710 Depth=1
	v_mov_b32_e32 v21, 0
	v_mov_b32_e32 v22, 0
	s_cmp_eq_u32 s20, 0
	s_cbranch_scc1 .LBB12_749
; %bb.747:                              ;   in Loop: Header=BB12_710 Depth=1
	s_mov_b64 s[14:15], 0
	s_mov_b64 s[16:17], 0
.LBB12_748:                             ;   Parent Loop BB12_710 Depth=1
                                        ; =>  This Inner Loop Header: Depth=2
	s_add_u32 s22, s4, s16
	s_addc_u32 s23, s5, s17
	s_add_u32 s16, s16, 1
	global_load_ubyte v4, v6, s[22:23]
	s_addc_u32 s17, s17, 0
	s_waitcnt vmcnt(0)
	v_and_b32_e32 v5, 0xffff, v4
	v_lshlrev_b64 v[4:5], s14, v[5:6]
	s_add_u32 s14, s14, 8
	s_addc_u32 s15, s15, 0
	s_cmp_lg_u32 s20, s16
	v_or_b32_e32 v21, v4, v21
	v_or_b32_e32 v22, v5, v22
	s_cbranch_scc1 .LBB12_748
.LBB12_749:                             ;   in Loop: Header=BB12_710 Depth=1
	s_mov_b32 s21, 0
	s_cbranch_execz .LBB12_751
	s_branch .LBB12_752
.LBB12_750:                             ;   in Loop: Header=BB12_710 Depth=1
                                        ; implicit-def: $vgpr21_vgpr22
                                        ; implicit-def: $sgpr21
.LBB12_751:                             ;   in Loop: Header=BB12_710 Depth=1
	global_load_dwordx2 v[21:22], v6, s[4:5]
	s_add_i32 s21, s20, -8
	s_add_u32 s4, s4, 8
	s_addc_u32 s5, s5, 0
.LBB12_752:                             ;   in Loop: Header=BB12_710 Depth=1
	s_cmp_gt_u32 s21, 7
	s_cbranch_scc1 .LBB12_757
; %bb.753:                              ;   in Loop: Header=BB12_710 Depth=1
	v_mov_b32_e32 v23, 0
	v_mov_b32_e32 v24, 0
	s_cmp_eq_u32 s21, 0
	s_cbranch_scc1 .LBB12_756
; %bb.754:                              ;   in Loop: Header=BB12_710 Depth=1
	s_mov_b64 s[14:15], 0
	s_mov_b64 s[16:17], s[4:5]
.LBB12_755:                             ;   Parent Loop BB12_710 Depth=1
                                        ; =>  This Inner Loop Header: Depth=2
	global_load_ubyte v4, v6, s[16:17]
	s_add_i32 s21, s21, -1
	s_waitcnt vmcnt(0)
	v_and_b32_e32 v5, 0xffff, v4
	v_lshlrev_b64 v[4:5], s14, v[5:6]
	s_add_u32 s14, s14, 8
	s_addc_u32 s15, s15, 0
	s_add_u32 s16, s16, 1
	s_addc_u32 s17, s17, 0
	s_cmp_lg_u32 s21, 0
	v_or_b32_e32 v23, v4, v23
	v_or_b32_e32 v24, v5, v24
	s_cbranch_scc1 .LBB12_755
.LBB12_756:                             ;   in Loop: Header=BB12_710 Depth=1
	s_cbranch_execz .LBB12_758
	s_branch .LBB12_759
.LBB12_757:                             ;   in Loop: Header=BB12_710 Depth=1
.LBB12_758:                             ;   in Loop: Header=BB12_710 Depth=1
	global_load_dwordx2 v[23:24], v6, s[4:5]
.LBB12_759:                             ;   in Loop: Header=BB12_710 Depth=1
	v_readfirstlane_b32 s4, v32
	s_waitcnt vmcnt(0)
	v_mov_b32_e32 v4, 0
	v_mov_b32_e32 v5, 0
	v_cmp_eq_u32_e64 s4, s4, v32
	s_and_saveexec_b32 s5, s4
	s_cbranch_execz .LBB12_765
; %bb.760:                              ;   in Loop: Header=BB12_710 Depth=1
	global_load_dwordx2 v[27:28], v6, s[6:7] offset:24 glc dlc
	s_waitcnt vmcnt(0)
	buffer_gl1_inv
	buffer_gl0_inv
	s_clause 0x1
	global_load_dwordx2 v[4:5], v6, s[6:7] offset:40
	global_load_dwordx2 v[9:10], v6, s[6:7]
	s_mov_b32 s14, exec_lo
	s_waitcnt vmcnt(1)
	v_and_b32_e32 v5, v5, v28
	v_and_b32_e32 v4, v4, v27
	v_mul_lo_u32 v5, v5, 24
	v_mul_hi_u32 v25, v4, 24
	v_mul_lo_u32 v4, v4, 24
	v_add_nc_u32_e32 v5, v25, v5
	s_waitcnt vmcnt(0)
	v_add_co_u32 v4, vcc_lo, v9, v4
	v_add_co_ci_u32_e32 v5, vcc_lo, v10, v5, vcc_lo
	global_load_dwordx2 v[25:26], v[4:5], off glc dlc
	s_waitcnt vmcnt(0)
	global_atomic_cmpswap_x2 v[4:5], v6, v[25:28], s[6:7] offset:24 glc
	s_waitcnt vmcnt(0)
	buffer_gl1_inv
	buffer_gl0_inv
	v_cmpx_ne_u64_e64 v[4:5], v[27:28]
	s_cbranch_execz .LBB12_764
; %bb.761:                              ;   in Loop: Header=BB12_710 Depth=1
	s_mov_b32 s15, 0
	.p2align	6
.LBB12_762:                             ;   Parent Loop BB12_710 Depth=1
                                        ; =>  This Inner Loop Header: Depth=2
	s_sleep 1
	s_clause 0x1
	global_load_dwordx2 v[9:10], v6, s[6:7] offset:40
	global_load_dwordx2 v[25:26], v6, s[6:7]
	v_mov_b32_e32 v28, v5
	v_mov_b32_e32 v27, v4
	s_waitcnt vmcnt(1)
	v_and_b32_e32 v4, v9, v27
	v_and_b32_e32 v9, v10, v28
	s_waitcnt vmcnt(0)
	v_mad_u64_u32 v[4:5], null, v4, 24, v[25:26]
	v_mad_u64_u32 v[9:10], null, v9, 24, v[5:6]
	v_mov_b32_e32 v5, v9
	global_load_dwordx2 v[25:26], v[4:5], off glc dlc
	s_waitcnt vmcnt(0)
	global_atomic_cmpswap_x2 v[4:5], v6, v[25:28], s[6:7] offset:24 glc
	s_waitcnt vmcnt(0)
	buffer_gl1_inv
	buffer_gl0_inv
	v_cmp_eq_u64_e32 vcc_lo, v[4:5], v[27:28]
	s_or_b32 s15, vcc_lo, s15
	s_andn2_b32 exec_lo, exec_lo, s15
	s_cbranch_execnz .LBB12_762
; %bb.763:                              ;   in Loop: Header=BB12_710 Depth=1
	s_or_b32 exec_lo, exec_lo, s15
.LBB12_764:                             ;   in Loop: Header=BB12_710 Depth=1
	s_or_b32 exec_lo, exec_lo, s14
.LBB12_765:                             ;   in Loop: Header=BB12_710 Depth=1
	s_or_b32 exec_lo, exec_lo, s5
	s_clause 0x1
	global_load_dwordx2 v[9:10], v6, s[6:7] offset:40
	global_load_dwordx4 v[25:28], v6, s[6:7]
	v_readfirstlane_b32 s14, v4
	v_readfirstlane_b32 s15, v5
	s_mov_b32 s5, exec_lo
	s_waitcnt vmcnt(1)
	v_readfirstlane_b32 s16, v9
	v_readfirstlane_b32 s17, v10
	s_and_b64 s[16:17], s[14:15], s[16:17]
	s_mul_i32 s20, s17, 24
	s_mul_hi_u32 s21, s16, 24
	s_mul_i32 s22, s16, 24
	s_add_i32 s21, s21, s20
	s_waitcnt vmcnt(0)
	v_add_co_u32 v29, vcc_lo, v25, s22
	v_add_co_ci_u32_e32 v30, vcc_lo, s21, v26, vcc_lo
	s_and_saveexec_b32 s20, s4
	s_cbranch_execz .LBB12_767
; %bb.766:                              ;   in Loop: Header=BB12_710 Depth=1
	v_mov_b32_e32 v5, s5
	global_store_dwordx4 v[29:30], v[5:8], off offset:8
.LBB12_767:                             ;   in Loop: Header=BB12_710 Depth=1
	s_or_b32 exec_lo, exec_lo, s20
	s_lshl_b64 s[16:17], s[16:17], 12
	v_cmp_gt_u64_e64 vcc_lo, s[10:11], 56
	v_or_b32_e32 v5, v2, v33
	v_add_co_u32 v27, s5, v27, s16
	v_add_co_ci_u32_e64 v28, s5, s17, v28, s5
	s_lshl_b32 s5, s12, 2
	v_or_b32_e32 v4, 0, v3
	v_cndmask_b32_e32 v2, v5, v2, vcc_lo
	s_add_i32 s5, s5, 28
	v_readfirstlane_b32 s16, v27
	s_and_b32 s5, s5, 0x1e0
	v_cndmask_b32_e32 v10, v4, v3, vcc_lo
	v_readfirstlane_b32 s17, v28
	v_and_or_b32 v9, 0xffffff1f, v2, s5
	global_store_dwordx4 v31, v[9:12], s[16:17]
	global_store_dwordx4 v31, v[13:16], s[16:17] offset:16
	global_store_dwordx4 v31, v[17:20], s[16:17] offset:32
	;; [unrolled: 1-line block ×3, first 2 shown]
	s_and_saveexec_b32 s5, s4
	s_cbranch_execz .LBB12_775
; %bb.768:                              ;   in Loop: Header=BB12_710 Depth=1
	s_clause 0x1
	global_load_dwordx2 v[13:14], v6, s[6:7] offset:32 glc dlc
	global_load_dwordx2 v[2:3], v6, s[6:7] offset:40
	v_mov_b32_e32 v11, s14
	v_mov_b32_e32 v12, s15
	s_waitcnt vmcnt(0)
	v_readfirstlane_b32 s16, v2
	v_readfirstlane_b32 s17, v3
	s_and_b64 s[16:17], s[16:17], s[14:15]
	s_mul_i32 s17, s17, 24
	s_mul_hi_u32 s20, s16, 24
	s_mul_i32 s16, s16, 24
	s_add_i32 s20, s20, s17
	v_add_co_u32 v9, vcc_lo, v25, s16
	v_add_co_ci_u32_e32 v10, vcc_lo, s20, v26, vcc_lo
	s_mov_b32 s16, exec_lo
	global_store_dwordx2 v[9:10], v[13:14], off
	s_waitcnt_vscnt null, 0x0
	global_atomic_cmpswap_x2 v[4:5], v6, v[11:14], s[6:7] offset:32 glc
	s_waitcnt vmcnt(0)
	v_cmpx_ne_u64_e64 v[4:5], v[13:14]
	s_cbranch_execz .LBB12_771
; %bb.769:                              ;   in Loop: Header=BB12_710 Depth=1
	s_mov_b32 s17, 0
.LBB12_770:                             ;   Parent Loop BB12_710 Depth=1
                                        ; =>  This Inner Loop Header: Depth=2
	v_mov_b32_e32 v2, s14
	v_mov_b32_e32 v3, s15
	s_sleep 1
	global_store_dwordx2 v[9:10], v[4:5], off
	s_waitcnt_vscnt null, 0x0
	global_atomic_cmpswap_x2 v[2:3], v6, v[2:5], s[6:7] offset:32 glc
	s_waitcnt vmcnt(0)
	v_cmp_eq_u64_e32 vcc_lo, v[2:3], v[4:5]
	v_mov_b32_e32 v5, v3
	v_mov_b32_e32 v4, v2
	s_or_b32 s17, vcc_lo, s17
	s_andn2_b32 exec_lo, exec_lo, s17
	s_cbranch_execnz .LBB12_770
.LBB12_771:                             ;   in Loop: Header=BB12_710 Depth=1
	s_or_b32 exec_lo, exec_lo, s16
	global_load_dwordx2 v[2:3], v6, s[6:7] offset:16
	s_mov_b32 s17, exec_lo
	s_mov_b32 s16, exec_lo
	v_mbcnt_lo_u32_b32 v4, s17, 0
	v_cmpx_eq_u32_e32 0, v4
	s_cbranch_execz .LBB12_773
; %bb.772:                              ;   in Loop: Header=BB12_710 Depth=1
	s_bcnt1_i32_b32 s17, s17
	v_mov_b32_e32 v5, s17
	s_waitcnt vmcnt(0)
	global_atomic_add_x2 v[2:3], v[5:6], off offset:8
.LBB12_773:                             ;   in Loop: Header=BB12_710 Depth=1
	s_or_b32 exec_lo, exec_lo, s16
	s_waitcnt vmcnt(0)
	global_load_dwordx2 v[9:10], v[2:3], off offset:16
	s_waitcnt vmcnt(0)
	v_cmp_eq_u64_e32 vcc_lo, 0, v[9:10]
	s_cbranch_vccnz .LBB12_775
; %bb.774:                              ;   in Loop: Header=BB12_710 Depth=1
	global_load_dword v5, v[2:3], off offset:24
	s_waitcnt vmcnt(0)
	v_and_b32_e32 v2, 0x7fffff, v5
	s_waitcnt_vscnt null, 0x0
	global_store_dwordx2 v[9:10], v[5:6], off
	v_readfirstlane_b32 m0, v2
	s_sendmsg sendmsg(MSG_INTERRUPT)
.LBB12_775:                             ;   in Loop: Header=BB12_710 Depth=1
	s_or_b32 exec_lo, exec_lo, s5
	v_add_co_u32 v2, vcc_lo, v27, v31
	v_add_co_ci_u32_e32 v3, vcc_lo, 0, v28, vcc_lo
	s_branch .LBB12_779
	.p2align	6
.LBB12_776:                             ;   in Loop: Header=BB12_779 Depth=2
	s_or_b32 exec_lo, exec_lo, s5
	v_readfirstlane_b32 s5, v4
	s_cmp_eq_u32 s5, 0
	s_cbranch_scc1 .LBB12_778
; %bb.777:                              ;   in Loop: Header=BB12_779 Depth=2
	s_sleep 1
	s_cbranch_execnz .LBB12_779
	s_branch .LBB12_781
	.p2align	6
.LBB12_778:                             ;   in Loop: Header=BB12_710 Depth=1
	s_branch .LBB12_781
.LBB12_779:                             ;   Parent Loop BB12_710 Depth=1
                                        ; =>  This Inner Loop Header: Depth=2
	v_mov_b32_e32 v4, 1
	s_and_saveexec_b32 s5, s4
	s_cbranch_execz .LBB12_776
; %bb.780:                              ;   in Loop: Header=BB12_779 Depth=2
	global_load_dword v4, v[29:30], off offset:20 glc dlc
	s_waitcnt vmcnt(0)
	buffer_gl1_inv
	buffer_gl0_inv
	v_and_b32_e32 v4, 1, v4
	s_branch .LBB12_776
.LBB12_781:                             ;   in Loop: Header=BB12_710 Depth=1
	global_load_dwordx4 v[2:5], v[2:3], off
	s_and_saveexec_b32 s5, s4
	s_cbranch_execz .LBB12_709
; %bb.782:                              ;   in Loop: Header=BB12_710 Depth=1
	s_clause 0x2
	global_load_dwordx2 v[4:5], v6, s[6:7] offset:40
	global_load_dwordx2 v[13:14], v6, s[6:7] offset:24 glc dlc
	global_load_dwordx2 v[11:12], v6, s[6:7]
	s_waitcnt vmcnt(2)
	v_add_co_u32 v15, vcc_lo, v4, 1
	v_add_co_ci_u32_e32 v16, vcc_lo, 0, v5, vcc_lo
	v_add_co_u32 v9, vcc_lo, v15, s14
	v_add_co_ci_u32_e32 v10, vcc_lo, s15, v16, vcc_lo
	v_cmp_eq_u64_e32 vcc_lo, 0, v[9:10]
	v_cndmask_b32_e32 v10, v10, v16, vcc_lo
	v_cndmask_b32_e32 v9, v9, v15, vcc_lo
	v_and_b32_e32 v5, v10, v5
	v_and_b32_e32 v4, v9, v4
	v_mul_lo_u32 v5, v5, 24
	v_mul_hi_u32 v15, v4, 24
	v_mul_lo_u32 v4, v4, 24
	v_add_nc_u32_e32 v5, v15, v5
	s_waitcnt vmcnt(0)
	v_add_co_u32 v4, vcc_lo, v11, v4
	v_mov_b32_e32 v11, v13
	v_add_co_ci_u32_e32 v5, vcc_lo, v12, v5, vcc_lo
	v_mov_b32_e32 v12, v14
	global_store_dwordx2 v[4:5], v[13:14], off
	s_waitcnt_vscnt null, 0x0
	global_atomic_cmpswap_x2 v[11:12], v6, v[9:12], s[6:7] offset:24 glc
	s_waitcnt vmcnt(0)
	v_cmp_ne_u64_e32 vcc_lo, v[11:12], v[13:14]
	s_and_b32 exec_lo, exec_lo, vcc_lo
	s_cbranch_execz .LBB12_709
; %bb.783:                              ;   in Loop: Header=BB12_710 Depth=1
	s_mov_b32 s4, 0
.LBB12_784:                             ;   Parent Loop BB12_710 Depth=1
                                        ; =>  This Inner Loop Header: Depth=2
	s_sleep 1
	global_store_dwordx2 v[4:5], v[11:12], off
	s_waitcnt_vscnt null, 0x0
	global_atomic_cmpswap_x2 v[13:14], v6, v[9:12], s[6:7] offset:24 glc
	s_waitcnt vmcnt(0)
	v_cmp_eq_u64_e32 vcc_lo, v[13:14], v[11:12]
	v_mov_b32_e32 v11, v13
	v_mov_b32_e32 v12, v14
	s_or_b32 s4, vcc_lo, s4
	s_andn2_b32 exec_lo, exec_lo, s4
	s_cbranch_execnz .LBB12_784
	s_branch .LBB12_709
.LBB12_785:
	s_mov_b32 s4, 0
	s_branch .LBB12_787
.LBB12_786:
	s_mov_b32 s4, -1
                                        ; implicit-def: $vgpr2_vgpr3
.LBB12_787:
	s_and_b32 vcc_lo, exec_lo, s4
	s_cbranch_vccz .LBB12_815
; %bb.788:
	v_readfirstlane_b32 s4, v32
	v_mov_b32_e32 v8, 0
	v_mov_b32_e32 v9, 0
	v_cmp_eq_u32_e64 s4, s4, v32
	s_and_saveexec_b32 s5, s4
	s_cbranch_execz .LBB12_794
; %bb.789:
	s_waitcnt vmcnt(0)
	v_mov_b32_e32 v2, 0
	s_mov_b32 s8, exec_lo
	global_load_dwordx2 v[5:6], v2, s[6:7] offset:24 glc dlc
	s_waitcnt vmcnt(0)
	buffer_gl1_inv
	buffer_gl0_inv
	s_clause 0x1
	global_load_dwordx2 v[3:4], v2, s[6:7] offset:40
	global_load_dwordx2 v[7:8], v2, s[6:7]
	s_waitcnt vmcnt(1)
	v_and_b32_e32 v4, v4, v6
	v_and_b32_e32 v3, v3, v5
	v_mul_lo_u32 v4, v4, 24
	v_mul_hi_u32 v9, v3, 24
	v_mul_lo_u32 v3, v3, 24
	v_add_nc_u32_e32 v4, v9, v4
	s_waitcnt vmcnt(0)
	v_add_co_u32 v3, vcc_lo, v7, v3
	v_add_co_ci_u32_e32 v4, vcc_lo, v8, v4, vcc_lo
	global_load_dwordx2 v[3:4], v[3:4], off glc dlc
	s_waitcnt vmcnt(0)
	global_atomic_cmpswap_x2 v[8:9], v2, v[3:6], s[6:7] offset:24 glc
	s_waitcnt vmcnt(0)
	buffer_gl1_inv
	buffer_gl0_inv
	v_cmpx_ne_u64_e64 v[8:9], v[5:6]
	s_cbranch_execz .LBB12_793
; %bb.790:
	s_mov_b32 s9, 0
.LBB12_791:                             ; =>This Inner Loop Header: Depth=1
	s_sleep 1
	s_clause 0x1
	global_load_dwordx2 v[3:4], v2, s[6:7] offset:40
	global_load_dwordx2 v[10:11], v2, s[6:7]
	v_mov_b32_e32 v5, v8
	v_mov_b32_e32 v6, v9
	s_waitcnt vmcnt(1)
	v_and_b32_e32 v3, v3, v5
	v_and_b32_e32 v4, v4, v6
	s_waitcnt vmcnt(0)
	v_mad_u64_u32 v[7:8], null, v3, 24, v[10:11]
	v_mov_b32_e32 v3, v8
	v_mad_u64_u32 v[3:4], null, v4, 24, v[3:4]
	v_mov_b32_e32 v8, v3
	global_load_dwordx2 v[3:4], v[7:8], off glc dlc
	s_waitcnt vmcnt(0)
	global_atomic_cmpswap_x2 v[8:9], v2, v[3:6], s[6:7] offset:24 glc
	s_waitcnt vmcnt(0)
	buffer_gl1_inv
	buffer_gl0_inv
	v_cmp_eq_u64_e32 vcc_lo, v[8:9], v[5:6]
	s_or_b32 s9, vcc_lo, s9
	s_andn2_b32 exec_lo, exec_lo, s9
	s_cbranch_execnz .LBB12_791
; %bb.792:
	s_or_b32 exec_lo, exec_lo, s9
.LBB12_793:
	s_or_b32 exec_lo, exec_lo, s8
.LBB12_794:
	s_or_b32 exec_lo, exec_lo, s5
	s_waitcnt vmcnt(0)
	v_mov_b32_e32 v2, 0
	v_readfirstlane_b32 s8, v8
	v_readfirstlane_b32 s9, v9
	s_mov_b32 s5, exec_lo
	s_clause 0x1
	global_load_dwordx2 v[10:11], v2, s[6:7] offset:40
	global_load_dwordx4 v[4:7], v2, s[6:7]
	s_waitcnt vmcnt(1)
	v_readfirstlane_b32 s10, v10
	v_readfirstlane_b32 s11, v11
	s_and_b64 s[10:11], s[8:9], s[10:11]
	s_mul_i32 s12, s11, 24
	s_mul_hi_u32 s13, s10, 24
	s_mul_i32 s14, s10, 24
	s_add_i32 s13, s13, s12
	s_waitcnt vmcnt(0)
	v_add_co_u32 v8, vcc_lo, v4, s14
	v_add_co_ci_u32_e32 v9, vcc_lo, s13, v5, vcc_lo
	s_and_saveexec_b32 s12, s4
	s_cbranch_execz .LBB12_796
; %bb.795:
	v_mov_b32_e32 v10, s5
	v_mov_b32_e32 v11, v2
	;; [unrolled: 1-line block ×4, first 2 shown]
	global_store_dwordx4 v[8:9], v[10:13], off offset:8
.LBB12_796:
	s_or_b32 exec_lo, exec_lo, s12
	s_lshl_b64 s[10:11], s[10:11], 12
	s_mov_b32 s12, 0
	v_add_co_u32 v6, vcc_lo, v6, s10
	v_add_co_ci_u32_e32 v7, vcc_lo, s11, v7, vcc_lo
	s_mov_b32 s13, s12
	v_readfirstlane_b32 s10, v6
	v_add_co_u32 v6, vcc_lo, v6, v31
	s_mov_b32 s14, s12
	s_mov_b32 s15, s12
	v_and_or_b32 v0, 0xffffff1f, v0, 32
	v_mov_b32_e32 v3, v2
	v_readfirstlane_b32 s11, v7
	v_mov_b32_e32 v10, s12
	v_add_co_ci_u32_e32 v7, vcc_lo, 0, v7, vcc_lo
	v_mov_b32_e32 v11, s13
	v_mov_b32_e32 v12, s14
	;; [unrolled: 1-line block ×3, first 2 shown]
	global_store_dwordx4 v31, v[0:3], s[10:11]
	global_store_dwordx4 v31, v[10:13], s[10:11] offset:16
	global_store_dwordx4 v31, v[10:13], s[10:11] offset:32
	;; [unrolled: 1-line block ×3, first 2 shown]
	s_and_saveexec_b32 s5, s4
	s_cbranch_execz .LBB12_804
; %bb.797:
	v_mov_b32_e32 v10, 0
	v_mov_b32_e32 v11, s8
	;; [unrolled: 1-line block ×3, first 2 shown]
	s_clause 0x1
	global_load_dwordx2 v[13:14], v10, s[6:7] offset:32 glc dlc
	global_load_dwordx2 v[0:1], v10, s[6:7] offset:40
	s_waitcnt vmcnt(0)
	v_readfirstlane_b32 s10, v0
	v_readfirstlane_b32 s11, v1
	s_and_b64 s[10:11], s[10:11], s[8:9]
	s_mul_i32 s11, s11, 24
	s_mul_hi_u32 s12, s10, 24
	s_mul_i32 s10, s10, 24
	s_add_i32 s12, s12, s11
	v_add_co_u32 v4, vcc_lo, v4, s10
	v_add_co_ci_u32_e32 v5, vcc_lo, s12, v5, vcc_lo
	s_mov_b32 s10, exec_lo
	global_store_dwordx2 v[4:5], v[13:14], off
	s_waitcnt_vscnt null, 0x0
	global_atomic_cmpswap_x2 v[2:3], v10, v[11:14], s[6:7] offset:32 glc
	s_waitcnt vmcnt(0)
	v_cmpx_ne_u64_e64 v[2:3], v[13:14]
	s_cbranch_execz .LBB12_800
; %bb.798:
	s_mov_b32 s11, 0
.LBB12_799:                             ; =>This Inner Loop Header: Depth=1
	v_mov_b32_e32 v0, s8
	v_mov_b32_e32 v1, s9
	s_sleep 1
	global_store_dwordx2 v[4:5], v[2:3], off
	s_waitcnt_vscnt null, 0x0
	global_atomic_cmpswap_x2 v[0:1], v10, v[0:3], s[6:7] offset:32 glc
	s_waitcnt vmcnt(0)
	v_cmp_eq_u64_e32 vcc_lo, v[0:1], v[2:3]
	v_mov_b32_e32 v3, v1
	v_mov_b32_e32 v2, v0
	s_or_b32 s11, vcc_lo, s11
	s_andn2_b32 exec_lo, exec_lo, s11
	s_cbranch_execnz .LBB12_799
.LBB12_800:
	s_or_b32 exec_lo, exec_lo, s10
	v_mov_b32_e32 v3, 0
	s_mov_b32 s11, exec_lo
	s_mov_b32 s10, exec_lo
	v_mbcnt_lo_u32_b32 v2, s11, 0
	global_load_dwordx2 v[0:1], v3, s[6:7] offset:16
	v_cmpx_eq_u32_e32 0, v2
	s_cbranch_execz .LBB12_802
; %bb.801:
	s_bcnt1_i32_b32 s11, s11
	v_mov_b32_e32 v2, s11
	s_waitcnt vmcnt(0)
	global_atomic_add_x2 v[0:1], v[2:3], off offset:8
.LBB12_802:
	s_or_b32 exec_lo, exec_lo, s10
	s_waitcnt vmcnt(0)
	global_load_dwordx2 v[2:3], v[0:1], off offset:16
	s_waitcnt vmcnt(0)
	v_cmp_eq_u64_e32 vcc_lo, 0, v[2:3]
	s_cbranch_vccnz .LBB12_804
; %bb.803:
	global_load_dword v0, v[0:1], off offset:24
	v_mov_b32_e32 v1, 0
	s_waitcnt vmcnt(0)
	v_and_b32_e32 v4, 0x7fffff, v0
	s_waitcnt_vscnt null, 0x0
	global_store_dwordx2 v[2:3], v[0:1], off
	v_readfirstlane_b32 m0, v4
	s_sendmsg sendmsg(MSG_INTERRUPT)
.LBB12_804:
	s_or_b32 exec_lo, exec_lo, s5
	s_branch .LBB12_808
	.p2align	6
.LBB12_805:                             ;   in Loop: Header=BB12_808 Depth=1
	s_or_b32 exec_lo, exec_lo, s5
	v_readfirstlane_b32 s5, v0
	s_cmp_eq_u32 s5, 0
	s_cbranch_scc1 .LBB12_807
; %bb.806:                              ;   in Loop: Header=BB12_808 Depth=1
	s_sleep 1
	s_cbranch_execnz .LBB12_808
	s_branch .LBB12_810
.LBB12_807:
	s_branch .LBB12_810
.LBB12_808:                             ; =>This Inner Loop Header: Depth=1
	v_mov_b32_e32 v0, 1
	s_and_saveexec_b32 s5, s4
	s_cbranch_execz .LBB12_805
; %bb.809:                              ;   in Loop: Header=BB12_808 Depth=1
	global_load_dword v0, v[8:9], off offset:20 glc dlc
	s_waitcnt vmcnt(0)
	buffer_gl1_inv
	buffer_gl0_inv
	v_and_b32_e32 v0, 1, v0
	s_branch .LBB12_805
.LBB12_810:
	global_load_dwordx2 v[2:3], v[6:7], off
	s_and_saveexec_b32 s5, s4
	s_cbranch_execz .LBB12_814
; %bb.811:
	v_mov_b32_e32 v8, 0
	s_clause 0x2
	global_load_dwordx2 v[0:1], v8, s[6:7] offset:40
	global_load_dwordx2 v[9:10], v8, s[6:7] offset:24 glc dlc
	global_load_dwordx2 v[6:7], v8, s[6:7]
	s_waitcnt vmcnt(2)
	v_add_co_u32 v11, vcc_lo, v0, 1
	v_add_co_ci_u32_e32 v12, vcc_lo, 0, v1, vcc_lo
	v_add_co_u32 v4, vcc_lo, v11, s8
	v_add_co_ci_u32_e32 v5, vcc_lo, s9, v12, vcc_lo
	v_cmp_eq_u64_e32 vcc_lo, 0, v[4:5]
	v_cndmask_b32_e32 v5, v5, v12, vcc_lo
	v_cndmask_b32_e32 v4, v4, v11, vcc_lo
	v_and_b32_e32 v1, v5, v1
	v_and_b32_e32 v0, v4, v0
	v_mul_lo_u32 v1, v1, 24
	v_mul_hi_u32 v11, v0, 24
	v_mul_lo_u32 v0, v0, 24
	v_add_nc_u32_e32 v1, v11, v1
	s_waitcnt vmcnt(0)
	v_add_co_u32 v0, vcc_lo, v6, v0
	v_mov_b32_e32 v6, v9
	v_add_co_ci_u32_e32 v1, vcc_lo, v7, v1, vcc_lo
	v_mov_b32_e32 v7, v10
	global_store_dwordx2 v[0:1], v[9:10], off
	s_waitcnt_vscnt null, 0x0
	global_atomic_cmpswap_x2 v[6:7], v8, v[4:7], s[6:7] offset:24 glc
	s_waitcnt vmcnt(0)
	v_cmp_ne_u64_e32 vcc_lo, v[6:7], v[9:10]
	s_and_b32 exec_lo, exec_lo, vcc_lo
	s_cbranch_execz .LBB12_814
; %bb.812:
	s_mov_b32 s4, 0
.LBB12_813:                             ; =>This Inner Loop Header: Depth=1
	s_sleep 1
	global_store_dwordx2 v[0:1], v[6:7], off
	s_waitcnt_vscnt null, 0x0
	global_atomic_cmpswap_x2 v[9:10], v8, v[4:7], s[6:7] offset:24 glc
	s_waitcnt vmcnt(0)
	v_cmp_eq_u64_e32 vcc_lo, v[9:10], v[6:7]
	v_mov_b32_e32 v6, v9
	v_mov_b32_e32 v7, v10
	s_or_b32 s4, vcc_lo, s4
	s_andn2_b32 exec_lo, exec_lo, s4
	s_cbranch_execnz .LBB12_813
.LBB12_814:
	s_or_b32 exec_lo, exec_lo, s5
.LBB12_815:
	v_readfirstlane_b32 s4, v32
	s_waitcnt vmcnt(0)
	v_mov_b32_e32 v0, 0
	v_mov_b32_e32 v1, 0
	v_cmp_eq_u32_e64 s4, s4, v32
	s_and_saveexec_b32 s5, s4
	s_cbranch_execz .LBB12_821
; %bb.816:
	v_mov_b32_e32 v4, 0
	s_mov_b32 s8, exec_lo
	global_load_dwordx2 v[7:8], v4, s[6:7] offset:24 glc dlc
	s_waitcnt vmcnt(0)
	buffer_gl1_inv
	buffer_gl0_inv
	s_clause 0x1
	global_load_dwordx2 v[0:1], v4, s[6:7] offset:40
	global_load_dwordx2 v[5:6], v4, s[6:7]
	s_waitcnt vmcnt(1)
	v_and_b32_e32 v1, v1, v8
	v_and_b32_e32 v0, v0, v7
	v_mul_lo_u32 v1, v1, 24
	v_mul_hi_u32 v9, v0, 24
	v_mul_lo_u32 v0, v0, 24
	v_add_nc_u32_e32 v1, v9, v1
	s_waitcnt vmcnt(0)
	v_add_co_u32 v0, vcc_lo, v5, v0
	v_add_co_ci_u32_e32 v1, vcc_lo, v6, v1, vcc_lo
	global_load_dwordx2 v[5:6], v[0:1], off glc dlc
	s_waitcnt vmcnt(0)
	global_atomic_cmpswap_x2 v[0:1], v4, v[5:8], s[6:7] offset:24 glc
	s_waitcnt vmcnt(0)
	buffer_gl1_inv
	buffer_gl0_inv
	v_cmpx_ne_u64_e64 v[0:1], v[7:8]
	s_cbranch_execz .LBB12_820
; %bb.817:
	s_mov_b32 s9, 0
.LBB12_818:                             ; =>This Inner Loop Header: Depth=1
	s_sleep 1
	s_clause 0x1
	global_load_dwordx2 v[5:6], v4, s[6:7] offset:40
	global_load_dwordx2 v[9:10], v4, s[6:7]
	v_mov_b32_e32 v8, v1
	v_mov_b32_e32 v7, v0
	s_waitcnt vmcnt(1)
	v_and_b32_e32 v0, v5, v7
	v_and_b32_e32 v5, v6, v8
	s_waitcnt vmcnt(0)
	v_mad_u64_u32 v[0:1], null, v0, 24, v[9:10]
	v_mad_u64_u32 v[5:6], null, v5, 24, v[1:2]
	v_mov_b32_e32 v1, v5
	global_load_dwordx2 v[5:6], v[0:1], off glc dlc
	s_waitcnt vmcnt(0)
	global_atomic_cmpswap_x2 v[0:1], v4, v[5:8], s[6:7] offset:24 glc
	s_waitcnt vmcnt(0)
	buffer_gl1_inv
	buffer_gl0_inv
	v_cmp_eq_u64_e32 vcc_lo, v[0:1], v[7:8]
	s_or_b32 s9, vcc_lo, s9
	s_andn2_b32 exec_lo, exec_lo, s9
	s_cbranch_execnz .LBB12_818
; %bb.819:
	s_or_b32 exec_lo, exec_lo, s9
.LBB12_820:
	s_or_b32 exec_lo, exec_lo, s8
.LBB12_821:
	s_or_b32 exec_lo, exec_lo, s5
	v_mov_b32_e32 v5, 0
	v_readfirstlane_b32 s8, v0
	v_readfirstlane_b32 s9, v1
	s_mov_b32 s5, exec_lo
	s_clause 0x1
	global_load_dwordx2 v[10:11], v5, s[6:7] offset:40
	global_load_dwordx4 v[6:9], v5, s[6:7]
	s_waitcnt vmcnt(1)
	v_readfirstlane_b32 s10, v10
	v_readfirstlane_b32 s11, v11
	s_and_b64 s[10:11], s[8:9], s[10:11]
	s_mul_i32 s12, s11, 24
	s_mul_hi_u32 s13, s10, 24
	s_mul_i32 s14, s10, 24
	s_add_i32 s13, s13, s12
	s_waitcnt vmcnt(0)
	v_add_co_u32 v10, vcc_lo, v6, s14
	v_add_co_ci_u32_e32 v11, vcc_lo, s13, v7, vcc_lo
	s_and_saveexec_b32 s12, s4
	s_cbranch_execz .LBB12_823
; %bb.822:
	v_mov_b32_e32 v4, s5
	v_mov_b32_e32 v13, v5
	;; [unrolled: 1-line block ×5, first 2 shown]
	global_store_dwordx4 v[10:11], v[12:15], off offset:8
.LBB12_823:
	s_or_b32 exec_lo, exec_lo, s12
	s_lshl_b64 s[10:11], s[10:11], 12
	s_mov_b32 s12, 0
	v_add_co_u32 v0, vcc_lo, v8, s10
	v_add_co_ci_u32_e32 v1, vcc_lo, s11, v9, vcc_lo
	s_mov_b32 s13, s12
	s_mov_b32 s14, s12
	;; [unrolled: 1-line block ×3, first 2 shown]
	v_and_or_b32 v2, 0xffffff1d, v2, 34
	v_mov_b32_e32 v4, 58
	v_readfirstlane_b32 s10, v0
	v_readfirstlane_b32 s11, v1
	v_mov_b32_e32 v12, s12
	v_mov_b32_e32 v13, s13
	;; [unrolled: 1-line block ×4, first 2 shown]
	global_store_dwordx4 v31, v[2:5], s[10:11]
	global_store_dwordx4 v31, v[12:15], s[10:11] offset:16
	global_store_dwordx4 v31, v[12:15], s[10:11] offset:32
	;; [unrolled: 1-line block ×3, first 2 shown]
	s_and_saveexec_b32 s5, s4
	s_cbranch_execz .LBB12_831
; %bb.824:
	v_mov_b32_e32 v8, 0
	v_mov_b32_e32 v12, s8
	;; [unrolled: 1-line block ×3, first 2 shown]
	s_clause 0x1
	global_load_dwordx2 v[14:15], v8, s[6:7] offset:32 glc dlc
	global_load_dwordx2 v[0:1], v8, s[6:7] offset:40
	s_waitcnt vmcnt(0)
	v_readfirstlane_b32 s10, v0
	v_readfirstlane_b32 s11, v1
	s_and_b64 s[10:11], s[10:11], s[8:9]
	s_mul_i32 s11, s11, 24
	s_mul_hi_u32 s12, s10, 24
	s_mul_i32 s10, s10, 24
	s_add_i32 s12, s12, s11
	v_add_co_u32 v4, vcc_lo, v6, s10
	v_add_co_ci_u32_e32 v5, vcc_lo, s12, v7, vcc_lo
	s_mov_b32 s10, exec_lo
	global_store_dwordx2 v[4:5], v[14:15], off
	s_waitcnt_vscnt null, 0x0
	global_atomic_cmpswap_x2 v[2:3], v8, v[12:15], s[6:7] offset:32 glc
	s_waitcnt vmcnt(0)
	v_cmpx_ne_u64_e64 v[2:3], v[14:15]
	s_cbranch_execz .LBB12_827
; %bb.825:
	s_mov_b32 s11, 0
.LBB12_826:                             ; =>This Inner Loop Header: Depth=1
	v_mov_b32_e32 v0, s8
	v_mov_b32_e32 v1, s9
	s_sleep 1
	global_store_dwordx2 v[4:5], v[2:3], off
	s_waitcnt_vscnt null, 0x0
	global_atomic_cmpswap_x2 v[0:1], v8, v[0:3], s[6:7] offset:32 glc
	s_waitcnt vmcnt(0)
	v_cmp_eq_u64_e32 vcc_lo, v[0:1], v[2:3]
	v_mov_b32_e32 v3, v1
	v_mov_b32_e32 v2, v0
	s_or_b32 s11, vcc_lo, s11
	s_andn2_b32 exec_lo, exec_lo, s11
	s_cbranch_execnz .LBB12_826
.LBB12_827:
	s_or_b32 exec_lo, exec_lo, s10
	v_mov_b32_e32 v3, 0
	s_mov_b32 s11, exec_lo
	s_mov_b32 s10, exec_lo
	v_mbcnt_lo_u32_b32 v2, s11, 0
	global_load_dwordx2 v[0:1], v3, s[6:7] offset:16
	v_cmpx_eq_u32_e32 0, v2
	s_cbranch_execz .LBB12_829
; %bb.828:
	s_bcnt1_i32_b32 s11, s11
	v_mov_b32_e32 v2, s11
	s_waitcnt vmcnt(0)
	global_atomic_add_x2 v[0:1], v[2:3], off offset:8
.LBB12_829:
	s_or_b32 exec_lo, exec_lo, s10
	s_waitcnt vmcnt(0)
	global_load_dwordx2 v[2:3], v[0:1], off offset:16
	s_waitcnt vmcnt(0)
	v_cmp_eq_u64_e32 vcc_lo, 0, v[2:3]
	s_cbranch_vccnz .LBB12_831
; %bb.830:
	global_load_dword v0, v[0:1], off offset:24
	v_mov_b32_e32 v1, 0
	s_waitcnt vmcnt(0)
	v_and_b32_e32 v4, 0x7fffff, v0
	s_waitcnt_vscnt null, 0x0
	global_store_dwordx2 v[2:3], v[0:1], off
	v_readfirstlane_b32 m0, v4
	s_sendmsg sendmsg(MSG_INTERRUPT)
.LBB12_831:
	s_or_b32 exec_lo, exec_lo, s5
	s_branch .LBB12_835
	.p2align	6
.LBB12_832:                             ;   in Loop: Header=BB12_835 Depth=1
	s_or_b32 exec_lo, exec_lo, s5
	v_readfirstlane_b32 s5, v0
	s_cmp_eq_u32 s5, 0
	s_cbranch_scc1 .LBB12_834
; %bb.833:                              ;   in Loop: Header=BB12_835 Depth=1
	s_sleep 1
	s_cbranch_execnz .LBB12_835
	s_branch .LBB12_837
	.p2align	6
.LBB12_834:
	s_branch .LBB12_837
.LBB12_835:                             ; =>This Inner Loop Header: Depth=1
	v_mov_b32_e32 v0, 1
	s_and_saveexec_b32 s5, s4
	s_cbranch_execz .LBB12_832
; %bb.836:                              ;   in Loop: Header=BB12_835 Depth=1
	global_load_dword v0, v[10:11], off offset:20 glc dlc
	s_waitcnt vmcnt(0)
	buffer_gl1_inv
	buffer_gl0_inv
	v_and_b32_e32 v0, 1, v0
	s_branch .LBB12_832
.LBB12_837:
	s_and_saveexec_b32 s5, s4
	s_cbranch_execz .LBB12_841
; %bb.838:
	v_mov_b32_e32 v6, 0
	s_clause 0x2
	global_load_dwordx2 v[2:3], v6, s[6:7] offset:40
	global_load_dwordx2 v[7:8], v6, s[6:7] offset:24 glc dlc
	global_load_dwordx2 v[4:5], v6, s[6:7]
	s_waitcnt vmcnt(2)
	v_add_co_u32 v9, vcc_lo, v2, 1
	v_add_co_ci_u32_e32 v10, vcc_lo, 0, v3, vcc_lo
	v_add_co_u32 v0, vcc_lo, v9, s8
	v_add_co_ci_u32_e32 v1, vcc_lo, s9, v10, vcc_lo
	v_cmp_eq_u64_e32 vcc_lo, 0, v[0:1]
	v_cndmask_b32_e32 v1, v1, v10, vcc_lo
	v_cndmask_b32_e32 v0, v0, v9, vcc_lo
	v_and_b32_e32 v3, v1, v3
	v_and_b32_e32 v2, v0, v2
	v_mul_lo_u32 v3, v3, 24
	v_mul_hi_u32 v9, v2, 24
	v_mul_lo_u32 v2, v2, 24
	v_add_nc_u32_e32 v3, v9, v3
	s_waitcnt vmcnt(0)
	v_add_co_u32 v4, vcc_lo, v4, v2
	v_mov_b32_e32 v2, v7
	v_add_co_ci_u32_e32 v5, vcc_lo, v5, v3, vcc_lo
	v_mov_b32_e32 v3, v8
	global_store_dwordx2 v[4:5], v[7:8], off
	s_waitcnt_vscnt null, 0x0
	global_atomic_cmpswap_x2 v[2:3], v6, v[0:3], s[6:7] offset:24 glc
	s_waitcnt vmcnt(0)
	v_cmp_ne_u64_e32 vcc_lo, v[2:3], v[7:8]
	s_and_b32 exec_lo, exec_lo, vcc_lo
	s_cbranch_execz .LBB12_841
; %bb.839:
	s_mov_b32 s4, 0
.LBB12_840:                             ; =>This Inner Loop Header: Depth=1
	s_sleep 1
	global_store_dwordx2 v[4:5], v[2:3], off
	s_waitcnt_vscnt null, 0x0
	global_atomic_cmpswap_x2 v[7:8], v6, v[0:3], s[6:7] offset:24 glc
	s_waitcnt vmcnt(0)
	v_cmp_eq_u64_e32 vcc_lo, v[7:8], v[2:3]
	v_mov_b32_e32 v2, v7
	v_mov_b32_e32 v3, v8
	s_or_b32 s4, vcc_lo, s4
	s_andn2_b32 exec_lo, exec_lo, s4
	s_cbranch_execnz .LBB12_840
.LBB12_841:
	s_or_b32 exec_lo, exec_lo, s5
	v_readfirstlane_b32 s4, v32
	v_mov_b32_e32 v6, 0
	v_mov_b32_e32 v7, 0
	v_cmp_eq_u32_e64 s4, s4, v32
	s_and_saveexec_b32 s5, s4
	s_cbranch_execz .LBB12_847
; %bb.842:
	v_mov_b32_e32 v0, 0
	s_mov_b32 s8, exec_lo
	global_load_dwordx2 v[3:4], v0, s[6:7] offset:24 glc dlc
	s_waitcnt vmcnt(0)
	buffer_gl1_inv
	buffer_gl0_inv
	s_clause 0x1
	global_load_dwordx2 v[1:2], v0, s[6:7] offset:40
	global_load_dwordx2 v[5:6], v0, s[6:7]
	s_waitcnt vmcnt(1)
	v_and_b32_e32 v2, v2, v4
	v_and_b32_e32 v1, v1, v3
	v_mul_lo_u32 v2, v2, 24
	v_mul_hi_u32 v7, v1, 24
	v_mul_lo_u32 v1, v1, 24
	v_add_nc_u32_e32 v2, v7, v2
	s_waitcnt vmcnt(0)
	v_add_co_u32 v1, vcc_lo, v5, v1
	v_add_co_ci_u32_e32 v2, vcc_lo, v6, v2, vcc_lo
	global_load_dwordx2 v[1:2], v[1:2], off glc dlc
	s_waitcnt vmcnt(0)
	global_atomic_cmpswap_x2 v[6:7], v0, v[1:4], s[6:7] offset:24 glc
	s_waitcnt vmcnt(0)
	buffer_gl1_inv
	buffer_gl0_inv
	v_cmpx_ne_u64_e64 v[6:7], v[3:4]
	s_cbranch_execz .LBB12_846
; %bb.843:
	s_mov_b32 s9, 0
.LBB12_844:                             ; =>This Inner Loop Header: Depth=1
	s_sleep 1
	s_clause 0x1
	global_load_dwordx2 v[1:2], v0, s[6:7] offset:40
	global_load_dwordx2 v[8:9], v0, s[6:7]
	v_mov_b32_e32 v3, v6
	v_mov_b32_e32 v4, v7
	s_waitcnt vmcnt(1)
	v_and_b32_e32 v1, v1, v3
	v_and_b32_e32 v2, v2, v4
	s_waitcnt vmcnt(0)
	v_mad_u64_u32 v[5:6], null, v1, 24, v[8:9]
	v_mov_b32_e32 v1, v6
	v_mad_u64_u32 v[1:2], null, v2, 24, v[1:2]
	v_mov_b32_e32 v6, v1
	global_load_dwordx2 v[1:2], v[5:6], off glc dlc
	s_waitcnt vmcnt(0)
	global_atomic_cmpswap_x2 v[6:7], v0, v[1:4], s[6:7] offset:24 glc
	s_waitcnt vmcnt(0)
	buffer_gl1_inv
	buffer_gl0_inv
	v_cmp_eq_u64_e32 vcc_lo, v[6:7], v[3:4]
	s_or_b32 s9, vcc_lo, s9
	s_andn2_b32 exec_lo, exec_lo, s9
	s_cbranch_execnz .LBB12_844
; %bb.845:
	s_or_b32 exec_lo, exec_lo, s9
.LBB12_846:
	s_or_b32 exec_lo, exec_lo, s8
.LBB12_847:
	s_or_b32 exec_lo, exec_lo, s5
	v_mov_b32_e32 v5, 0
	v_readfirstlane_b32 s8, v6
	v_readfirstlane_b32 s9, v7
	s_mov_b32 s5, exec_lo
	s_clause 0x1
	global_load_dwordx2 v[8:9], v5, s[6:7] offset:40
	global_load_dwordx4 v[0:3], v5, s[6:7]
	s_waitcnt vmcnt(1)
	v_readfirstlane_b32 s10, v8
	v_readfirstlane_b32 s11, v9
	s_and_b64 s[10:11], s[8:9], s[10:11]
	s_mul_i32 s12, s11, 24
	s_mul_hi_u32 s13, s10, 24
	s_mul_i32 s14, s10, 24
	s_add_i32 s13, s13, s12
	s_waitcnt vmcnt(0)
	v_add_co_u32 v8, vcc_lo, v0, s14
	v_add_co_ci_u32_e32 v9, vcc_lo, s13, v1, vcc_lo
	s_and_saveexec_b32 s12, s4
	s_cbranch_execz .LBB12_849
; %bb.848:
	v_mov_b32_e32 v4, s5
	v_mov_b32_e32 v6, 2
	;; [unrolled: 1-line block ×3, first 2 shown]
	global_store_dwordx4 v[8:9], v[4:7], off offset:8
.LBB12_849:
	s_or_b32 exec_lo, exec_lo, s12
	s_lshl_b64 s[10:11], s[10:11], 12
	s_mov_b32 s12, 0
	v_add_co_u32 v2, vcc_lo, v2, s10
	v_add_co_ci_u32_e32 v3, vcc_lo, s11, v3, vcc_lo
	s_mov_b32 s13, s12
	v_add_co_u32 v10, vcc_lo, v2, v31
	s_mov_b32 s14, s12
	s_mov_b32 s15, s12
	v_mov_b32_e32 v4, 33
	v_mov_b32_e32 v6, v5
	;; [unrolled: 1-line block ×3, first 2 shown]
	v_readfirstlane_b32 s10, v2
	v_readfirstlane_b32 s11, v3
	v_mov_b32_e32 v12, s12
	v_add_co_ci_u32_e32 v11, vcc_lo, 0, v3, vcc_lo
	v_mov_b32_e32 v13, s13
	v_mov_b32_e32 v14, s14
	;; [unrolled: 1-line block ×3, first 2 shown]
	global_store_dwordx4 v31, v[4:7], s[10:11]
	global_store_dwordx4 v31, v[12:15], s[10:11] offset:16
	global_store_dwordx4 v31, v[12:15], s[10:11] offset:32
	;; [unrolled: 1-line block ×3, first 2 shown]
	s_and_saveexec_b32 s5, s4
	s_cbranch_execz .LBB12_857
; %bb.850:
	v_mov_b32_e32 v6, 0
	v_mov_b32_e32 v12, s8
	;; [unrolled: 1-line block ×3, first 2 shown]
	s_clause 0x1
	global_load_dwordx2 v[14:15], v6, s[6:7] offset:32 glc dlc
	global_load_dwordx2 v[2:3], v6, s[6:7] offset:40
	s_waitcnt vmcnt(0)
	v_readfirstlane_b32 s10, v2
	v_readfirstlane_b32 s11, v3
	s_and_b64 s[10:11], s[10:11], s[8:9]
	s_mul_i32 s11, s11, 24
	s_mul_hi_u32 s12, s10, 24
	s_mul_i32 s10, s10, 24
	s_add_i32 s12, s12, s11
	v_add_co_u32 v4, vcc_lo, v0, s10
	v_add_co_ci_u32_e32 v5, vcc_lo, s12, v1, vcc_lo
	s_mov_b32 s10, exec_lo
	global_store_dwordx2 v[4:5], v[14:15], off
	s_waitcnt_vscnt null, 0x0
	global_atomic_cmpswap_x2 v[2:3], v6, v[12:15], s[6:7] offset:32 glc
	s_waitcnt vmcnt(0)
	v_cmpx_ne_u64_e64 v[2:3], v[14:15]
	s_cbranch_execz .LBB12_853
; %bb.851:
	s_mov_b32 s11, 0
.LBB12_852:                             ; =>This Inner Loop Header: Depth=1
	v_mov_b32_e32 v0, s8
	v_mov_b32_e32 v1, s9
	s_sleep 1
	global_store_dwordx2 v[4:5], v[2:3], off
	s_waitcnt_vscnt null, 0x0
	global_atomic_cmpswap_x2 v[0:1], v6, v[0:3], s[6:7] offset:32 glc
	s_waitcnt vmcnt(0)
	v_cmp_eq_u64_e32 vcc_lo, v[0:1], v[2:3]
	v_mov_b32_e32 v3, v1
	v_mov_b32_e32 v2, v0
	s_or_b32 s11, vcc_lo, s11
	s_andn2_b32 exec_lo, exec_lo, s11
	s_cbranch_execnz .LBB12_852
.LBB12_853:
	s_or_b32 exec_lo, exec_lo, s10
	v_mov_b32_e32 v3, 0
	s_mov_b32 s11, exec_lo
	s_mov_b32 s10, exec_lo
	v_mbcnt_lo_u32_b32 v2, s11, 0
	global_load_dwordx2 v[0:1], v3, s[6:7] offset:16
	v_cmpx_eq_u32_e32 0, v2
	s_cbranch_execz .LBB12_855
; %bb.854:
	s_bcnt1_i32_b32 s11, s11
	v_mov_b32_e32 v2, s11
	s_waitcnt vmcnt(0)
	global_atomic_add_x2 v[0:1], v[2:3], off offset:8
.LBB12_855:
	s_or_b32 exec_lo, exec_lo, s10
	s_waitcnt vmcnt(0)
	global_load_dwordx2 v[2:3], v[0:1], off offset:16
	s_waitcnt vmcnt(0)
	v_cmp_eq_u64_e32 vcc_lo, 0, v[2:3]
	s_cbranch_vccnz .LBB12_857
; %bb.856:
	global_load_dword v0, v[0:1], off offset:24
	v_mov_b32_e32 v1, 0
	s_waitcnt vmcnt(0)
	v_and_b32_e32 v4, 0x7fffff, v0
	s_waitcnt_vscnt null, 0x0
	global_store_dwordx2 v[2:3], v[0:1], off
	v_readfirstlane_b32 m0, v4
	s_sendmsg sendmsg(MSG_INTERRUPT)
.LBB12_857:
	s_or_b32 exec_lo, exec_lo, s5
	s_branch .LBB12_861
	.p2align	6
.LBB12_858:                             ;   in Loop: Header=BB12_861 Depth=1
	s_or_b32 exec_lo, exec_lo, s5
	v_readfirstlane_b32 s5, v0
	s_cmp_eq_u32 s5, 0
	s_cbranch_scc1 .LBB12_860
; %bb.859:                              ;   in Loop: Header=BB12_861 Depth=1
	s_sleep 1
	s_cbranch_execnz .LBB12_861
	s_branch .LBB12_863
	.p2align	6
.LBB12_860:
	s_branch .LBB12_863
.LBB12_861:                             ; =>This Inner Loop Header: Depth=1
	v_mov_b32_e32 v0, 1
	s_and_saveexec_b32 s5, s4
	s_cbranch_execz .LBB12_858
; %bb.862:                              ;   in Loop: Header=BB12_861 Depth=1
	global_load_dword v0, v[8:9], off offset:20 glc dlc
	s_waitcnt vmcnt(0)
	buffer_gl1_inv
	buffer_gl0_inv
	v_and_b32_e32 v0, 1, v0
	s_branch .LBB12_858
.LBB12_863:
	global_load_dwordx2 v[0:1], v[10:11], off
	s_and_saveexec_b32 s5, s4
	s_cbranch_execz .LBB12_867
; %bb.864:
	v_mov_b32_e32 v8, 0
	s_clause 0x2
	global_load_dwordx2 v[4:5], v8, s[6:7] offset:40
	global_load_dwordx2 v[9:10], v8, s[6:7] offset:24 glc dlc
	global_load_dwordx2 v[6:7], v8, s[6:7]
	s_waitcnt vmcnt(2)
	v_add_co_u32 v11, vcc_lo, v4, 1
	v_add_co_ci_u32_e32 v12, vcc_lo, 0, v5, vcc_lo
	v_add_co_u32 v2, vcc_lo, v11, s8
	v_add_co_ci_u32_e32 v3, vcc_lo, s9, v12, vcc_lo
	v_cmp_eq_u64_e32 vcc_lo, 0, v[2:3]
	v_cndmask_b32_e32 v3, v3, v12, vcc_lo
	v_cndmask_b32_e32 v2, v2, v11, vcc_lo
	v_and_b32_e32 v5, v3, v5
	v_and_b32_e32 v4, v2, v4
	v_mul_lo_u32 v5, v5, 24
	v_mul_hi_u32 v11, v4, 24
	v_mul_lo_u32 v4, v4, 24
	v_add_nc_u32_e32 v5, v11, v5
	s_waitcnt vmcnt(0)
	v_add_co_u32 v6, vcc_lo, v6, v4
	v_mov_b32_e32 v4, v9
	v_add_co_ci_u32_e32 v7, vcc_lo, v7, v5, vcc_lo
	v_mov_b32_e32 v5, v10
	global_store_dwordx2 v[6:7], v[9:10], off
	s_waitcnt_vscnt null, 0x0
	global_atomic_cmpswap_x2 v[4:5], v8, v[2:5], s[6:7] offset:24 glc
	s_waitcnt vmcnt(0)
	v_cmp_ne_u64_e32 vcc_lo, v[4:5], v[9:10]
	s_and_b32 exec_lo, exec_lo, vcc_lo
	s_cbranch_execz .LBB12_867
; %bb.865:
	s_mov_b32 s4, 0
.LBB12_866:                             ; =>This Inner Loop Header: Depth=1
	s_sleep 1
	global_store_dwordx2 v[6:7], v[4:5], off
	s_waitcnt_vscnt null, 0x0
	global_atomic_cmpswap_x2 v[9:10], v8, v[2:5], s[6:7] offset:24 glc
	s_waitcnt vmcnt(0)
	v_cmp_eq_u64_e32 vcc_lo, v[9:10], v[4:5]
	v_mov_b32_e32 v4, v9
	v_mov_b32_e32 v5, v10
	s_or_b32 s4, vcc_lo, s4
	s_andn2_b32 exec_lo, exec_lo, s4
	s_cbranch_execnz .LBB12_866
.LBB12_867:
	s_or_b32 exec_lo, exec_lo, s5
	s_getpc_b64 s[8:9]
	s_add_u32 s8, s8, .str.7@rel32@lo+4
	s_addc_u32 s9, s9, .str.7@rel32@hi+12
	s_cmp_lg_u64 s[8:9], 0
	s_cbranch_scc0 .LBB12_946
; %bb.868:
	s_waitcnt vmcnt(0)
	v_and_b32_e32 v33, 2, v0
	v_mov_b32_e32 v6, 0
	v_and_b32_e32 v2, -3, v0
	v_mov_b32_e32 v3, v1
	v_mov_b32_e32 v7, 2
	v_mov_b32_e32 v8, 1
	s_mov_b64 s[10:11], 4
	s_branch .LBB12_870
.LBB12_869:                             ;   in Loop: Header=BB12_870 Depth=1
	s_or_b32 exec_lo, exec_lo, s5
	s_sub_u32 s10, s10, s12
	s_subb_u32 s11, s11, s13
	s_add_u32 s8, s8, s12
	s_addc_u32 s9, s9, s13
	s_cmp_lg_u64 s[10:11], 0
	s_cbranch_scc0 .LBB12_945
.LBB12_870:                             ; =>This Loop Header: Depth=1
                                        ;     Child Loop BB12_879 Depth 2
                                        ;     Child Loop BB12_875 Depth 2
	;; [unrolled: 1-line block ×11, first 2 shown]
	v_cmp_lt_u64_e64 s4, s[10:11], 56
	v_cmp_gt_u64_e64 s5, s[10:11], 7
                                        ; implicit-def: $vgpr11_vgpr12
                                        ; implicit-def: $sgpr20
	s_and_b32 s4, s4, exec_lo
	s_cselect_b32 s13, s11, 0
	s_cselect_b32 s12, s10, 56
	s_and_b32 vcc_lo, exec_lo, s5
	s_mov_b32 s4, -1
	s_cbranch_vccz .LBB12_877
; %bb.871:                              ;   in Loop: Header=BB12_870 Depth=1
	s_andn2_b32 vcc_lo, exec_lo, s4
	s_mov_b64 s[4:5], s[8:9]
	s_cbranch_vccz .LBB12_881
.LBB12_872:                             ;   in Loop: Header=BB12_870 Depth=1
	s_cmp_gt_u32 s20, 7
	s_cbranch_scc1 .LBB12_882
.LBB12_873:                             ;   in Loop: Header=BB12_870 Depth=1
	v_mov_b32_e32 v13, 0
	v_mov_b32_e32 v14, 0
	s_cmp_eq_u32 s20, 0
	s_cbranch_scc1 .LBB12_876
; %bb.874:                              ;   in Loop: Header=BB12_870 Depth=1
	s_mov_b64 s[14:15], 0
	s_mov_b64 s[16:17], 0
.LBB12_875:                             ;   Parent Loop BB12_870 Depth=1
                                        ; =>  This Inner Loop Header: Depth=2
	s_add_u32 s22, s4, s16
	s_addc_u32 s23, s5, s17
	s_add_u32 s16, s16, 1
	global_load_ubyte v4, v6, s[22:23]
	s_addc_u32 s17, s17, 0
	s_waitcnt vmcnt(0)
	v_and_b32_e32 v5, 0xffff, v4
	v_lshlrev_b64 v[4:5], s14, v[5:6]
	s_add_u32 s14, s14, 8
	s_addc_u32 s15, s15, 0
	s_cmp_lg_u32 s20, s16
	v_or_b32_e32 v13, v4, v13
	v_or_b32_e32 v14, v5, v14
	s_cbranch_scc1 .LBB12_875
.LBB12_876:                             ;   in Loop: Header=BB12_870 Depth=1
	s_mov_b32 s21, 0
	s_cbranch_execz .LBB12_883
	s_branch .LBB12_884
.LBB12_877:                             ;   in Loop: Header=BB12_870 Depth=1
	v_mov_b32_e32 v11, 0
	v_mov_b32_e32 v12, 0
	s_cmp_eq_u64 s[10:11], 0
	s_mov_b64 s[4:5], 0
	s_cbranch_scc1 .LBB12_880
; %bb.878:                              ;   in Loop: Header=BB12_870 Depth=1
	v_mov_b32_e32 v11, 0
	v_mov_b32_e32 v12, 0
	s_lshl_b64 s[14:15], s[12:13], 3
	s_mov_b64 s[16:17], s[8:9]
.LBB12_879:                             ;   Parent Loop BB12_870 Depth=1
                                        ; =>  This Inner Loop Header: Depth=2
	global_load_ubyte v4, v6, s[16:17]
	s_waitcnt vmcnt(0)
	v_and_b32_e32 v5, 0xffff, v4
	v_lshlrev_b64 v[4:5], s4, v[5:6]
	s_add_u32 s4, s4, 8
	s_addc_u32 s5, s5, 0
	s_add_u32 s16, s16, 1
	s_addc_u32 s17, s17, 0
	s_cmp_lg_u32 s14, s4
	v_or_b32_e32 v11, v4, v11
	v_or_b32_e32 v12, v5, v12
	s_cbranch_scc1 .LBB12_879
.LBB12_880:                             ;   in Loop: Header=BB12_870 Depth=1
	s_mov_b32 s20, 0
	s_mov_b64 s[4:5], s[8:9]
	s_cbranch_execnz .LBB12_872
.LBB12_881:                             ;   in Loop: Header=BB12_870 Depth=1
	global_load_dwordx2 v[11:12], v6, s[8:9]
	s_add_i32 s20, s12, -8
	s_add_u32 s4, s8, 8
	s_addc_u32 s5, s9, 0
	s_cmp_gt_u32 s20, 7
	s_cbranch_scc0 .LBB12_873
.LBB12_882:                             ;   in Loop: Header=BB12_870 Depth=1
                                        ; implicit-def: $vgpr13_vgpr14
                                        ; implicit-def: $sgpr21
.LBB12_883:                             ;   in Loop: Header=BB12_870 Depth=1
	global_load_dwordx2 v[13:14], v6, s[4:5]
	s_add_i32 s21, s20, -8
	s_add_u32 s4, s4, 8
	s_addc_u32 s5, s5, 0
.LBB12_884:                             ;   in Loop: Header=BB12_870 Depth=1
	s_cmp_gt_u32 s21, 7
	s_cbranch_scc1 .LBB12_889
; %bb.885:                              ;   in Loop: Header=BB12_870 Depth=1
	v_mov_b32_e32 v15, 0
	v_mov_b32_e32 v16, 0
	s_cmp_eq_u32 s21, 0
	s_cbranch_scc1 .LBB12_888
; %bb.886:                              ;   in Loop: Header=BB12_870 Depth=1
	s_mov_b64 s[14:15], 0
	s_mov_b64 s[16:17], 0
.LBB12_887:                             ;   Parent Loop BB12_870 Depth=1
                                        ; =>  This Inner Loop Header: Depth=2
	s_add_u32 s22, s4, s16
	s_addc_u32 s23, s5, s17
	s_add_u32 s16, s16, 1
	global_load_ubyte v4, v6, s[22:23]
	s_addc_u32 s17, s17, 0
	s_waitcnt vmcnt(0)
	v_and_b32_e32 v5, 0xffff, v4
	v_lshlrev_b64 v[4:5], s14, v[5:6]
	s_add_u32 s14, s14, 8
	s_addc_u32 s15, s15, 0
	s_cmp_lg_u32 s21, s16
	v_or_b32_e32 v15, v4, v15
	v_or_b32_e32 v16, v5, v16
	s_cbranch_scc1 .LBB12_887
.LBB12_888:                             ;   in Loop: Header=BB12_870 Depth=1
	s_mov_b32 s20, 0
	s_cbranch_execz .LBB12_890
	s_branch .LBB12_891
.LBB12_889:                             ;   in Loop: Header=BB12_870 Depth=1
                                        ; implicit-def: $sgpr20
.LBB12_890:                             ;   in Loop: Header=BB12_870 Depth=1
	global_load_dwordx2 v[15:16], v6, s[4:5]
	s_add_i32 s20, s21, -8
	s_add_u32 s4, s4, 8
	s_addc_u32 s5, s5, 0
.LBB12_891:                             ;   in Loop: Header=BB12_870 Depth=1
	s_cmp_gt_u32 s20, 7
	s_cbranch_scc1 .LBB12_896
; %bb.892:                              ;   in Loop: Header=BB12_870 Depth=1
	v_mov_b32_e32 v17, 0
	v_mov_b32_e32 v18, 0
	s_cmp_eq_u32 s20, 0
	s_cbranch_scc1 .LBB12_895
; %bb.893:                              ;   in Loop: Header=BB12_870 Depth=1
	s_mov_b64 s[14:15], 0
	s_mov_b64 s[16:17], 0
.LBB12_894:                             ;   Parent Loop BB12_870 Depth=1
                                        ; =>  This Inner Loop Header: Depth=2
	s_add_u32 s22, s4, s16
	s_addc_u32 s23, s5, s17
	s_add_u32 s16, s16, 1
	global_load_ubyte v4, v6, s[22:23]
	s_addc_u32 s17, s17, 0
	s_waitcnt vmcnt(0)
	v_and_b32_e32 v5, 0xffff, v4
	v_lshlrev_b64 v[4:5], s14, v[5:6]
	s_add_u32 s14, s14, 8
	s_addc_u32 s15, s15, 0
	s_cmp_lg_u32 s20, s16
	v_or_b32_e32 v17, v4, v17
	v_or_b32_e32 v18, v5, v18
	s_cbranch_scc1 .LBB12_894
.LBB12_895:                             ;   in Loop: Header=BB12_870 Depth=1
	s_mov_b32 s21, 0
	s_cbranch_execz .LBB12_897
	s_branch .LBB12_898
.LBB12_896:                             ;   in Loop: Header=BB12_870 Depth=1
                                        ; implicit-def: $vgpr17_vgpr18
                                        ; implicit-def: $sgpr21
.LBB12_897:                             ;   in Loop: Header=BB12_870 Depth=1
	global_load_dwordx2 v[17:18], v6, s[4:5]
	s_add_i32 s21, s20, -8
	s_add_u32 s4, s4, 8
	s_addc_u32 s5, s5, 0
.LBB12_898:                             ;   in Loop: Header=BB12_870 Depth=1
	s_cmp_gt_u32 s21, 7
	s_cbranch_scc1 .LBB12_903
; %bb.899:                              ;   in Loop: Header=BB12_870 Depth=1
	v_mov_b32_e32 v19, 0
	v_mov_b32_e32 v20, 0
	s_cmp_eq_u32 s21, 0
	s_cbranch_scc1 .LBB12_902
; %bb.900:                              ;   in Loop: Header=BB12_870 Depth=1
	s_mov_b64 s[14:15], 0
	s_mov_b64 s[16:17], 0
.LBB12_901:                             ;   Parent Loop BB12_870 Depth=1
                                        ; =>  This Inner Loop Header: Depth=2
	s_add_u32 s22, s4, s16
	s_addc_u32 s23, s5, s17
	s_add_u32 s16, s16, 1
	global_load_ubyte v4, v6, s[22:23]
	s_addc_u32 s17, s17, 0
	s_waitcnt vmcnt(0)
	v_and_b32_e32 v5, 0xffff, v4
	v_lshlrev_b64 v[4:5], s14, v[5:6]
	s_add_u32 s14, s14, 8
	s_addc_u32 s15, s15, 0
	s_cmp_lg_u32 s21, s16
	v_or_b32_e32 v19, v4, v19
	v_or_b32_e32 v20, v5, v20
	s_cbranch_scc1 .LBB12_901
.LBB12_902:                             ;   in Loop: Header=BB12_870 Depth=1
	s_mov_b32 s20, 0
	s_cbranch_execz .LBB12_904
	s_branch .LBB12_905
.LBB12_903:                             ;   in Loop: Header=BB12_870 Depth=1
                                        ; implicit-def: $sgpr20
.LBB12_904:                             ;   in Loop: Header=BB12_870 Depth=1
	global_load_dwordx2 v[19:20], v6, s[4:5]
	s_add_i32 s20, s21, -8
	s_add_u32 s4, s4, 8
	s_addc_u32 s5, s5, 0
.LBB12_905:                             ;   in Loop: Header=BB12_870 Depth=1
	s_cmp_gt_u32 s20, 7
	s_cbranch_scc1 .LBB12_910
; %bb.906:                              ;   in Loop: Header=BB12_870 Depth=1
	v_mov_b32_e32 v21, 0
	v_mov_b32_e32 v22, 0
	s_cmp_eq_u32 s20, 0
	s_cbranch_scc1 .LBB12_909
; %bb.907:                              ;   in Loop: Header=BB12_870 Depth=1
	s_mov_b64 s[14:15], 0
	s_mov_b64 s[16:17], 0
.LBB12_908:                             ;   Parent Loop BB12_870 Depth=1
                                        ; =>  This Inner Loop Header: Depth=2
	s_add_u32 s22, s4, s16
	s_addc_u32 s23, s5, s17
	s_add_u32 s16, s16, 1
	global_load_ubyte v4, v6, s[22:23]
	s_addc_u32 s17, s17, 0
	s_waitcnt vmcnt(0)
	v_and_b32_e32 v5, 0xffff, v4
	v_lshlrev_b64 v[4:5], s14, v[5:6]
	s_add_u32 s14, s14, 8
	s_addc_u32 s15, s15, 0
	s_cmp_lg_u32 s20, s16
	v_or_b32_e32 v21, v4, v21
	v_or_b32_e32 v22, v5, v22
	s_cbranch_scc1 .LBB12_908
.LBB12_909:                             ;   in Loop: Header=BB12_870 Depth=1
	s_mov_b32 s21, 0
	s_cbranch_execz .LBB12_911
	s_branch .LBB12_912
.LBB12_910:                             ;   in Loop: Header=BB12_870 Depth=1
                                        ; implicit-def: $vgpr21_vgpr22
                                        ; implicit-def: $sgpr21
.LBB12_911:                             ;   in Loop: Header=BB12_870 Depth=1
	global_load_dwordx2 v[21:22], v6, s[4:5]
	s_add_i32 s21, s20, -8
	s_add_u32 s4, s4, 8
	s_addc_u32 s5, s5, 0
.LBB12_912:                             ;   in Loop: Header=BB12_870 Depth=1
	s_cmp_gt_u32 s21, 7
	s_cbranch_scc1 .LBB12_917
; %bb.913:                              ;   in Loop: Header=BB12_870 Depth=1
	v_mov_b32_e32 v23, 0
	v_mov_b32_e32 v24, 0
	s_cmp_eq_u32 s21, 0
	s_cbranch_scc1 .LBB12_916
; %bb.914:                              ;   in Loop: Header=BB12_870 Depth=1
	s_mov_b64 s[14:15], 0
	s_mov_b64 s[16:17], s[4:5]
.LBB12_915:                             ;   Parent Loop BB12_870 Depth=1
                                        ; =>  This Inner Loop Header: Depth=2
	global_load_ubyte v4, v6, s[16:17]
	s_add_i32 s21, s21, -1
	s_waitcnt vmcnt(0)
	v_and_b32_e32 v5, 0xffff, v4
	v_lshlrev_b64 v[4:5], s14, v[5:6]
	s_add_u32 s14, s14, 8
	s_addc_u32 s15, s15, 0
	s_add_u32 s16, s16, 1
	s_addc_u32 s17, s17, 0
	s_cmp_lg_u32 s21, 0
	v_or_b32_e32 v23, v4, v23
	v_or_b32_e32 v24, v5, v24
	s_cbranch_scc1 .LBB12_915
.LBB12_916:                             ;   in Loop: Header=BB12_870 Depth=1
	s_cbranch_execz .LBB12_918
	s_branch .LBB12_919
.LBB12_917:                             ;   in Loop: Header=BB12_870 Depth=1
.LBB12_918:                             ;   in Loop: Header=BB12_870 Depth=1
	global_load_dwordx2 v[23:24], v6, s[4:5]
.LBB12_919:                             ;   in Loop: Header=BB12_870 Depth=1
	v_readfirstlane_b32 s4, v32
	s_waitcnt vmcnt(0)
	v_mov_b32_e32 v4, 0
	v_mov_b32_e32 v5, 0
	v_cmp_eq_u32_e64 s4, s4, v32
	s_and_saveexec_b32 s5, s4
	s_cbranch_execz .LBB12_925
; %bb.920:                              ;   in Loop: Header=BB12_870 Depth=1
	global_load_dwordx2 v[27:28], v6, s[6:7] offset:24 glc dlc
	s_waitcnt vmcnt(0)
	buffer_gl1_inv
	buffer_gl0_inv
	s_clause 0x1
	global_load_dwordx2 v[4:5], v6, s[6:7] offset:40
	global_load_dwordx2 v[9:10], v6, s[6:7]
	s_mov_b32 s14, exec_lo
	s_waitcnt vmcnt(1)
	v_and_b32_e32 v5, v5, v28
	v_and_b32_e32 v4, v4, v27
	v_mul_lo_u32 v5, v5, 24
	v_mul_hi_u32 v25, v4, 24
	v_mul_lo_u32 v4, v4, 24
	v_add_nc_u32_e32 v5, v25, v5
	s_waitcnt vmcnt(0)
	v_add_co_u32 v4, vcc_lo, v9, v4
	v_add_co_ci_u32_e32 v5, vcc_lo, v10, v5, vcc_lo
	global_load_dwordx2 v[25:26], v[4:5], off glc dlc
	s_waitcnt vmcnt(0)
	global_atomic_cmpswap_x2 v[4:5], v6, v[25:28], s[6:7] offset:24 glc
	s_waitcnt vmcnt(0)
	buffer_gl1_inv
	buffer_gl0_inv
	v_cmpx_ne_u64_e64 v[4:5], v[27:28]
	s_cbranch_execz .LBB12_924
; %bb.921:                              ;   in Loop: Header=BB12_870 Depth=1
	s_mov_b32 s15, 0
	.p2align	6
.LBB12_922:                             ;   Parent Loop BB12_870 Depth=1
                                        ; =>  This Inner Loop Header: Depth=2
	s_sleep 1
	s_clause 0x1
	global_load_dwordx2 v[9:10], v6, s[6:7] offset:40
	global_load_dwordx2 v[25:26], v6, s[6:7]
	v_mov_b32_e32 v28, v5
	v_mov_b32_e32 v27, v4
	s_waitcnt vmcnt(1)
	v_and_b32_e32 v4, v9, v27
	v_and_b32_e32 v9, v10, v28
	s_waitcnt vmcnt(0)
	v_mad_u64_u32 v[4:5], null, v4, 24, v[25:26]
	v_mad_u64_u32 v[9:10], null, v9, 24, v[5:6]
	v_mov_b32_e32 v5, v9
	global_load_dwordx2 v[25:26], v[4:5], off glc dlc
	s_waitcnt vmcnt(0)
	global_atomic_cmpswap_x2 v[4:5], v6, v[25:28], s[6:7] offset:24 glc
	s_waitcnt vmcnt(0)
	buffer_gl1_inv
	buffer_gl0_inv
	v_cmp_eq_u64_e32 vcc_lo, v[4:5], v[27:28]
	s_or_b32 s15, vcc_lo, s15
	s_andn2_b32 exec_lo, exec_lo, s15
	s_cbranch_execnz .LBB12_922
; %bb.923:                              ;   in Loop: Header=BB12_870 Depth=1
	s_or_b32 exec_lo, exec_lo, s15
.LBB12_924:                             ;   in Loop: Header=BB12_870 Depth=1
	s_or_b32 exec_lo, exec_lo, s14
.LBB12_925:                             ;   in Loop: Header=BB12_870 Depth=1
	s_or_b32 exec_lo, exec_lo, s5
	s_clause 0x1
	global_load_dwordx2 v[9:10], v6, s[6:7] offset:40
	global_load_dwordx4 v[25:28], v6, s[6:7]
	v_readfirstlane_b32 s14, v4
	v_readfirstlane_b32 s15, v5
	s_mov_b32 s5, exec_lo
	s_waitcnt vmcnt(1)
	v_readfirstlane_b32 s16, v9
	v_readfirstlane_b32 s17, v10
	s_and_b64 s[16:17], s[14:15], s[16:17]
	s_mul_i32 s20, s17, 24
	s_mul_hi_u32 s21, s16, 24
	s_mul_i32 s22, s16, 24
	s_add_i32 s21, s21, s20
	s_waitcnt vmcnt(0)
	v_add_co_u32 v29, vcc_lo, v25, s22
	v_add_co_ci_u32_e32 v30, vcc_lo, s21, v26, vcc_lo
	s_and_saveexec_b32 s20, s4
	s_cbranch_execz .LBB12_927
; %bb.926:                              ;   in Loop: Header=BB12_870 Depth=1
	v_mov_b32_e32 v5, s5
	global_store_dwordx4 v[29:30], v[5:8], off offset:8
.LBB12_927:                             ;   in Loop: Header=BB12_870 Depth=1
	s_or_b32 exec_lo, exec_lo, s20
	s_lshl_b64 s[16:17], s[16:17], 12
	v_cmp_gt_u64_e64 vcc_lo, s[10:11], 56
	v_or_b32_e32 v5, v2, v33
	v_add_co_u32 v27, s5, v27, s16
	v_add_co_ci_u32_e64 v28, s5, s17, v28, s5
	s_lshl_b32 s5, s12, 2
	v_or_b32_e32 v4, 0, v3
	v_cndmask_b32_e32 v2, v5, v2, vcc_lo
	s_add_i32 s5, s5, 28
	v_readfirstlane_b32 s16, v27
	s_and_b32 s5, s5, 0x1e0
	v_cndmask_b32_e32 v10, v4, v3, vcc_lo
	v_readfirstlane_b32 s17, v28
	v_and_or_b32 v9, 0xffffff1f, v2, s5
	global_store_dwordx4 v31, v[9:12], s[16:17]
	global_store_dwordx4 v31, v[13:16], s[16:17] offset:16
	global_store_dwordx4 v31, v[17:20], s[16:17] offset:32
	;; [unrolled: 1-line block ×3, first 2 shown]
	s_and_saveexec_b32 s5, s4
	s_cbranch_execz .LBB12_935
; %bb.928:                              ;   in Loop: Header=BB12_870 Depth=1
	s_clause 0x1
	global_load_dwordx2 v[13:14], v6, s[6:7] offset:32 glc dlc
	global_load_dwordx2 v[2:3], v6, s[6:7] offset:40
	v_mov_b32_e32 v11, s14
	v_mov_b32_e32 v12, s15
	s_waitcnt vmcnt(0)
	v_readfirstlane_b32 s16, v2
	v_readfirstlane_b32 s17, v3
	s_and_b64 s[16:17], s[16:17], s[14:15]
	s_mul_i32 s17, s17, 24
	s_mul_hi_u32 s20, s16, 24
	s_mul_i32 s16, s16, 24
	s_add_i32 s20, s20, s17
	v_add_co_u32 v9, vcc_lo, v25, s16
	v_add_co_ci_u32_e32 v10, vcc_lo, s20, v26, vcc_lo
	s_mov_b32 s16, exec_lo
	global_store_dwordx2 v[9:10], v[13:14], off
	s_waitcnt_vscnt null, 0x0
	global_atomic_cmpswap_x2 v[4:5], v6, v[11:14], s[6:7] offset:32 glc
	s_waitcnt vmcnt(0)
	v_cmpx_ne_u64_e64 v[4:5], v[13:14]
	s_cbranch_execz .LBB12_931
; %bb.929:                              ;   in Loop: Header=BB12_870 Depth=1
	s_mov_b32 s17, 0
.LBB12_930:                             ;   Parent Loop BB12_870 Depth=1
                                        ; =>  This Inner Loop Header: Depth=2
	v_mov_b32_e32 v2, s14
	v_mov_b32_e32 v3, s15
	s_sleep 1
	global_store_dwordx2 v[9:10], v[4:5], off
	s_waitcnt_vscnt null, 0x0
	global_atomic_cmpswap_x2 v[2:3], v6, v[2:5], s[6:7] offset:32 glc
	s_waitcnt vmcnt(0)
	v_cmp_eq_u64_e32 vcc_lo, v[2:3], v[4:5]
	v_mov_b32_e32 v5, v3
	v_mov_b32_e32 v4, v2
	s_or_b32 s17, vcc_lo, s17
	s_andn2_b32 exec_lo, exec_lo, s17
	s_cbranch_execnz .LBB12_930
.LBB12_931:                             ;   in Loop: Header=BB12_870 Depth=1
	s_or_b32 exec_lo, exec_lo, s16
	global_load_dwordx2 v[2:3], v6, s[6:7] offset:16
	s_mov_b32 s17, exec_lo
	s_mov_b32 s16, exec_lo
	v_mbcnt_lo_u32_b32 v4, s17, 0
	v_cmpx_eq_u32_e32 0, v4
	s_cbranch_execz .LBB12_933
; %bb.932:                              ;   in Loop: Header=BB12_870 Depth=1
	s_bcnt1_i32_b32 s17, s17
	v_mov_b32_e32 v5, s17
	s_waitcnt vmcnt(0)
	global_atomic_add_x2 v[2:3], v[5:6], off offset:8
.LBB12_933:                             ;   in Loop: Header=BB12_870 Depth=1
	s_or_b32 exec_lo, exec_lo, s16
	s_waitcnt vmcnt(0)
	global_load_dwordx2 v[9:10], v[2:3], off offset:16
	s_waitcnt vmcnt(0)
	v_cmp_eq_u64_e32 vcc_lo, 0, v[9:10]
	s_cbranch_vccnz .LBB12_935
; %bb.934:                              ;   in Loop: Header=BB12_870 Depth=1
	global_load_dword v5, v[2:3], off offset:24
	s_waitcnt vmcnt(0)
	v_and_b32_e32 v2, 0x7fffff, v5
	s_waitcnt_vscnt null, 0x0
	global_store_dwordx2 v[9:10], v[5:6], off
	v_readfirstlane_b32 m0, v2
	s_sendmsg sendmsg(MSG_INTERRUPT)
.LBB12_935:                             ;   in Loop: Header=BB12_870 Depth=1
	s_or_b32 exec_lo, exec_lo, s5
	v_add_co_u32 v2, vcc_lo, v27, v31
	v_add_co_ci_u32_e32 v3, vcc_lo, 0, v28, vcc_lo
	s_branch .LBB12_939
	.p2align	6
.LBB12_936:                             ;   in Loop: Header=BB12_939 Depth=2
	s_or_b32 exec_lo, exec_lo, s5
	v_readfirstlane_b32 s5, v4
	s_cmp_eq_u32 s5, 0
	s_cbranch_scc1 .LBB12_938
; %bb.937:                              ;   in Loop: Header=BB12_939 Depth=2
	s_sleep 1
	s_cbranch_execnz .LBB12_939
	s_branch .LBB12_941
	.p2align	6
.LBB12_938:                             ;   in Loop: Header=BB12_870 Depth=1
	s_branch .LBB12_941
.LBB12_939:                             ;   Parent Loop BB12_870 Depth=1
                                        ; =>  This Inner Loop Header: Depth=2
	v_mov_b32_e32 v4, 1
	s_and_saveexec_b32 s5, s4
	s_cbranch_execz .LBB12_936
; %bb.940:                              ;   in Loop: Header=BB12_939 Depth=2
	global_load_dword v4, v[29:30], off offset:20 glc dlc
	s_waitcnt vmcnt(0)
	buffer_gl1_inv
	buffer_gl0_inv
	v_and_b32_e32 v4, 1, v4
	s_branch .LBB12_936
.LBB12_941:                             ;   in Loop: Header=BB12_870 Depth=1
	global_load_dwordx4 v[2:5], v[2:3], off
	s_and_saveexec_b32 s5, s4
	s_cbranch_execz .LBB12_869
; %bb.942:                              ;   in Loop: Header=BB12_870 Depth=1
	s_clause 0x2
	global_load_dwordx2 v[4:5], v6, s[6:7] offset:40
	global_load_dwordx2 v[13:14], v6, s[6:7] offset:24 glc dlc
	global_load_dwordx2 v[11:12], v6, s[6:7]
	s_waitcnt vmcnt(2)
	v_add_co_u32 v15, vcc_lo, v4, 1
	v_add_co_ci_u32_e32 v16, vcc_lo, 0, v5, vcc_lo
	v_add_co_u32 v9, vcc_lo, v15, s14
	v_add_co_ci_u32_e32 v10, vcc_lo, s15, v16, vcc_lo
	v_cmp_eq_u64_e32 vcc_lo, 0, v[9:10]
	v_cndmask_b32_e32 v10, v10, v16, vcc_lo
	v_cndmask_b32_e32 v9, v9, v15, vcc_lo
	v_and_b32_e32 v5, v10, v5
	v_and_b32_e32 v4, v9, v4
	v_mul_lo_u32 v5, v5, 24
	v_mul_hi_u32 v15, v4, 24
	v_mul_lo_u32 v4, v4, 24
	v_add_nc_u32_e32 v5, v15, v5
	s_waitcnt vmcnt(0)
	v_add_co_u32 v4, vcc_lo, v11, v4
	v_mov_b32_e32 v11, v13
	v_add_co_ci_u32_e32 v5, vcc_lo, v12, v5, vcc_lo
	v_mov_b32_e32 v12, v14
	global_store_dwordx2 v[4:5], v[13:14], off
	s_waitcnt_vscnt null, 0x0
	global_atomic_cmpswap_x2 v[11:12], v6, v[9:12], s[6:7] offset:24 glc
	s_waitcnt vmcnt(0)
	v_cmp_ne_u64_e32 vcc_lo, v[11:12], v[13:14]
	s_and_b32 exec_lo, exec_lo, vcc_lo
	s_cbranch_execz .LBB12_869
; %bb.943:                              ;   in Loop: Header=BB12_870 Depth=1
	s_mov_b32 s4, 0
.LBB12_944:                             ;   Parent Loop BB12_870 Depth=1
                                        ; =>  This Inner Loop Header: Depth=2
	s_sleep 1
	global_store_dwordx2 v[4:5], v[11:12], off
	s_waitcnt_vscnt null, 0x0
	global_atomic_cmpswap_x2 v[13:14], v6, v[9:12], s[6:7] offset:24 glc
	s_waitcnt vmcnt(0)
	v_cmp_eq_u64_e32 vcc_lo, v[13:14], v[11:12]
	v_mov_b32_e32 v11, v13
	v_mov_b32_e32 v12, v14
	s_or_b32 s4, vcc_lo, s4
	s_andn2_b32 exec_lo, exec_lo, s4
	s_cbranch_execnz .LBB12_944
	s_branch .LBB12_869
.LBB12_945:
	s_mov_b32 s4, 0
	s_branch .LBB12_947
.LBB12_946:
	s_mov_b32 s4, -1
                                        ; implicit-def: $vgpr2_vgpr3
.LBB12_947:
	s_and_b32 vcc_lo, exec_lo, s4
	s_cbranch_vccz .LBB12_975
; %bb.948:
	v_readfirstlane_b32 s4, v32
	v_mov_b32_e32 v8, 0
	v_mov_b32_e32 v9, 0
	v_cmp_eq_u32_e64 s4, s4, v32
	s_and_saveexec_b32 s5, s4
	s_cbranch_execz .LBB12_954
; %bb.949:
	s_waitcnt vmcnt(0)
	v_mov_b32_e32 v2, 0
	s_mov_b32 s8, exec_lo
	global_load_dwordx2 v[5:6], v2, s[6:7] offset:24 glc dlc
	s_waitcnt vmcnt(0)
	buffer_gl1_inv
	buffer_gl0_inv
	s_clause 0x1
	global_load_dwordx2 v[3:4], v2, s[6:7] offset:40
	global_load_dwordx2 v[7:8], v2, s[6:7]
	s_waitcnt vmcnt(1)
	v_and_b32_e32 v4, v4, v6
	v_and_b32_e32 v3, v3, v5
	v_mul_lo_u32 v4, v4, 24
	v_mul_hi_u32 v9, v3, 24
	v_mul_lo_u32 v3, v3, 24
	v_add_nc_u32_e32 v4, v9, v4
	s_waitcnt vmcnt(0)
	v_add_co_u32 v3, vcc_lo, v7, v3
	v_add_co_ci_u32_e32 v4, vcc_lo, v8, v4, vcc_lo
	global_load_dwordx2 v[3:4], v[3:4], off glc dlc
	s_waitcnt vmcnt(0)
	global_atomic_cmpswap_x2 v[8:9], v2, v[3:6], s[6:7] offset:24 glc
	s_waitcnt vmcnt(0)
	buffer_gl1_inv
	buffer_gl0_inv
	v_cmpx_ne_u64_e64 v[8:9], v[5:6]
	s_cbranch_execz .LBB12_953
; %bb.950:
	s_mov_b32 s9, 0
.LBB12_951:                             ; =>This Inner Loop Header: Depth=1
	s_sleep 1
	s_clause 0x1
	global_load_dwordx2 v[3:4], v2, s[6:7] offset:40
	global_load_dwordx2 v[10:11], v2, s[6:7]
	v_mov_b32_e32 v5, v8
	v_mov_b32_e32 v6, v9
	s_waitcnt vmcnt(1)
	v_and_b32_e32 v3, v3, v5
	v_and_b32_e32 v4, v4, v6
	s_waitcnt vmcnt(0)
	v_mad_u64_u32 v[7:8], null, v3, 24, v[10:11]
	v_mov_b32_e32 v3, v8
	v_mad_u64_u32 v[3:4], null, v4, 24, v[3:4]
	v_mov_b32_e32 v8, v3
	global_load_dwordx2 v[3:4], v[7:8], off glc dlc
	s_waitcnt vmcnt(0)
	global_atomic_cmpswap_x2 v[8:9], v2, v[3:6], s[6:7] offset:24 glc
	s_waitcnt vmcnt(0)
	buffer_gl1_inv
	buffer_gl0_inv
	v_cmp_eq_u64_e32 vcc_lo, v[8:9], v[5:6]
	s_or_b32 s9, vcc_lo, s9
	s_andn2_b32 exec_lo, exec_lo, s9
	s_cbranch_execnz .LBB12_951
; %bb.952:
	s_or_b32 exec_lo, exec_lo, s9
.LBB12_953:
	s_or_b32 exec_lo, exec_lo, s8
.LBB12_954:
	s_or_b32 exec_lo, exec_lo, s5
	s_waitcnt vmcnt(0)
	v_mov_b32_e32 v2, 0
	v_readfirstlane_b32 s8, v8
	v_readfirstlane_b32 s9, v9
	s_mov_b32 s5, exec_lo
	s_clause 0x1
	global_load_dwordx2 v[10:11], v2, s[6:7] offset:40
	global_load_dwordx4 v[4:7], v2, s[6:7]
	s_waitcnt vmcnt(1)
	v_readfirstlane_b32 s10, v10
	v_readfirstlane_b32 s11, v11
	s_and_b64 s[10:11], s[8:9], s[10:11]
	s_mul_i32 s12, s11, 24
	s_mul_hi_u32 s13, s10, 24
	s_mul_i32 s14, s10, 24
	s_add_i32 s13, s13, s12
	s_waitcnt vmcnt(0)
	v_add_co_u32 v8, vcc_lo, v4, s14
	v_add_co_ci_u32_e32 v9, vcc_lo, s13, v5, vcc_lo
	s_and_saveexec_b32 s12, s4
	s_cbranch_execz .LBB12_956
; %bb.955:
	v_mov_b32_e32 v10, s5
	v_mov_b32_e32 v11, v2
	;; [unrolled: 1-line block ×4, first 2 shown]
	global_store_dwordx4 v[8:9], v[10:13], off offset:8
.LBB12_956:
	s_or_b32 exec_lo, exec_lo, s12
	s_lshl_b64 s[10:11], s[10:11], 12
	s_mov_b32 s12, 0
	v_add_co_u32 v6, vcc_lo, v6, s10
	v_add_co_ci_u32_e32 v7, vcc_lo, s11, v7, vcc_lo
	s_mov_b32 s13, s12
	v_readfirstlane_b32 s10, v6
	v_add_co_u32 v6, vcc_lo, v6, v31
	s_mov_b32 s14, s12
	s_mov_b32 s15, s12
	v_and_or_b32 v0, 0xffffff1f, v0, 32
	v_mov_b32_e32 v3, v2
	v_readfirstlane_b32 s11, v7
	v_mov_b32_e32 v10, s12
	v_add_co_ci_u32_e32 v7, vcc_lo, 0, v7, vcc_lo
	v_mov_b32_e32 v11, s13
	v_mov_b32_e32 v12, s14
	;; [unrolled: 1-line block ×3, first 2 shown]
	global_store_dwordx4 v31, v[0:3], s[10:11]
	global_store_dwordx4 v31, v[10:13], s[10:11] offset:16
	global_store_dwordx4 v31, v[10:13], s[10:11] offset:32
	;; [unrolled: 1-line block ×3, first 2 shown]
	s_and_saveexec_b32 s5, s4
	s_cbranch_execz .LBB12_964
; %bb.957:
	v_mov_b32_e32 v10, 0
	v_mov_b32_e32 v11, s8
	;; [unrolled: 1-line block ×3, first 2 shown]
	s_clause 0x1
	global_load_dwordx2 v[13:14], v10, s[6:7] offset:32 glc dlc
	global_load_dwordx2 v[0:1], v10, s[6:7] offset:40
	s_waitcnt vmcnt(0)
	v_readfirstlane_b32 s10, v0
	v_readfirstlane_b32 s11, v1
	s_and_b64 s[10:11], s[10:11], s[8:9]
	s_mul_i32 s11, s11, 24
	s_mul_hi_u32 s12, s10, 24
	s_mul_i32 s10, s10, 24
	s_add_i32 s12, s12, s11
	v_add_co_u32 v4, vcc_lo, v4, s10
	v_add_co_ci_u32_e32 v5, vcc_lo, s12, v5, vcc_lo
	s_mov_b32 s10, exec_lo
	global_store_dwordx2 v[4:5], v[13:14], off
	s_waitcnt_vscnt null, 0x0
	global_atomic_cmpswap_x2 v[2:3], v10, v[11:14], s[6:7] offset:32 glc
	s_waitcnt vmcnt(0)
	v_cmpx_ne_u64_e64 v[2:3], v[13:14]
	s_cbranch_execz .LBB12_960
; %bb.958:
	s_mov_b32 s11, 0
.LBB12_959:                             ; =>This Inner Loop Header: Depth=1
	v_mov_b32_e32 v0, s8
	v_mov_b32_e32 v1, s9
	s_sleep 1
	global_store_dwordx2 v[4:5], v[2:3], off
	s_waitcnt_vscnt null, 0x0
	global_atomic_cmpswap_x2 v[0:1], v10, v[0:3], s[6:7] offset:32 glc
	s_waitcnt vmcnt(0)
	v_cmp_eq_u64_e32 vcc_lo, v[0:1], v[2:3]
	v_mov_b32_e32 v3, v1
	v_mov_b32_e32 v2, v0
	s_or_b32 s11, vcc_lo, s11
	s_andn2_b32 exec_lo, exec_lo, s11
	s_cbranch_execnz .LBB12_959
.LBB12_960:
	s_or_b32 exec_lo, exec_lo, s10
	v_mov_b32_e32 v3, 0
	s_mov_b32 s11, exec_lo
	s_mov_b32 s10, exec_lo
	v_mbcnt_lo_u32_b32 v2, s11, 0
	global_load_dwordx2 v[0:1], v3, s[6:7] offset:16
	v_cmpx_eq_u32_e32 0, v2
	s_cbranch_execz .LBB12_962
; %bb.961:
	s_bcnt1_i32_b32 s11, s11
	v_mov_b32_e32 v2, s11
	s_waitcnt vmcnt(0)
	global_atomic_add_x2 v[0:1], v[2:3], off offset:8
.LBB12_962:
	s_or_b32 exec_lo, exec_lo, s10
	s_waitcnt vmcnt(0)
	global_load_dwordx2 v[2:3], v[0:1], off offset:16
	s_waitcnt vmcnt(0)
	v_cmp_eq_u64_e32 vcc_lo, 0, v[2:3]
	s_cbranch_vccnz .LBB12_964
; %bb.963:
	global_load_dword v0, v[0:1], off offset:24
	v_mov_b32_e32 v1, 0
	s_waitcnt vmcnt(0)
	v_and_b32_e32 v4, 0x7fffff, v0
	s_waitcnt_vscnt null, 0x0
	global_store_dwordx2 v[2:3], v[0:1], off
	v_readfirstlane_b32 m0, v4
	s_sendmsg sendmsg(MSG_INTERRUPT)
.LBB12_964:
	s_or_b32 exec_lo, exec_lo, s5
	s_branch .LBB12_968
	.p2align	6
.LBB12_965:                             ;   in Loop: Header=BB12_968 Depth=1
	s_or_b32 exec_lo, exec_lo, s5
	v_readfirstlane_b32 s5, v0
	s_cmp_eq_u32 s5, 0
	s_cbranch_scc1 .LBB12_967
; %bb.966:                              ;   in Loop: Header=BB12_968 Depth=1
	s_sleep 1
	s_cbranch_execnz .LBB12_968
	s_branch .LBB12_970
.LBB12_967:
	s_branch .LBB12_970
.LBB12_968:                             ; =>This Inner Loop Header: Depth=1
	v_mov_b32_e32 v0, 1
	s_and_saveexec_b32 s5, s4
	s_cbranch_execz .LBB12_965
; %bb.969:                              ;   in Loop: Header=BB12_968 Depth=1
	global_load_dword v0, v[8:9], off offset:20 glc dlc
	s_waitcnt vmcnt(0)
	buffer_gl1_inv
	buffer_gl0_inv
	v_and_b32_e32 v0, 1, v0
	s_branch .LBB12_965
.LBB12_970:
	global_load_dwordx2 v[2:3], v[6:7], off
	s_and_saveexec_b32 s5, s4
	s_cbranch_execz .LBB12_974
; %bb.971:
	v_mov_b32_e32 v8, 0
	s_clause 0x2
	global_load_dwordx2 v[0:1], v8, s[6:7] offset:40
	global_load_dwordx2 v[9:10], v8, s[6:7] offset:24 glc dlc
	global_load_dwordx2 v[6:7], v8, s[6:7]
	s_waitcnt vmcnt(2)
	v_add_co_u32 v11, vcc_lo, v0, 1
	v_add_co_ci_u32_e32 v12, vcc_lo, 0, v1, vcc_lo
	v_add_co_u32 v4, vcc_lo, v11, s8
	v_add_co_ci_u32_e32 v5, vcc_lo, s9, v12, vcc_lo
	v_cmp_eq_u64_e32 vcc_lo, 0, v[4:5]
	v_cndmask_b32_e32 v5, v5, v12, vcc_lo
	v_cndmask_b32_e32 v4, v4, v11, vcc_lo
	v_and_b32_e32 v1, v5, v1
	v_and_b32_e32 v0, v4, v0
	v_mul_lo_u32 v1, v1, 24
	v_mul_hi_u32 v11, v0, 24
	v_mul_lo_u32 v0, v0, 24
	v_add_nc_u32_e32 v1, v11, v1
	s_waitcnt vmcnt(0)
	v_add_co_u32 v0, vcc_lo, v6, v0
	v_mov_b32_e32 v6, v9
	v_add_co_ci_u32_e32 v1, vcc_lo, v7, v1, vcc_lo
	v_mov_b32_e32 v7, v10
	global_store_dwordx2 v[0:1], v[9:10], off
	s_waitcnt_vscnt null, 0x0
	global_atomic_cmpswap_x2 v[6:7], v8, v[4:7], s[6:7] offset:24 glc
	s_waitcnt vmcnt(0)
	v_cmp_ne_u64_e32 vcc_lo, v[6:7], v[9:10]
	s_and_b32 exec_lo, exec_lo, vcc_lo
	s_cbranch_execz .LBB12_974
; %bb.972:
	s_mov_b32 s4, 0
.LBB12_973:                             ; =>This Inner Loop Header: Depth=1
	s_sleep 1
	global_store_dwordx2 v[0:1], v[6:7], off
	s_waitcnt_vscnt null, 0x0
	global_atomic_cmpswap_x2 v[9:10], v8, v[4:7], s[6:7] offset:24 glc
	s_waitcnt vmcnt(0)
	v_cmp_eq_u64_e32 vcc_lo, v[9:10], v[6:7]
	v_mov_b32_e32 v6, v9
	v_mov_b32_e32 v7, v10
	s_or_b32 s4, vcc_lo, s4
	s_andn2_b32 exec_lo, exec_lo, s4
	s_cbranch_execnz .LBB12_973
.LBB12_974:
	s_or_b32 exec_lo, exec_lo, s5
.LBB12_975:
	v_readfirstlane_b32 s4, v32
	s_waitcnt vmcnt(0)
	v_mov_b32_e32 v0, 0
	v_mov_b32_e32 v1, 0
	v_cmp_eq_u32_e64 s4, s4, v32
	s_and_saveexec_b32 s5, s4
	s_cbranch_execz .LBB12_981
; %bb.976:
	v_mov_b32_e32 v4, 0
	s_mov_b32 s8, exec_lo
	global_load_dwordx2 v[7:8], v4, s[6:7] offset:24 glc dlc
	s_waitcnt vmcnt(0)
	buffer_gl1_inv
	buffer_gl0_inv
	s_clause 0x1
	global_load_dwordx2 v[0:1], v4, s[6:7] offset:40
	global_load_dwordx2 v[5:6], v4, s[6:7]
	s_waitcnt vmcnt(1)
	v_and_b32_e32 v1, v1, v8
	v_and_b32_e32 v0, v0, v7
	v_mul_lo_u32 v1, v1, 24
	v_mul_hi_u32 v9, v0, 24
	v_mul_lo_u32 v0, v0, 24
	v_add_nc_u32_e32 v1, v9, v1
	s_waitcnt vmcnt(0)
	v_add_co_u32 v0, vcc_lo, v5, v0
	v_add_co_ci_u32_e32 v1, vcc_lo, v6, v1, vcc_lo
	global_load_dwordx2 v[5:6], v[0:1], off glc dlc
	s_waitcnt vmcnt(0)
	global_atomic_cmpswap_x2 v[0:1], v4, v[5:8], s[6:7] offset:24 glc
	s_waitcnt vmcnt(0)
	buffer_gl1_inv
	buffer_gl0_inv
	v_cmpx_ne_u64_e64 v[0:1], v[7:8]
	s_cbranch_execz .LBB12_980
; %bb.977:
	s_mov_b32 s9, 0
.LBB12_978:                             ; =>This Inner Loop Header: Depth=1
	s_sleep 1
	s_clause 0x1
	global_load_dwordx2 v[5:6], v4, s[6:7] offset:40
	global_load_dwordx2 v[9:10], v4, s[6:7]
	v_mov_b32_e32 v8, v1
	v_mov_b32_e32 v7, v0
	s_waitcnt vmcnt(1)
	v_and_b32_e32 v0, v5, v7
	v_and_b32_e32 v5, v6, v8
	s_waitcnt vmcnt(0)
	v_mad_u64_u32 v[0:1], null, v0, 24, v[9:10]
	v_mad_u64_u32 v[5:6], null, v5, 24, v[1:2]
	v_mov_b32_e32 v1, v5
	global_load_dwordx2 v[5:6], v[0:1], off glc dlc
	s_waitcnt vmcnt(0)
	global_atomic_cmpswap_x2 v[0:1], v4, v[5:8], s[6:7] offset:24 glc
	s_waitcnt vmcnt(0)
	buffer_gl1_inv
	buffer_gl0_inv
	v_cmp_eq_u64_e32 vcc_lo, v[0:1], v[7:8]
	s_or_b32 s9, vcc_lo, s9
	s_andn2_b32 exec_lo, exec_lo, s9
	s_cbranch_execnz .LBB12_978
; %bb.979:
	s_or_b32 exec_lo, exec_lo, s9
.LBB12_980:
	s_or_b32 exec_lo, exec_lo, s8
.LBB12_981:
	s_or_b32 exec_lo, exec_lo, s5
	v_mov_b32_e32 v5, 0
	v_readfirstlane_b32 s8, v0
	v_readfirstlane_b32 s9, v1
	s_mov_b32 s5, exec_lo
	s_clause 0x1
	global_load_dwordx2 v[10:11], v5, s[6:7] offset:40
	global_load_dwordx4 v[6:9], v5, s[6:7]
	s_waitcnt vmcnt(1)
	v_readfirstlane_b32 s10, v10
	v_readfirstlane_b32 s11, v11
	s_and_b64 s[10:11], s[8:9], s[10:11]
	s_mul_i32 s12, s11, 24
	s_mul_hi_u32 s13, s10, 24
	s_mul_i32 s14, s10, 24
	s_add_i32 s13, s13, s12
	s_waitcnt vmcnt(0)
	v_add_co_u32 v10, vcc_lo, v6, s14
	v_add_co_ci_u32_e32 v11, vcc_lo, s13, v7, vcc_lo
	s_and_saveexec_b32 s12, s4
	s_cbranch_execz .LBB12_983
; %bb.982:
	v_mov_b32_e32 v4, s5
	v_mov_b32_e32 v13, v5
	;; [unrolled: 1-line block ×5, first 2 shown]
	global_store_dwordx4 v[10:11], v[12:15], off offset:8
.LBB12_983:
	s_or_b32 exec_lo, exec_lo, s12
	s_lshl_b64 s[10:11], s[10:11], 12
	s_mov_b32 s12, 0
	v_add_co_u32 v0, vcc_lo, v8, s10
	v_add_co_ci_u32_e32 v1, vcc_lo, s11, v9, vcc_lo
	s_mov_b32 s13, s12
	s_mov_b32 s14, s12
	;; [unrolled: 1-line block ×3, first 2 shown]
	v_and_or_b32 v2, 0xffffff1d, v2, 34
	v_mov_b32_e32 v4, 0x40a
	v_readfirstlane_b32 s10, v0
	v_readfirstlane_b32 s11, v1
	v_mov_b32_e32 v12, s12
	v_mov_b32_e32 v13, s13
	;; [unrolled: 1-line block ×4, first 2 shown]
	global_store_dwordx4 v31, v[2:5], s[10:11]
	global_store_dwordx4 v31, v[12:15], s[10:11] offset:16
	global_store_dwordx4 v31, v[12:15], s[10:11] offset:32
	;; [unrolled: 1-line block ×3, first 2 shown]
	s_and_saveexec_b32 s5, s4
	s_cbranch_execz .LBB12_991
; %bb.984:
	v_mov_b32_e32 v8, 0
	v_mov_b32_e32 v12, s8
	;; [unrolled: 1-line block ×3, first 2 shown]
	s_clause 0x1
	global_load_dwordx2 v[14:15], v8, s[6:7] offset:32 glc dlc
	global_load_dwordx2 v[0:1], v8, s[6:7] offset:40
	s_waitcnt vmcnt(0)
	v_readfirstlane_b32 s10, v0
	v_readfirstlane_b32 s11, v1
	s_and_b64 s[10:11], s[10:11], s[8:9]
	s_mul_i32 s11, s11, 24
	s_mul_hi_u32 s12, s10, 24
	s_mul_i32 s10, s10, 24
	s_add_i32 s12, s12, s11
	v_add_co_u32 v4, vcc_lo, v6, s10
	v_add_co_ci_u32_e32 v5, vcc_lo, s12, v7, vcc_lo
	s_mov_b32 s10, exec_lo
	global_store_dwordx2 v[4:5], v[14:15], off
	s_waitcnt_vscnt null, 0x0
	global_atomic_cmpswap_x2 v[2:3], v8, v[12:15], s[6:7] offset:32 glc
	s_waitcnt vmcnt(0)
	v_cmpx_ne_u64_e64 v[2:3], v[14:15]
	s_cbranch_execz .LBB12_987
; %bb.985:
	s_mov_b32 s11, 0
.LBB12_986:                             ; =>This Inner Loop Header: Depth=1
	v_mov_b32_e32 v0, s8
	v_mov_b32_e32 v1, s9
	s_sleep 1
	global_store_dwordx2 v[4:5], v[2:3], off
	s_waitcnt_vscnt null, 0x0
	global_atomic_cmpswap_x2 v[0:1], v8, v[0:3], s[6:7] offset:32 glc
	s_waitcnt vmcnt(0)
	v_cmp_eq_u64_e32 vcc_lo, v[0:1], v[2:3]
	v_mov_b32_e32 v3, v1
	v_mov_b32_e32 v2, v0
	s_or_b32 s11, vcc_lo, s11
	s_andn2_b32 exec_lo, exec_lo, s11
	s_cbranch_execnz .LBB12_986
.LBB12_987:
	s_or_b32 exec_lo, exec_lo, s10
	v_mov_b32_e32 v3, 0
	s_mov_b32 s11, exec_lo
	s_mov_b32 s10, exec_lo
	v_mbcnt_lo_u32_b32 v2, s11, 0
	global_load_dwordx2 v[0:1], v3, s[6:7] offset:16
	v_cmpx_eq_u32_e32 0, v2
	s_cbranch_execz .LBB12_989
; %bb.988:
	s_bcnt1_i32_b32 s11, s11
	v_mov_b32_e32 v2, s11
	s_waitcnt vmcnt(0)
	global_atomic_add_x2 v[0:1], v[2:3], off offset:8
.LBB12_989:
	s_or_b32 exec_lo, exec_lo, s10
	s_waitcnt vmcnt(0)
	global_load_dwordx2 v[2:3], v[0:1], off offset:16
	s_waitcnt vmcnt(0)
	v_cmp_eq_u64_e32 vcc_lo, 0, v[2:3]
	s_cbranch_vccnz .LBB12_991
; %bb.990:
	global_load_dword v0, v[0:1], off offset:24
	v_mov_b32_e32 v1, 0
	s_waitcnt vmcnt(0)
	v_and_b32_e32 v4, 0x7fffff, v0
	s_waitcnt_vscnt null, 0x0
	global_store_dwordx2 v[2:3], v[0:1], off
	v_readfirstlane_b32 m0, v4
	s_sendmsg sendmsg(MSG_INTERRUPT)
.LBB12_991:
	s_or_b32 exec_lo, exec_lo, s5
	s_branch .LBB12_995
	.p2align	6
.LBB12_992:                             ;   in Loop: Header=BB12_995 Depth=1
	s_or_b32 exec_lo, exec_lo, s5
	v_readfirstlane_b32 s5, v0
	s_cmp_eq_u32 s5, 0
	s_cbranch_scc1 .LBB12_994
; %bb.993:                              ;   in Loop: Header=BB12_995 Depth=1
	s_sleep 1
	s_cbranch_execnz .LBB12_995
	s_branch .LBB12_997
	.p2align	6
.LBB12_994:
	s_branch .LBB12_997
.LBB12_995:                             ; =>This Inner Loop Header: Depth=1
	v_mov_b32_e32 v0, 1
	s_and_saveexec_b32 s5, s4
	s_cbranch_execz .LBB12_992
; %bb.996:                              ;   in Loop: Header=BB12_995 Depth=1
	global_load_dword v0, v[10:11], off offset:20 glc dlc
	s_waitcnt vmcnt(0)
	buffer_gl1_inv
	buffer_gl0_inv
	v_and_b32_e32 v0, 1, v0
	s_branch .LBB12_992
.LBB12_997:
	s_and_saveexec_b32 s5, s4
	s_cbranch_execz .LBB12_1001
; %bb.998:
	v_mov_b32_e32 v6, 0
	s_clause 0x2
	global_load_dwordx2 v[2:3], v6, s[6:7] offset:40
	global_load_dwordx2 v[7:8], v6, s[6:7] offset:24 glc dlc
	global_load_dwordx2 v[4:5], v6, s[6:7]
	s_waitcnt vmcnt(2)
	v_add_co_u32 v9, vcc_lo, v2, 1
	v_add_co_ci_u32_e32 v10, vcc_lo, 0, v3, vcc_lo
	v_add_co_u32 v0, vcc_lo, v9, s8
	v_add_co_ci_u32_e32 v1, vcc_lo, s9, v10, vcc_lo
	v_cmp_eq_u64_e32 vcc_lo, 0, v[0:1]
	v_cndmask_b32_e32 v1, v1, v10, vcc_lo
	v_cndmask_b32_e32 v0, v0, v9, vcc_lo
	v_and_b32_e32 v3, v1, v3
	v_and_b32_e32 v2, v0, v2
	v_mul_lo_u32 v3, v3, 24
	v_mul_hi_u32 v9, v2, 24
	v_mul_lo_u32 v2, v2, 24
	v_add_nc_u32_e32 v3, v9, v3
	s_waitcnt vmcnt(0)
	v_add_co_u32 v4, vcc_lo, v4, v2
	v_mov_b32_e32 v2, v7
	v_add_co_ci_u32_e32 v5, vcc_lo, v5, v3, vcc_lo
	v_mov_b32_e32 v3, v8
	global_store_dwordx2 v[4:5], v[7:8], off
	s_waitcnt_vscnt null, 0x0
	global_atomic_cmpswap_x2 v[2:3], v6, v[0:3], s[6:7] offset:24 glc
	s_waitcnt vmcnt(0)
	v_cmp_ne_u64_e32 vcc_lo, v[2:3], v[7:8]
	s_and_b32 exec_lo, exec_lo, vcc_lo
	s_cbranch_execz .LBB12_1001
; %bb.999:
	s_mov_b32 s4, 0
.LBB12_1000:                            ; =>This Inner Loop Header: Depth=1
	s_sleep 1
	global_store_dwordx2 v[4:5], v[2:3], off
	s_waitcnt_vscnt null, 0x0
	global_atomic_cmpswap_x2 v[7:8], v6, v[0:3], s[6:7] offset:24 glc
	s_waitcnt vmcnt(0)
	v_cmp_eq_u64_e32 vcc_lo, v[7:8], v[2:3]
	v_mov_b32_e32 v2, v7
	v_mov_b32_e32 v3, v8
	s_or_b32 s4, vcc_lo, s4
	s_andn2_b32 exec_lo, exec_lo, s4
	s_cbranch_execnz .LBB12_1000
.LBB12_1001:
	s_or_b32 exec_lo, exec_lo, s5
	v_readfirstlane_b32 s4, v32
	v_mov_b32_e32 v6, 0
	v_mov_b32_e32 v7, 0
	v_cmp_eq_u32_e64 s4, s4, v32
	s_and_saveexec_b32 s5, s4
	s_cbranch_execz .LBB12_1007
; %bb.1002:
	v_mov_b32_e32 v0, 0
	s_mov_b32 s8, exec_lo
	global_load_dwordx2 v[3:4], v0, s[6:7] offset:24 glc dlc
	s_waitcnt vmcnt(0)
	buffer_gl1_inv
	buffer_gl0_inv
	s_clause 0x1
	global_load_dwordx2 v[1:2], v0, s[6:7] offset:40
	global_load_dwordx2 v[5:6], v0, s[6:7]
	s_waitcnt vmcnt(1)
	v_and_b32_e32 v2, v2, v4
	v_and_b32_e32 v1, v1, v3
	v_mul_lo_u32 v2, v2, 24
	v_mul_hi_u32 v7, v1, 24
	v_mul_lo_u32 v1, v1, 24
	v_add_nc_u32_e32 v2, v7, v2
	s_waitcnt vmcnt(0)
	v_add_co_u32 v1, vcc_lo, v5, v1
	v_add_co_ci_u32_e32 v2, vcc_lo, v6, v2, vcc_lo
	global_load_dwordx2 v[1:2], v[1:2], off glc dlc
	s_waitcnt vmcnt(0)
	global_atomic_cmpswap_x2 v[6:7], v0, v[1:4], s[6:7] offset:24 glc
	s_waitcnt vmcnt(0)
	buffer_gl1_inv
	buffer_gl0_inv
	v_cmpx_ne_u64_e64 v[6:7], v[3:4]
	s_cbranch_execz .LBB12_1006
; %bb.1003:
	s_mov_b32 s9, 0
.LBB12_1004:                            ; =>This Inner Loop Header: Depth=1
	s_sleep 1
	s_clause 0x1
	global_load_dwordx2 v[1:2], v0, s[6:7] offset:40
	global_load_dwordx2 v[8:9], v0, s[6:7]
	v_mov_b32_e32 v3, v6
	v_mov_b32_e32 v4, v7
	s_waitcnt vmcnt(1)
	v_and_b32_e32 v1, v1, v3
	v_and_b32_e32 v2, v2, v4
	s_waitcnt vmcnt(0)
	v_mad_u64_u32 v[5:6], null, v1, 24, v[8:9]
	v_mov_b32_e32 v1, v6
	v_mad_u64_u32 v[1:2], null, v2, 24, v[1:2]
	v_mov_b32_e32 v6, v1
	global_load_dwordx2 v[1:2], v[5:6], off glc dlc
	s_waitcnt vmcnt(0)
	global_atomic_cmpswap_x2 v[6:7], v0, v[1:4], s[6:7] offset:24 glc
	s_waitcnt vmcnt(0)
	buffer_gl1_inv
	buffer_gl0_inv
	v_cmp_eq_u64_e32 vcc_lo, v[6:7], v[3:4]
	s_or_b32 s9, vcc_lo, s9
	s_andn2_b32 exec_lo, exec_lo, s9
	s_cbranch_execnz .LBB12_1004
; %bb.1005:
	s_or_b32 exec_lo, exec_lo, s9
.LBB12_1006:
	s_or_b32 exec_lo, exec_lo, s8
.LBB12_1007:
	s_or_b32 exec_lo, exec_lo, s5
	v_mov_b32_e32 v5, 0
	v_readfirstlane_b32 s8, v6
	v_readfirstlane_b32 s9, v7
	s_mov_b32 s5, exec_lo
	s_clause 0x1
	global_load_dwordx2 v[8:9], v5, s[6:7] offset:40
	global_load_dwordx4 v[0:3], v5, s[6:7]
	s_waitcnt vmcnt(1)
	v_readfirstlane_b32 s10, v8
	v_readfirstlane_b32 s11, v9
	s_and_b64 s[10:11], s[8:9], s[10:11]
	s_mul_i32 s12, s11, 24
	s_mul_hi_u32 s13, s10, 24
	s_mul_i32 s14, s10, 24
	s_add_i32 s13, s13, s12
	s_waitcnt vmcnt(0)
	v_add_co_u32 v8, vcc_lo, v0, s14
	v_add_co_ci_u32_e32 v9, vcc_lo, s13, v1, vcc_lo
	s_and_saveexec_b32 s12, s4
	s_cbranch_execz .LBB12_1009
; %bb.1008:
	v_mov_b32_e32 v4, s5
	v_mov_b32_e32 v6, 2
	;; [unrolled: 1-line block ×3, first 2 shown]
	global_store_dwordx4 v[8:9], v[4:7], off offset:8
.LBB12_1009:
	s_or_b32 exec_lo, exec_lo, s12
	s_lshl_b64 s[10:11], s[10:11], 12
	s_mov_b32 s12, 0
	v_add_co_u32 v2, vcc_lo, v2, s10
	v_add_co_ci_u32_e32 v3, vcc_lo, s11, v3, vcc_lo
	s_mov_b32 s13, s12
	v_add_co_u32 v10, vcc_lo, v2, v31
	s_mov_b32 s14, s12
	s_mov_b32 s15, s12
	v_mov_b32_e32 v4, 33
	v_mov_b32_e32 v6, v5
	;; [unrolled: 1-line block ×3, first 2 shown]
	v_readfirstlane_b32 s10, v2
	v_readfirstlane_b32 s11, v3
	v_mov_b32_e32 v12, s12
	v_add_co_ci_u32_e32 v11, vcc_lo, 0, v3, vcc_lo
	v_mov_b32_e32 v13, s13
	v_mov_b32_e32 v14, s14
	;; [unrolled: 1-line block ×3, first 2 shown]
	global_store_dwordx4 v31, v[4:7], s[10:11]
	global_store_dwordx4 v31, v[12:15], s[10:11] offset:16
	global_store_dwordx4 v31, v[12:15], s[10:11] offset:32
	;; [unrolled: 1-line block ×3, first 2 shown]
	s_and_saveexec_b32 s5, s4
	s_cbranch_execz .LBB12_1017
; %bb.1010:
	v_mov_b32_e32 v6, 0
	v_mov_b32_e32 v12, s8
	;; [unrolled: 1-line block ×3, first 2 shown]
	s_clause 0x1
	global_load_dwordx2 v[14:15], v6, s[6:7] offset:32 glc dlc
	global_load_dwordx2 v[2:3], v6, s[6:7] offset:40
	s_waitcnt vmcnt(0)
	v_readfirstlane_b32 s10, v2
	v_readfirstlane_b32 s11, v3
	s_and_b64 s[10:11], s[10:11], s[8:9]
	s_mul_i32 s11, s11, 24
	s_mul_hi_u32 s12, s10, 24
	s_mul_i32 s10, s10, 24
	s_add_i32 s12, s12, s11
	v_add_co_u32 v4, vcc_lo, v0, s10
	v_add_co_ci_u32_e32 v5, vcc_lo, s12, v1, vcc_lo
	s_mov_b32 s10, exec_lo
	global_store_dwordx2 v[4:5], v[14:15], off
	s_waitcnt_vscnt null, 0x0
	global_atomic_cmpswap_x2 v[2:3], v6, v[12:15], s[6:7] offset:32 glc
	s_waitcnt vmcnt(0)
	v_cmpx_ne_u64_e64 v[2:3], v[14:15]
	s_cbranch_execz .LBB12_1013
; %bb.1011:
	s_mov_b32 s11, 0
.LBB12_1012:                            ; =>This Inner Loop Header: Depth=1
	v_mov_b32_e32 v0, s8
	v_mov_b32_e32 v1, s9
	s_sleep 1
	global_store_dwordx2 v[4:5], v[2:3], off
	s_waitcnt_vscnt null, 0x0
	global_atomic_cmpswap_x2 v[0:1], v6, v[0:3], s[6:7] offset:32 glc
	s_waitcnt vmcnt(0)
	v_cmp_eq_u64_e32 vcc_lo, v[0:1], v[2:3]
	v_mov_b32_e32 v3, v1
	v_mov_b32_e32 v2, v0
	s_or_b32 s11, vcc_lo, s11
	s_andn2_b32 exec_lo, exec_lo, s11
	s_cbranch_execnz .LBB12_1012
.LBB12_1013:
	s_or_b32 exec_lo, exec_lo, s10
	v_mov_b32_e32 v3, 0
	s_mov_b32 s11, exec_lo
	s_mov_b32 s10, exec_lo
	v_mbcnt_lo_u32_b32 v2, s11, 0
	global_load_dwordx2 v[0:1], v3, s[6:7] offset:16
	v_cmpx_eq_u32_e32 0, v2
	s_cbranch_execz .LBB12_1015
; %bb.1014:
	s_bcnt1_i32_b32 s11, s11
	v_mov_b32_e32 v2, s11
	s_waitcnt vmcnt(0)
	global_atomic_add_x2 v[0:1], v[2:3], off offset:8
.LBB12_1015:
	s_or_b32 exec_lo, exec_lo, s10
	s_waitcnt vmcnt(0)
	global_load_dwordx2 v[2:3], v[0:1], off offset:16
	s_waitcnt vmcnt(0)
	v_cmp_eq_u64_e32 vcc_lo, 0, v[2:3]
	s_cbranch_vccnz .LBB12_1017
; %bb.1016:
	global_load_dword v0, v[0:1], off offset:24
	v_mov_b32_e32 v1, 0
	s_waitcnt vmcnt(0)
	v_and_b32_e32 v4, 0x7fffff, v0
	s_waitcnt_vscnt null, 0x0
	global_store_dwordx2 v[2:3], v[0:1], off
	v_readfirstlane_b32 m0, v4
	s_sendmsg sendmsg(MSG_INTERRUPT)
.LBB12_1017:
	s_or_b32 exec_lo, exec_lo, s5
	s_branch .LBB12_1021
	.p2align	6
.LBB12_1018:                            ;   in Loop: Header=BB12_1021 Depth=1
	s_or_b32 exec_lo, exec_lo, s5
	v_readfirstlane_b32 s5, v0
	s_cmp_eq_u32 s5, 0
	s_cbranch_scc1 .LBB12_1020
; %bb.1019:                             ;   in Loop: Header=BB12_1021 Depth=1
	s_sleep 1
	s_cbranch_execnz .LBB12_1021
	s_branch .LBB12_1023
	.p2align	6
.LBB12_1020:
	s_branch .LBB12_1023
.LBB12_1021:                            ; =>This Inner Loop Header: Depth=1
	v_mov_b32_e32 v0, 1
	s_and_saveexec_b32 s5, s4
	s_cbranch_execz .LBB12_1018
; %bb.1022:                             ;   in Loop: Header=BB12_1021 Depth=1
	global_load_dword v0, v[8:9], off offset:20 glc dlc
	s_waitcnt vmcnt(0)
	buffer_gl1_inv
	buffer_gl0_inv
	v_and_b32_e32 v0, 1, v0
	s_branch .LBB12_1018
.LBB12_1023:
	global_load_dwordx2 v[0:1], v[10:11], off
	s_and_saveexec_b32 s5, s4
	s_cbranch_execz .LBB12_1027
; %bb.1024:
	v_mov_b32_e32 v8, 0
	s_clause 0x2
	global_load_dwordx2 v[4:5], v8, s[6:7] offset:40
	global_load_dwordx2 v[9:10], v8, s[6:7] offset:24 glc dlc
	global_load_dwordx2 v[6:7], v8, s[6:7]
	s_waitcnt vmcnt(2)
	v_add_co_u32 v11, vcc_lo, v4, 1
	v_add_co_ci_u32_e32 v12, vcc_lo, 0, v5, vcc_lo
	v_add_co_u32 v2, vcc_lo, v11, s8
	v_add_co_ci_u32_e32 v3, vcc_lo, s9, v12, vcc_lo
	v_cmp_eq_u64_e32 vcc_lo, 0, v[2:3]
	v_cndmask_b32_e32 v3, v3, v12, vcc_lo
	v_cndmask_b32_e32 v2, v2, v11, vcc_lo
	v_and_b32_e32 v5, v3, v5
	v_and_b32_e32 v4, v2, v4
	v_mul_lo_u32 v5, v5, 24
	v_mul_hi_u32 v11, v4, 24
	v_mul_lo_u32 v4, v4, 24
	v_add_nc_u32_e32 v5, v11, v5
	s_waitcnt vmcnt(0)
	v_add_co_u32 v6, vcc_lo, v6, v4
	v_mov_b32_e32 v4, v9
	v_add_co_ci_u32_e32 v7, vcc_lo, v7, v5, vcc_lo
	v_mov_b32_e32 v5, v10
	global_store_dwordx2 v[6:7], v[9:10], off
	s_waitcnt_vscnt null, 0x0
	global_atomic_cmpswap_x2 v[4:5], v8, v[2:5], s[6:7] offset:24 glc
	s_waitcnt vmcnt(0)
	v_cmp_ne_u64_e32 vcc_lo, v[4:5], v[9:10]
	s_and_b32 exec_lo, exec_lo, vcc_lo
	s_cbranch_execz .LBB12_1027
; %bb.1025:
	s_mov_b32 s4, 0
.LBB12_1026:                            ; =>This Inner Loop Header: Depth=1
	s_sleep 1
	global_store_dwordx2 v[6:7], v[4:5], off
	s_waitcnt_vscnt null, 0x0
	global_atomic_cmpswap_x2 v[9:10], v8, v[2:5], s[6:7] offset:24 glc
	s_waitcnt vmcnt(0)
	v_cmp_eq_u64_e32 vcc_lo, v[9:10], v[4:5]
	v_mov_b32_e32 v4, v9
	v_mov_b32_e32 v5, v10
	s_or_b32 s4, vcc_lo, s4
	s_andn2_b32 exec_lo, exec_lo, s4
	s_cbranch_execnz .LBB12_1026
.LBB12_1027:
	s_or_b32 exec_lo, exec_lo, s5
	s_and_b32 vcc_lo, exec_lo, s19
	s_cbranch_vccz .LBB12_1106
; %bb.1028:
	s_waitcnt vmcnt(0)
	v_and_b32_e32 v33, 2, v0
	v_mov_b32_e32 v6, 0
	v_and_b32_e32 v2, -3, v0
	v_mov_b32_e32 v3, v1
	v_mov_b32_e32 v7, 2
	;; [unrolled: 1-line block ×3, first 2 shown]
	s_mov_b64 s[10:11], 3
	s_getpc_b64 s[8:9]
	s_add_u32 s8, s8, .str.6@rel32@lo+4
	s_addc_u32 s9, s9, .str.6@rel32@hi+12
	s_branch .LBB12_1030
.LBB12_1029:                            ;   in Loop: Header=BB12_1030 Depth=1
	s_or_b32 exec_lo, exec_lo, s5
	s_sub_u32 s10, s10, s12
	s_subb_u32 s11, s11, s13
	s_add_u32 s8, s8, s12
	s_addc_u32 s9, s9, s13
	s_cmp_lg_u64 s[10:11], 0
	s_cbranch_scc0 .LBB12_1105
.LBB12_1030:                            ; =>This Loop Header: Depth=1
                                        ;     Child Loop BB12_1039 Depth 2
                                        ;     Child Loop BB12_1035 Depth 2
	;; [unrolled: 1-line block ×11, first 2 shown]
	v_cmp_lt_u64_e64 s4, s[10:11], 56
	v_cmp_gt_u64_e64 s5, s[10:11], 7
                                        ; implicit-def: $vgpr11_vgpr12
                                        ; implicit-def: $sgpr20
	s_and_b32 s4, s4, exec_lo
	s_cselect_b32 s13, s11, 0
	s_cselect_b32 s12, s10, 56
	s_and_b32 vcc_lo, exec_lo, s5
	s_mov_b32 s4, -1
	s_cbranch_vccz .LBB12_1037
; %bb.1031:                             ;   in Loop: Header=BB12_1030 Depth=1
	s_andn2_b32 vcc_lo, exec_lo, s4
	s_mov_b64 s[4:5], s[8:9]
	s_cbranch_vccz .LBB12_1041
.LBB12_1032:                            ;   in Loop: Header=BB12_1030 Depth=1
	s_cmp_gt_u32 s20, 7
	s_cbranch_scc1 .LBB12_1042
.LBB12_1033:                            ;   in Loop: Header=BB12_1030 Depth=1
	v_mov_b32_e32 v13, 0
	v_mov_b32_e32 v14, 0
	s_cmp_eq_u32 s20, 0
	s_cbranch_scc1 .LBB12_1036
; %bb.1034:                             ;   in Loop: Header=BB12_1030 Depth=1
	s_mov_b64 s[14:15], 0
	s_mov_b64 s[16:17], 0
.LBB12_1035:                            ;   Parent Loop BB12_1030 Depth=1
                                        ; =>  This Inner Loop Header: Depth=2
	s_add_u32 s22, s4, s16
	s_addc_u32 s23, s5, s17
	s_add_u32 s16, s16, 1
	global_load_ubyte v4, v6, s[22:23]
	s_addc_u32 s17, s17, 0
	s_waitcnt vmcnt(0)
	v_and_b32_e32 v5, 0xffff, v4
	v_lshlrev_b64 v[4:5], s14, v[5:6]
	s_add_u32 s14, s14, 8
	s_addc_u32 s15, s15, 0
	s_cmp_lg_u32 s20, s16
	v_or_b32_e32 v13, v4, v13
	v_or_b32_e32 v14, v5, v14
	s_cbranch_scc1 .LBB12_1035
.LBB12_1036:                            ;   in Loop: Header=BB12_1030 Depth=1
	s_mov_b32 s21, 0
	s_cbranch_execz .LBB12_1043
	s_branch .LBB12_1044
.LBB12_1037:                            ;   in Loop: Header=BB12_1030 Depth=1
	v_mov_b32_e32 v11, 0
	v_mov_b32_e32 v12, 0
	s_cmp_eq_u64 s[10:11], 0
	s_mov_b64 s[4:5], 0
	s_cbranch_scc1 .LBB12_1040
; %bb.1038:                             ;   in Loop: Header=BB12_1030 Depth=1
	v_mov_b32_e32 v11, 0
	v_mov_b32_e32 v12, 0
	s_lshl_b64 s[14:15], s[12:13], 3
	s_mov_b64 s[16:17], s[8:9]
.LBB12_1039:                            ;   Parent Loop BB12_1030 Depth=1
                                        ; =>  This Inner Loop Header: Depth=2
	global_load_ubyte v4, v6, s[16:17]
	s_waitcnt vmcnt(0)
	v_and_b32_e32 v5, 0xffff, v4
	v_lshlrev_b64 v[4:5], s4, v[5:6]
	s_add_u32 s4, s4, 8
	s_addc_u32 s5, s5, 0
	s_add_u32 s16, s16, 1
	s_addc_u32 s17, s17, 0
	s_cmp_lg_u32 s14, s4
	v_or_b32_e32 v11, v4, v11
	v_or_b32_e32 v12, v5, v12
	s_cbranch_scc1 .LBB12_1039
.LBB12_1040:                            ;   in Loop: Header=BB12_1030 Depth=1
	s_mov_b32 s20, 0
	s_mov_b64 s[4:5], s[8:9]
	s_cbranch_execnz .LBB12_1032
.LBB12_1041:                            ;   in Loop: Header=BB12_1030 Depth=1
	global_load_dwordx2 v[11:12], v6, s[8:9]
	s_add_i32 s20, s12, -8
	s_add_u32 s4, s8, 8
	s_addc_u32 s5, s9, 0
	s_cmp_gt_u32 s20, 7
	s_cbranch_scc0 .LBB12_1033
.LBB12_1042:                            ;   in Loop: Header=BB12_1030 Depth=1
                                        ; implicit-def: $vgpr13_vgpr14
                                        ; implicit-def: $sgpr21
.LBB12_1043:                            ;   in Loop: Header=BB12_1030 Depth=1
	global_load_dwordx2 v[13:14], v6, s[4:5]
	s_add_i32 s21, s20, -8
	s_add_u32 s4, s4, 8
	s_addc_u32 s5, s5, 0
.LBB12_1044:                            ;   in Loop: Header=BB12_1030 Depth=1
	s_cmp_gt_u32 s21, 7
	s_cbranch_scc1 .LBB12_1049
; %bb.1045:                             ;   in Loop: Header=BB12_1030 Depth=1
	v_mov_b32_e32 v15, 0
	v_mov_b32_e32 v16, 0
	s_cmp_eq_u32 s21, 0
	s_cbranch_scc1 .LBB12_1048
; %bb.1046:                             ;   in Loop: Header=BB12_1030 Depth=1
	s_mov_b64 s[14:15], 0
	s_mov_b64 s[16:17], 0
.LBB12_1047:                            ;   Parent Loop BB12_1030 Depth=1
                                        ; =>  This Inner Loop Header: Depth=2
	s_add_u32 s22, s4, s16
	s_addc_u32 s23, s5, s17
	s_add_u32 s16, s16, 1
	global_load_ubyte v4, v6, s[22:23]
	s_addc_u32 s17, s17, 0
	s_waitcnt vmcnt(0)
	v_and_b32_e32 v5, 0xffff, v4
	v_lshlrev_b64 v[4:5], s14, v[5:6]
	s_add_u32 s14, s14, 8
	s_addc_u32 s15, s15, 0
	s_cmp_lg_u32 s21, s16
	v_or_b32_e32 v15, v4, v15
	v_or_b32_e32 v16, v5, v16
	s_cbranch_scc1 .LBB12_1047
.LBB12_1048:                            ;   in Loop: Header=BB12_1030 Depth=1
	s_mov_b32 s20, 0
	s_cbranch_execz .LBB12_1050
	s_branch .LBB12_1051
.LBB12_1049:                            ;   in Loop: Header=BB12_1030 Depth=1
                                        ; implicit-def: $sgpr20
.LBB12_1050:                            ;   in Loop: Header=BB12_1030 Depth=1
	global_load_dwordx2 v[15:16], v6, s[4:5]
	s_add_i32 s20, s21, -8
	s_add_u32 s4, s4, 8
	s_addc_u32 s5, s5, 0
.LBB12_1051:                            ;   in Loop: Header=BB12_1030 Depth=1
	s_cmp_gt_u32 s20, 7
	s_cbranch_scc1 .LBB12_1056
; %bb.1052:                             ;   in Loop: Header=BB12_1030 Depth=1
	v_mov_b32_e32 v17, 0
	v_mov_b32_e32 v18, 0
	s_cmp_eq_u32 s20, 0
	s_cbranch_scc1 .LBB12_1055
; %bb.1053:                             ;   in Loop: Header=BB12_1030 Depth=1
	s_mov_b64 s[14:15], 0
	s_mov_b64 s[16:17], 0
.LBB12_1054:                            ;   Parent Loop BB12_1030 Depth=1
                                        ; =>  This Inner Loop Header: Depth=2
	s_add_u32 s22, s4, s16
	s_addc_u32 s23, s5, s17
	s_add_u32 s16, s16, 1
	global_load_ubyte v4, v6, s[22:23]
	s_addc_u32 s17, s17, 0
	s_waitcnt vmcnt(0)
	v_and_b32_e32 v5, 0xffff, v4
	v_lshlrev_b64 v[4:5], s14, v[5:6]
	s_add_u32 s14, s14, 8
	s_addc_u32 s15, s15, 0
	s_cmp_lg_u32 s20, s16
	v_or_b32_e32 v17, v4, v17
	v_or_b32_e32 v18, v5, v18
	s_cbranch_scc1 .LBB12_1054
.LBB12_1055:                            ;   in Loop: Header=BB12_1030 Depth=1
	s_mov_b32 s21, 0
	s_cbranch_execz .LBB12_1057
	s_branch .LBB12_1058
.LBB12_1056:                            ;   in Loop: Header=BB12_1030 Depth=1
                                        ; implicit-def: $vgpr17_vgpr18
                                        ; implicit-def: $sgpr21
.LBB12_1057:                            ;   in Loop: Header=BB12_1030 Depth=1
	global_load_dwordx2 v[17:18], v6, s[4:5]
	s_add_i32 s21, s20, -8
	s_add_u32 s4, s4, 8
	s_addc_u32 s5, s5, 0
.LBB12_1058:                            ;   in Loop: Header=BB12_1030 Depth=1
	s_cmp_gt_u32 s21, 7
	s_cbranch_scc1 .LBB12_1063
; %bb.1059:                             ;   in Loop: Header=BB12_1030 Depth=1
	v_mov_b32_e32 v19, 0
	v_mov_b32_e32 v20, 0
	s_cmp_eq_u32 s21, 0
	s_cbranch_scc1 .LBB12_1062
; %bb.1060:                             ;   in Loop: Header=BB12_1030 Depth=1
	s_mov_b64 s[14:15], 0
	s_mov_b64 s[16:17], 0
.LBB12_1061:                            ;   Parent Loop BB12_1030 Depth=1
                                        ; =>  This Inner Loop Header: Depth=2
	s_add_u32 s22, s4, s16
	s_addc_u32 s23, s5, s17
	s_add_u32 s16, s16, 1
	global_load_ubyte v4, v6, s[22:23]
	s_addc_u32 s17, s17, 0
	s_waitcnt vmcnt(0)
	v_and_b32_e32 v5, 0xffff, v4
	v_lshlrev_b64 v[4:5], s14, v[5:6]
	s_add_u32 s14, s14, 8
	s_addc_u32 s15, s15, 0
	s_cmp_lg_u32 s21, s16
	v_or_b32_e32 v19, v4, v19
	v_or_b32_e32 v20, v5, v20
	s_cbranch_scc1 .LBB12_1061
.LBB12_1062:                            ;   in Loop: Header=BB12_1030 Depth=1
	s_mov_b32 s20, 0
	s_cbranch_execz .LBB12_1064
	s_branch .LBB12_1065
.LBB12_1063:                            ;   in Loop: Header=BB12_1030 Depth=1
                                        ; implicit-def: $sgpr20
.LBB12_1064:                            ;   in Loop: Header=BB12_1030 Depth=1
	global_load_dwordx2 v[19:20], v6, s[4:5]
	s_add_i32 s20, s21, -8
	s_add_u32 s4, s4, 8
	s_addc_u32 s5, s5, 0
.LBB12_1065:                            ;   in Loop: Header=BB12_1030 Depth=1
	s_cmp_gt_u32 s20, 7
	s_cbranch_scc1 .LBB12_1070
; %bb.1066:                             ;   in Loop: Header=BB12_1030 Depth=1
	v_mov_b32_e32 v21, 0
	v_mov_b32_e32 v22, 0
	s_cmp_eq_u32 s20, 0
	s_cbranch_scc1 .LBB12_1069
; %bb.1067:                             ;   in Loop: Header=BB12_1030 Depth=1
	s_mov_b64 s[14:15], 0
	s_mov_b64 s[16:17], 0
.LBB12_1068:                            ;   Parent Loop BB12_1030 Depth=1
                                        ; =>  This Inner Loop Header: Depth=2
	s_add_u32 s22, s4, s16
	s_addc_u32 s23, s5, s17
	s_add_u32 s16, s16, 1
	global_load_ubyte v4, v6, s[22:23]
	s_addc_u32 s17, s17, 0
	s_waitcnt vmcnt(0)
	v_and_b32_e32 v5, 0xffff, v4
	v_lshlrev_b64 v[4:5], s14, v[5:6]
	s_add_u32 s14, s14, 8
	s_addc_u32 s15, s15, 0
	s_cmp_lg_u32 s20, s16
	v_or_b32_e32 v21, v4, v21
	v_or_b32_e32 v22, v5, v22
	s_cbranch_scc1 .LBB12_1068
.LBB12_1069:                            ;   in Loop: Header=BB12_1030 Depth=1
	s_mov_b32 s21, 0
	s_cbranch_execz .LBB12_1071
	s_branch .LBB12_1072
.LBB12_1070:                            ;   in Loop: Header=BB12_1030 Depth=1
                                        ; implicit-def: $vgpr21_vgpr22
                                        ; implicit-def: $sgpr21
.LBB12_1071:                            ;   in Loop: Header=BB12_1030 Depth=1
	global_load_dwordx2 v[21:22], v6, s[4:5]
	s_add_i32 s21, s20, -8
	s_add_u32 s4, s4, 8
	s_addc_u32 s5, s5, 0
.LBB12_1072:                            ;   in Loop: Header=BB12_1030 Depth=1
	s_cmp_gt_u32 s21, 7
	s_cbranch_scc1 .LBB12_1077
; %bb.1073:                             ;   in Loop: Header=BB12_1030 Depth=1
	v_mov_b32_e32 v23, 0
	v_mov_b32_e32 v24, 0
	s_cmp_eq_u32 s21, 0
	s_cbranch_scc1 .LBB12_1076
; %bb.1074:                             ;   in Loop: Header=BB12_1030 Depth=1
	s_mov_b64 s[14:15], 0
	s_mov_b64 s[16:17], s[4:5]
.LBB12_1075:                            ;   Parent Loop BB12_1030 Depth=1
                                        ; =>  This Inner Loop Header: Depth=2
	global_load_ubyte v4, v6, s[16:17]
	s_add_i32 s21, s21, -1
	s_waitcnt vmcnt(0)
	v_and_b32_e32 v5, 0xffff, v4
	v_lshlrev_b64 v[4:5], s14, v[5:6]
	s_add_u32 s14, s14, 8
	s_addc_u32 s15, s15, 0
	s_add_u32 s16, s16, 1
	s_addc_u32 s17, s17, 0
	s_cmp_lg_u32 s21, 0
	v_or_b32_e32 v23, v4, v23
	v_or_b32_e32 v24, v5, v24
	s_cbranch_scc1 .LBB12_1075
.LBB12_1076:                            ;   in Loop: Header=BB12_1030 Depth=1
	s_cbranch_execz .LBB12_1078
	s_branch .LBB12_1079
.LBB12_1077:                            ;   in Loop: Header=BB12_1030 Depth=1
.LBB12_1078:                            ;   in Loop: Header=BB12_1030 Depth=1
	global_load_dwordx2 v[23:24], v6, s[4:5]
.LBB12_1079:                            ;   in Loop: Header=BB12_1030 Depth=1
	v_readfirstlane_b32 s4, v32
	s_waitcnt vmcnt(0)
	v_mov_b32_e32 v4, 0
	v_mov_b32_e32 v5, 0
	v_cmp_eq_u32_e64 s4, s4, v32
	s_and_saveexec_b32 s5, s4
	s_cbranch_execz .LBB12_1085
; %bb.1080:                             ;   in Loop: Header=BB12_1030 Depth=1
	global_load_dwordx2 v[27:28], v6, s[6:7] offset:24 glc dlc
	s_waitcnt vmcnt(0)
	buffer_gl1_inv
	buffer_gl0_inv
	s_clause 0x1
	global_load_dwordx2 v[4:5], v6, s[6:7] offset:40
	global_load_dwordx2 v[9:10], v6, s[6:7]
	s_mov_b32 s14, exec_lo
	s_waitcnt vmcnt(1)
	v_and_b32_e32 v5, v5, v28
	v_and_b32_e32 v4, v4, v27
	v_mul_lo_u32 v5, v5, 24
	v_mul_hi_u32 v25, v4, 24
	v_mul_lo_u32 v4, v4, 24
	v_add_nc_u32_e32 v5, v25, v5
	s_waitcnt vmcnt(0)
	v_add_co_u32 v4, vcc_lo, v9, v4
	v_add_co_ci_u32_e32 v5, vcc_lo, v10, v5, vcc_lo
	global_load_dwordx2 v[25:26], v[4:5], off glc dlc
	s_waitcnt vmcnt(0)
	global_atomic_cmpswap_x2 v[4:5], v6, v[25:28], s[6:7] offset:24 glc
	s_waitcnt vmcnt(0)
	buffer_gl1_inv
	buffer_gl0_inv
	v_cmpx_ne_u64_e64 v[4:5], v[27:28]
	s_cbranch_execz .LBB12_1084
; %bb.1081:                             ;   in Loop: Header=BB12_1030 Depth=1
	s_mov_b32 s15, 0
	.p2align	6
.LBB12_1082:                            ;   Parent Loop BB12_1030 Depth=1
                                        ; =>  This Inner Loop Header: Depth=2
	s_sleep 1
	s_clause 0x1
	global_load_dwordx2 v[9:10], v6, s[6:7] offset:40
	global_load_dwordx2 v[25:26], v6, s[6:7]
	v_mov_b32_e32 v28, v5
	v_mov_b32_e32 v27, v4
	s_waitcnt vmcnt(1)
	v_and_b32_e32 v4, v9, v27
	v_and_b32_e32 v9, v10, v28
	s_waitcnt vmcnt(0)
	v_mad_u64_u32 v[4:5], null, v4, 24, v[25:26]
	v_mad_u64_u32 v[9:10], null, v9, 24, v[5:6]
	v_mov_b32_e32 v5, v9
	global_load_dwordx2 v[25:26], v[4:5], off glc dlc
	s_waitcnt vmcnt(0)
	global_atomic_cmpswap_x2 v[4:5], v6, v[25:28], s[6:7] offset:24 glc
	s_waitcnt vmcnt(0)
	buffer_gl1_inv
	buffer_gl0_inv
	v_cmp_eq_u64_e32 vcc_lo, v[4:5], v[27:28]
	s_or_b32 s15, vcc_lo, s15
	s_andn2_b32 exec_lo, exec_lo, s15
	s_cbranch_execnz .LBB12_1082
; %bb.1083:                             ;   in Loop: Header=BB12_1030 Depth=1
	s_or_b32 exec_lo, exec_lo, s15
.LBB12_1084:                            ;   in Loop: Header=BB12_1030 Depth=1
	s_or_b32 exec_lo, exec_lo, s14
.LBB12_1085:                            ;   in Loop: Header=BB12_1030 Depth=1
	s_or_b32 exec_lo, exec_lo, s5
	s_clause 0x1
	global_load_dwordx2 v[9:10], v6, s[6:7] offset:40
	global_load_dwordx4 v[25:28], v6, s[6:7]
	v_readfirstlane_b32 s14, v4
	v_readfirstlane_b32 s15, v5
	s_mov_b32 s5, exec_lo
	s_waitcnt vmcnt(1)
	v_readfirstlane_b32 s16, v9
	v_readfirstlane_b32 s17, v10
	s_and_b64 s[16:17], s[14:15], s[16:17]
	s_mul_i32 s20, s17, 24
	s_mul_hi_u32 s21, s16, 24
	s_mul_i32 s22, s16, 24
	s_add_i32 s21, s21, s20
	s_waitcnt vmcnt(0)
	v_add_co_u32 v29, vcc_lo, v25, s22
	v_add_co_ci_u32_e32 v30, vcc_lo, s21, v26, vcc_lo
	s_and_saveexec_b32 s20, s4
	s_cbranch_execz .LBB12_1087
; %bb.1086:                             ;   in Loop: Header=BB12_1030 Depth=1
	v_mov_b32_e32 v5, s5
	global_store_dwordx4 v[29:30], v[5:8], off offset:8
.LBB12_1087:                            ;   in Loop: Header=BB12_1030 Depth=1
	s_or_b32 exec_lo, exec_lo, s20
	s_lshl_b64 s[16:17], s[16:17], 12
	v_cmp_gt_u64_e64 vcc_lo, s[10:11], 56
	v_or_b32_e32 v5, v2, v33
	v_add_co_u32 v27, s5, v27, s16
	v_add_co_ci_u32_e64 v28, s5, s17, v28, s5
	s_lshl_b32 s5, s12, 2
	v_or_b32_e32 v4, 0, v3
	v_cndmask_b32_e32 v2, v5, v2, vcc_lo
	s_add_i32 s5, s5, 28
	v_readfirstlane_b32 s16, v27
	s_and_b32 s5, s5, 0x1e0
	v_cndmask_b32_e32 v10, v4, v3, vcc_lo
	v_readfirstlane_b32 s17, v28
	v_and_or_b32 v9, 0xffffff1f, v2, s5
	global_store_dwordx4 v31, v[9:12], s[16:17]
	global_store_dwordx4 v31, v[13:16], s[16:17] offset:16
	global_store_dwordx4 v31, v[17:20], s[16:17] offset:32
	;; [unrolled: 1-line block ×3, first 2 shown]
	s_and_saveexec_b32 s5, s4
	s_cbranch_execz .LBB12_1095
; %bb.1088:                             ;   in Loop: Header=BB12_1030 Depth=1
	s_clause 0x1
	global_load_dwordx2 v[13:14], v6, s[6:7] offset:32 glc dlc
	global_load_dwordx2 v[2:3], v6, s[6:7] offset:40
	v_mov_b32_e32 v11, s14
	v_mov_b32_e32 v12, s15
	s_waitcnt vmcnt(0)
	v_readfirstlane_b32 s16, v2
	v_readfirstlane_b32 s17, v3
	s_and_b64 s[16:17], s[16:17], s[14:15]
	s_mul_i32 s17, s17, 24
	s_mul_hi_u32 s20, s16, 24
	s_mul_i32 s16, s16, 24
	s_add_i32 s20, s20, s17
	v_add_co_u32 v9, vcc_lo, v25, s16
	v_add_co_ci_u32_e32 v10, vcc_lo, s20, v26, vcc_lo
	s_mov_b32 s16, exec_lo
	global_store_dwordx2 v[9:10], v[13:14], off
	s_waitcnt_vscnt null, 0x0
	global_atomic_cmpswap_x2 v[4:5], v6, v[11:14], s[6:7] offset:32 glc
	s_waitcnt vmcnt(0)
	v_cmpx_ne_u64_e64 v[4:5], v[13:14]
	s_cbranch_execz .LBB12_1091
; %bb.1089:                             ;   in Loop: Header=BB12_1030 Depth=1
	s_mov_b32 s17, 0
.LBB12_1090:                            ;   Parent Loop BB12_1030 Depth=1
                                        ; =>  This Inner Loop Header: Depth=2
	v_mov_b32_e32 v2, s14
	v_mov_b32_e32 v3, s15
	s_sleep 1
	global_store_dwordx2 v[9:10], v[4:5], off
	s_waitcnt_vscnt null, 0x0
	global_atomic_cmpswap_x2 v[2:3], v6, v[2:5], s[6:7] offset:32 glc
	s_waitcnt vmcnt(0)
	v_cmp_eq_u64_e32 vcc_lo, v[2:3], v[4:5]
	v_mov_b32_e32 v5, v3
	v_mov_b32_e32 v4, v2
	s_or_b32 s17, vcc_lo, s17
	s_andn2_b32 exec_lo, exec_lo, s17
	s_cbranch_execnz .LBB12_1090
.LBB12_1091:                            ;   in Loop: Header=BB12_1030 Depth=1
	s_or_b32 exec_lo, exec_lo, s16
	global_load_dwordx2 v[2:3], v6, s[6:7] offset:16
	s_mov_b32 s17, exec_lo
	s_mov_b32 s16, exec_lo
	v_mbcnt_lo_u32_b32 v4, s17, 0
	v_cmpx_eq_u32_e32 0, v4
	s_cbranch_execz .LBB12_1093
; %bb.1092:                             ;   in Loop: Header=BB12_1030 Depth=1
	s_bcnt1_i32_b32 s17, s17
	v_mov_b32_e32 v5, s17
	s_waitcnt vmcnt(0)
	global_atomic_add_x2 v[2:3], v[5:6], off offset:8
.LBB12_1093:                            ;   in Loop: Header=BB12_1030 Depth=1
	s_or_b32 exec_lo, exec_lo, s16
	s_waitcnt vmcnt(0)
	global_load_dwordx2 v[9:10], v[2:3], off offset:16
	s_waitcnt vmcnt(0)
	v_cmp_eq_u64_e32 vcc_lo, 0, v[9:10]
	s_cbranch_vccnz .LBB12_1095
; %bb.1094:                             ;   in Loop: Header=BB12_1030 Depth=1
	global_load_dword v5, v[2:3], off offset:24
	s_waitcnt vmcnt(0)
	v_and_b32_e32 v2, 0x7fffff, v5
	s_waitcnt_vscnt null, 0x0
	global_store_dwordx2 v[9:10], v[5:6], off
	v_readfirstlane_b32 m0, v2
	s_sendmsg sendmsg(MSG_INTERRUPT)
.LBB12_1095:                            ;   in Loop: Header=BB12_1030 Depth=1
	s_or_b32 exec_lo, exec_lo, s5
	v_add_co_u32 v2, vcc_lo, v27, v31
	v_add_co_ci_u32_e32 v3, vcc_lo, 0, v28, vcc_lo
	s_branch .LBB12_1099
	.p2align	6
.LBB12_1096:                            ;   in Loop: Header=BB12_1099 Depth=2
	s_or_b32 exec_lo, exec_lo, s5
	v_readfirstlane_b32 s5, v4
	s_cmp_eq_u32 s5, 0
	s_cbranch_scc1 .LBB12_1098
; %bb.1097:                             ;   in Loop: Header=BB12_1099 Depth=2
	s_sleep 1
	s_cbranch_execnz .LBB12_1099
	s_branch .LBB12_1101
	.p2align	6
.LBB12_1098:                            ;   in Loop: Header=BB12_1030 Depth=1
	s_branch .LBB12_1101
.LBB12_1099:                            ;   Parent Loop BB12_1030 Depth=1
                                        ; =>  This Inner Loop Header: Depth=2
	v_mov_b32_e32 v4, 1
	s_and_saveexec_b32 s5, s4
	s_cbranch_execz .LBB12_1096
; %bb.1100:                             ;   in Loop: Header=BB12_1099 Depth=2
	global_load_dword v4, v[29:30], off offset:20 glc dlc
	s_waitcnt vmcnt(0)
	buffer_gl1_inv
	buffer_gl0_inv
	v_and_b32_e32 v4, 1, v4
	s_branch .LBB12_1096
.LBB12_1101:                            ;   in Loop: Header=BB12_1030 Depth=1
	global_load_dwordx4 v[2:5], v[2:3], off
	s_and_saveexec_b32 s5, s4
	s_cbranch_execz .LBB12_1029
; %bb.1102:                             ;   in Loop: Header=BB12_1030 Depth=1
	s_clause 0x2
	global_load_dwordx2 v[4:5], v6, s[6:7] offset:40
	global_load_dwordx2 v[13:14], v6, s[6:7] offset:24 glc dlc
	global_load_dwordx2 v[11:12], v6, s[6:7]
	s_waitcnt vmcnt(2)
	v_add_co_u32 v15, vcc_lo, v4, 1
	v_add_co_ci_u32_e32 v16, vcc_lo, 0, v5, vcc_lo
	v_add_co_u32 v9, vcc_lo, v15, s14
	v_add_co_ci_u32_e32 v10, vcc_lo, s15, v16, vcc_lo
	v_cmp_eq_u64_e32 vcc_lo, 0, v[9:10]
	v_cndmask_b32_e32 v10, v10, v16, vcc_lo
	v_cndmask_b32_e32 v9, v9, v15, vcc_lo
	v_and_b32_e32 v5, v10, v5
	v_and_b32_e32 v4, v9, v4
	v_mul_lo_u32 v5, v5, 24
	v_mul_hi_u32 v15, v4, 24
	v_mul_lo_u32 v4, v4, 24
	v_add_nc_u32_e32 v5, v15, v5
	s_waitcnt vmcnt(0)
	v_add_co_u32 v4, vcc_lo, v11, v4
	v_mov_b32_e32 v11, v13
	v_add_co_ci_u32_e32 v5, vcc_lo, v12, v5, vcc_lo
	v_mov_b32_e32 v12, v14
	global_store_dwordx2 v[4:5], v[13:14], off
	s_waitcnt_vscnt null, 0x0
	global_atomic_cmpswap_x2 v[11:12], v6, v[9:12], s[6:7] offset:24 glc
	s_waitcnt vmcnt(0)
	v_cmp_ne_u64_e32 vcc_lo, v[11:12], v[13:14]
	s_and_b32 exec_lo, exec_lo, vcc_lo
	s_cbranch_execz .LBB12_1029
; %bb.1103:                             ;   in Loop: Header=BB12_1030 Depth=1
	s_mov_b32 s4, 0
.LBB12_1104:                            ;   Parent Loop BB12_1030 Depth=1
                                        ; =>  This Inner Loop Header: Depth=2
	s_sleep 1
	global_store_dwordx2 v[4:5], v[11:12], off
	s_waitcnt_vscnt null, 0x0
	global_atomic_cmpswap_x2 v[13:14], v6, v[9:12], s[6:7] offset:24 glc
	s_waitcnt vmcnt(0)
	v_cmp_eq_u64_e32 vcc_lo, v[13:14], v[11:12]
	v_mov_b32_e32 v11, v13
	v_mov_b32_e32 v12, v14
	s_or_b32 s4, vcc_lo, s4
	s_andn2_b32 exec_lo, exec_lo, s4
	s_cbranch_execnz .LBB12_1104
	s_branch .LBB12_1029
.LBB12_1105:
	s_mov_b32 s4, 0
	s_branch .LBB12_1107
.LBB12_1106:
	s_mov_b32 s4, -1
                                        ; implicit-def: $vgpr2_vgpr3
.LBB12_1107:
	s_and_b32 vcc_lo, exec_lo, s4
	s_cbranch_vccz .LBB12_1135
; %bb.1108:
	v_readfirstlane_b32 s4, v32
	v_mov_b32_e32 v8, 0
	v_mov_b32_e32 v9, 0
	v_cmp_eq_u32_e64 s4, s4, v32
	s_and_saveexec_b32 s5, s4
	s_cbranch_execz .LBB12_1114
; %bb.1109:
	s_waitcnt vmcnt(0)
	v_mov_b32_e32 v2, 0
	s_mov_b32 s8, exec_lo
	global_load_dwordx2 v[5:6], v2, s[6:7] offset:24 glc dlc
	s_waitcnt vmcnt(0)
	buffer_gl1_inv
	buffer_gl0_inv
	s_clause 0x1
	global_load_dwordx2 v[3:4], v2, s[6:7] offset:40
	global_load_dwordx2 v[7:8], v2, s[6:7]
	s_waitcnt vmcnt(1)
	v_and_b32_e32 v4, v4, v6
	v_and_b32_e32 v3, v3, v5
	v_mul_lo_u32 v4, v4, 24
	v_mul_hi_u32 v9, v3, 24
	v_mul_lo_u32 v3, v3, 24
	v_add_nc_u32_e32 v4, v9, v4
	s_waitcnt vmcnt(0)
	v_add_co_u32 v3, vcc_lo, v7, v3
	v_add_co_ci_u32_e32 v4, vcc_lo, v8, v4, vcc_lo
	global_load_dwordx2 v[3:4], v[3:4], off glc dlc
	s_waitcnt vmcnt(0)
	global_atomic_cmpswap_x2 v[8:9], v2, v[3:6], s[6:7] offset:24 glc
	s_waitcnt vmcnt(0)
	buffer_gl1_inv
	buffer_gl0_inv
	v_cmpx_ne_u64_e64 v[8:9], v[5:6]
	s_cbranch_execz .LBB12_1113
; %bb.1110:
	s_mov_b32 s9, 0
.LBB12_1111:                            ; =>This Inner Loop Header: Depth=1
	s_sleep 1
	s_clause 0x1
	global_load_dwordx2 v[3:4], v2, s[6:7] offset:40
	global_load_dwordx2 v[10:11], v2, s[6:7]
	v_mov_b32_e32 v5, v8
	v_mov_b32_e32 v6, v9
	s_waitcnt vmcnt(1)
	v_and_b32_e32 v3, v3, v5
	v_and_b32_e32 v4, v4, v6
	s_waitcnt vmcnt(0)
	v_mad_u64_u32 v[7:8], null, v3, 24, v[10:11]
	v_mov_b32_e32 v3, v8
	v_mad_u64_u32 v[3:4], null, v4, 24, v[3:4]
	v_mov_b32_e32 v8, v3
	global_load_dwordx2 v[3:4], v[7:8], off glc dlc
	s_waitcnt vmcnt(0)
	global_atomic_cmpswap_x2 v[8:9], v2, v[3:6], s[6:7] offset:24 glc
	s_waitcnt vmcnt(0)
	buffer_gl1_inv
	buffer_gl0_inv
	v_cmp_eq_u64_e32 vcc_lo, v[8:9], v[5:6]
	s_or_b32 s9, vcc_lo, s9
	s_andn2_b32 exec_lo, exec_lo, s9
	s_cbranch_execnz .LBB12_1111
; %bb.1112:
	s_or_b32 exec_lo, exec_lo, s9
.LBB12_1113:
	s_or_b32 exec_lo, exec_lo, s8
.LBB12_1114:
	s_or_b32 exec_lo, exec_lo, s5
	s_waitcnt vmcnt(0)
	v_mov_b32_e32 v2, 0
	v_readfirstlane_b32 s8, v8
	v_readfirstlane_b32 s9, v9
	s_mov_b32 s5, exec_lo
	s_clause 0x1
	global_load_dwordx2 v[10:11], v2, s[6:7] offset:40
	global_load_dwordx4 v[4:7], v2, s[6:7]
	s_waitcnt vmcnt(1)
	v_readfirstlane_b32 s10, v10
	v_readfirstlane_b32 s11, v11
	s_and_b64 s[10:11], s[8:9], s[10:11]
	s_mul_i32 s12, s11, 24
	s_mul_hi_u32 s13, s10, 24
	s_mul_i32 s14, s10, 24
	s_add_i32 s13, s13, s12
	s_waitcnt vmcnt(0)
	v_add_co_u32 v8, vcc_lo, v4, s14
	v_add_co_ci_u32_e32 v9, vcc_lo, s13, v5, vcc_lo
	s_and_saveexec_b32 s12, s4
	s_cbranch_execz .LBB12_1116
; %bb.1115:
	v_mov_b32_e32 v10, s5
	v_mov_b32_e32 v11, v2
	;; [unrolled: 1-line block ×4, first 2 shown]
	global_store_dwordx4 v[8:9], v[10:13], off offset:8
.LBB12_1116:
	s_or_b32 exec_lo, exec_lo, s12
	s_lshl_b64 s[10:11], s[10:11], 12
	s_mov_b32 s12, 0
	v_add_co_u32 v6, vcc_lo, v6, s10
	v_add_co_ci_u32_e32 v7, vcc_lo, s11, v7, vcc_lo
	s_mov_b32 s13, s12
	v_readfirstlane_b32 s10, v6
	v_add_co_u32 v6, vcc_lo, v6, v31
	s_mov_b32 s14, s12
	s_mov_b32 s15, s12
	v_and_or_b32 v0, 0xffffff1f, v0, 32
	v_mov_b32_e32 v3, v2
	v_readfirstlane_b32 s11, v7
	v_mov_b32_e32 v10, s12
	v_add_co_ci_u32_e32 v7, vcc_lo, 0, v7, vcc_lo
	v_mov_b32_e32 v11, s13
	v_mov_b32_e32 v12, s14
	;; [unrolled: 1-line block ×3, first 2 shown]
	global_store_dwordx4 v31, v[0:3], s[10:11]
	global_store_dwordx4 v31, v[10:13], s[10:11] offset:16
	global_store_dwordx4 v31, v[10:13], s[10:11] offset:32
	;; [unrolled: 1-line block ×3, first 2 shown]
	s_and_saveexec_b32 s5, s4
	s_cbranch_execz .LBB12_1124
; %bb.1117:
	v_mov_b32_e32 v10, 0
	v_mov_b32_e32 v11, s8
	;; [unrolled: 1-line block ×3, first 2 shown]
	s_clause 0x1
	global_load_dwordx2 v[13:14], v10, s[6:7] offset:32 glc dlc
	global_load_dwordx2 v[0:1], v10, s[6:7] offset:40
	s_waitcnt vmcnt(0)
	v_readfirstlane_b32 s10, v0
	v_readfirstlane_b32 s11, v1
	s_and_b64 s[10:11], s[10:11], s[8:9]
	s_mul_i32 s11, s11, 24
	s_mul_hi_u32 s12, s10, 24
	s_mul_i32 s10, s10, 24
	s_add_i32 s12, s12, s11
	v_add_co_u32 v4, vcc_lo, v4, s10
	v_add_co_ci_u32_e32 v5, vcc_lo, s12, v5, vcc_lo
	s_mov_b32 s10, exec_lo
	global_store_dwordx2 v[4:5], v[13:14], off
	s_waitcnt_vscnt null, 0x0
	global_atomic_cmpswap_x2 v[2:3], v10, v[11:14], s[6:7] offset:32 glc
	s_waitcnt vmcnt(0)
	v_cmpx_ne_u64_e64 v[2:3], v[13:14]
	s_cbranch_execz .LBB12_1120
; %bb.1118:
	s_mov_b32 s11, 0
.LBB12_1119:                            ; =>This Inner Loop Header: Depth=1
	v_mov_b32_e32 v0, s8
	v_mov_b32_e32 v1, s9
	s_sleep 1
	global_store_dwordx2 v[4:5], v[2:3], off
	s_waitcnt_vscnt null, 0x0
	global_atomic_cmpswap_x2 v[0:1], v10, v[0:3], s[6:7] offset:32 glc
	s_waitcnt vmcnt(0)
	v_cmp_eq_u64_e32 vcc_lo, v[0:1], v[2:3]
	v_mov_b32_e32 v3, v1
	v_mov_b32_e32 v2, v0
	s_or_b32 s11, vcc_lo, s11
	s_andn2_b32 exec_lo, exec_lo, s11
	s_cbranch_execnz .LBB12_1119
.LBB12_1120:
	s_or_b32 exec_lo, exec_lo, s10
	v_mov_b32_e32 v3, 0
	s_mov_b32 s11, exec_lo
	s_mov_b32 s10, exec_lo
	v_mbcnt_lo_u32_b32 v2, s11, 0
	global_load_dwordx2 v[0:1], v3, s[6:7] offset:16
	v_cmpx_eq_u32_e32 0, v2
	s_cbranch_execz .LBB12_1122
; %bb.1121:
	s_bcnt1_i32_b32 s11, s11
	v_mov_b32_e32 v2, s11
	s_waitcnt vmcnt(0)
	global_atomic_add_x2 v[0:1], v[2:3], off offset:8
.LBB12_1122:
	s_or_b32 exec_lo, exec_lo, s10
	s_waitcnt vmcnt(0)
	global_load_dwordx2 v[2:3], v[0:1], off offset:16
	s_waitcnt vmcnt(0)
	v_cmp_eq_u64_e32 vcc_lo, 0, v[2:3]
	s_cbranch_vccnz .LBB12_1124
; %bb.1123:
	global_load_dword v0, v[0:1], off offset:24
	v_mov_b32_e32 v1, 0
	s_waitcnt vmcnt(0)
	v_and_b32_e32 v4, 0x7fffff, v0
	s_waitcnt_vscnt null, 0x0
	global_store_dwordx2 v[2:3], v[0:1], off
	v_readfirstlane_b32 m0, v4
	s_sendmsg sendmsg(MSG_INTERRUPT)
.LBB12_1124:
	s_or_b32 exec_lo, exec_lo, s5
	s_branch .LBB12_1128
	.p2align	6
.LBB12_1125:                            ;   in Loop: Header=BB12_1128 Depth=1
	s_or_b32 exec_lo, exec_lo, s5
	v_readfirstlane_b32 s5, v0
	s_cmp_eq_u32 s5, 0
	s_cbranch_scc1 .LBB12_1127
; %bb.1126:                             ;   in Loop: Header=BB12_1128 Depth=1
	s_sleep 1
	s_cbranch_execnz .LBB12_1128
	s_branch .LBB12_1130
.LBB12_1127:
	s_branch .LBB12_1130
.LBB12_1128:                            ; =>This Inner Loop Header: Depth=1
	v_mov_b32_e32 v0, 1
	s_and_saveexec_b32 s5, s4
	s_cbranch_execz .LBB12_1125
; %bb.1129:                             ;   in Loop: Header=BB12_1128 Depth=1
	global_load_dword v0, v[8:9], off offset:20 glc dlc
	s_waitcnt vmcnt(0)
	buffer_gl1_inv
	buffer_gl0_inv
	v_and_b32_e32 v0, 1, v0
	s_branch .LBB12_1125
.LBB12_1130:
	global_load_dwordx2 v[2:3], v[6:7], off
	s_and_saveexec_b32 s5, s4
	s_cbranch_execz .LBB12_1134
; %bb.1131:
	v_mov_b32_e32 v8, 0
	s_clause 0x2
	global_load_dwordx2 v[0:1], v8, s[6:7] offset:40
	global_load_dwordx2 v[9:10], v8, s[6:7] offset:24 glc dlc
	global_load_dwordx2 v[6:7], v8, s[6:7]
	s_waitcnt vmcnt(2)
	v_add_co_u32 v11, vcc_lo, v0, 1
	v_add_co_ci_u32_e32 v12, vcc_lo, 0, v1, vcc_lo
	v_add_co_u32 v4, vcc_lo, v11, s8
	v_add_co_ci_u32_e32 v5, vcc_lo, s9, v12, vcc_lo
	v_cmp_eq_u64_e32 vcc_lo, 0, v[4:5]
	v_cndmask_b32_e32 v5, v5, v12, vcc_lo
	v_cndmask_b32_e32 v4, v4, v11, vcc_lo
	v_and_b32_e32 v1, v5, v1
	v_and_b32_e32 v0, v4, v0
	v_mul_lo_u32 v1, v1, 24
	v_mul_hi_u32 v11, v0, 24
	v_mul_lo_u32 v0, v0, 24
	v_add_nc_u32_e32 v1, v11, v1
	s_waitcnt vmcnt(0)
	v_add_co_u32 v0, vcc_lo, v6, v0
	v_mov_b32_e32 v6, v9
	v_add_co_ci_u32_e32 v1, vcc_lo, v7, v1, vcc_lo
	v_mov_b32_e32 v7, v10
	global_store_dwordx2 v[0:1], v[9:10], off
	s_waitcnt_vscnt null, 0x0
	global_atomic_cmpswap_x2 v[6:7], v8, v[4:7], s[6:7] offset:24 glc
	s_waitcnt vmcnt(0)
	v_cmp_ne_u64_e32 vcc_lo, v[6:7], v[9:10]
	s_and_b32 exec_lo, exec_lo, vcc_lo
	s_cbranch_execz .LBB12_1134
; %bb.1132:
	s_mov_b32 s4, 0
.LBB12_1133:                            ; =>This Inner Loop Header: Depth=1
	s_sleep 1
	global_store_dwordx2 v[0:1], v[6:7], off
	s_waitcnt_vscnt null, 0x0
	global_atomic_cmpswap_x2 v[9:10], v8, v[4:7], s[6:7] offset:24 glc
	s_waitcnt vmcnt(0)
	v_cmp_eq_u64_e32 vcc_lo, v[9:10], v[6:7]
	v_mov_b32_e32 v6, v9
	v_mov_b32_e32 v7, v10
	s_or_b32 s4, vcc_lo, s4
	s_andn2_b32 exec_lo, exec_lo, s4
	s_cbranch_execnz .LBB12_1133
.LBB12_1134:
	s_or_b32 exec_lo, exec_lo, s5
.LBB12_1135:
	v_readfirstlane_b32 s4, v32
	s_waitcnt vmcnt(0)
	v_mov_b32_e32 v0, 0
	v_mov_b32_e32 v1, 0
	v_cmp_eq_u32_e64 s4, s4, v32
	s_and_saveexec_b32 s5, s4
	s_cbranch_execz .LBB12_1141
; %bb.1136:
	v_mov_b32_e32 v4, 0
	s_mov_b32 s8, exec_lo
	global_load_dwordx2 v[7:8], v4, s[6:7] offset:24 glc dlc
	s_waitcnt vmcnt(0)
	buffer_gl1_inv
	buffer_gl0_inv
	s_clause 0x1
	global_load_dwordx2 v[0:1], v4, s[6:7] offset:40
	global_load_dwordx2 v[5:6], v4, s[6:7]
	s_waitcnt vmcnt(1)
	v_and_b32_e32 v1, v1, v8
	v_and_b32_e32 v0, v0, v7
	v_mul_lo_u32 v1, v1, 24
	v_mul_hi_u32 v9, v0, 24
	v_mul_lo_u32 v0, v0, 24
	v_add_nc_u32_e32 v1, v9, v1
	s_waitcnt vmcnt(0)
	v_add_co_u32 v0, vcc_lo, v5, v0
	v_add_co_ci_u32_e32 v1, vcc_lo, v6, v1, vcc_lo
	global_load_dwordx2 v[5:6], v[0:1], off glc dlc
	s_waitcnt vmcnt(0)
	global_atomic_cmpswap_x2 v[0:1], v4, v[5:8], s[6:7] offset:24 glc
	s_waitcnt vmcnt(0)
	buffer_gl1_inv
	buffer_gl0_inv
	v_cmpx_ne_u64_e64 v[0:1], v[7:8]
	s_cbranch_execz .LBB12_1140
; %bb.1137:
	s_mov_b32 s9, 0
.LBB12_1138:                            ; =>This Inner Loop Header: Depth=1
	s_sleep 1
	s_clause 0x1
	global_load_dwordx2 v[5:6], v4, s[6:7] offset:40
	global_load_dwordx2 v[9:10], v4, s[6:7]
	v_mov_b32_e32 v8, v1
	v_mov_b32_e32 v7, v0
	s_waitcnt vmcnt(1)
	v_and_b32_e32 v0, v5, v7
	v_and_b32_e32 v5, v6, v8
	s_waitcnt vmcnt(0)
	v_mad_u64_u32 v[0:1], null, v0, 24, v[9:10]
	v_mad_u64_u32 v[5:6], null, v5, 24, v[1:2]
	v_mov_b32_e32 v1, v5
	global_load_dwordx2 v[5:6], v[0:1], off glc dlc
	s_waitcnt vmcnt(0)
	global_atomic_cmpswap_x2 v[0:1], v4, v[5:8], s[6:7] offset:24 glc
	s_waitcnt vmcnt(0)
	buffer_gl1_inv
	buffer_gl0_inv
	v_cmp_eq_u64_e32 vcc_lo, v[0:1], v[7:8]
	s_or_b32 s9, vcc_lo, s9
	s_andn2_b32 exec_lo, exec_lo, s9
	s_cbranch_execnz .LBB12_1138
; %bb.1139:
	s_or_b32 exec_lo, exec_lo, s9
.LBB12_1140:
	s_or_b32 exec_lo, exec_lo, s8
.LBB12_1141:
	s_or_b32 exec_lo, exec_lo, s5
	v_mov_b32_e32 v5, 0
	v_readfirstlane_b32 s8, v0
	v_readfirstlane_b32 s9, v1
	s_mov_b32 s5, exec_lo
	s_clause 0x1
	global_load_dwordx2 v[10:11], v5, s[6:7] offset:40
	global_load_dwordx4 v[6:9], v5, s[6:7]
	s_waitcnt vmcnt(1)
	v_readfirstlane_b32 s10, v10
	v_readfirstlane_b32 s11, v11
	s_and_b64 s[10:11], s[8:9], s[10:11]
	s_mul_i32 s12, s11, 24
	s_mul_hi_u32 s13, s10, 24
	s_mul_i32 s14, s10, 24
	s_add_i32 s13, s13, s12
	s_waitcnt vmcnt(0)
	v_add_co_u32 v10, vcc_lo, v6, s14
	v_add_co_ci_u32_e32 v11, vcc_lo, s13, v7, vcc_lo
	s_and_saveexec_b32 s12, s4
	s_cbranch_execz .LBB12_1143
; %bb.1142:
	v_mov_b32_e32 v4, s5
	v_mov_b32_e32 v13, v5
	;; [unrolled: 1-line block ×5, first 2 shown]
	global_store_dwordx4 v[10:11], v[12:15], off offset:8
.LBB12_1143:
	s_or_b32 exec_lo, exec_lo, s12
	s_lshl_b64 s[10:11], s[10:11], 12
	s_mov_b32 s12, 0
	v_add_co_u32 v0, vcc_lo, v8, s10
	v_add_co_ci_u32_e32 v1, vcc_lo, s11, v9, vcc_lo
	s_mov_b32 s13, s12
	s_mov_b32 s14, s12
	s_mov_b32 s15, s12
	v_and_or_b32 v2, 0xffffff1d, v2, 34
	v_mov_b32_e32 v4, 58
	v_readfirstlane_b32 s10, v0
	v_readfirstlane_b32 s11, v1
	v_mov_b32_e32 v12, s12
	v_mov_b32_e32 v13, s13
	;; [unrolled: 1-line block ×4, first 2 shown]
	global_store_dwordx4 v31, v[2:5], s[10:11]
	global_store_dwordx4 v31, v[12:15], s[10:11] offset:16
	global_store_dwordx4 v31, v[12:15], s[10:11] offset:32
	;; [unrolled: 1-line block ×3, first 2 shown]
	s_and_saveexec_b32 s5, s4
	s_cbranch_execz .LBB12_1151
; %bb.1144:
	v_mov_b32_e32 v8, 0
	v_mov_b32_e32 v12, s8
	;; [unrolled: 1-line block ×3, first 2 shown]
	s_clause 0x1
	global_load_dwordx2 v[14:15], v8, s[6:7] offset:32 glc dlc
	global_load_dwordx2 v[0:1], v8, s[6:7] offset:40
	s_waitcnt vmcnt(0)
	v_readfirstlane_b32 s10, v0
	v_readfirstlane_b32 s11, v1
	s_and_b64 s[10:11], s[10:11], s[8:9]
	s_mul_i32 s11, s11, 24
	s_mul_hi_u32 s12, s10, 24
	s_mul_i32 s10, s10, 24
	s_add_i32 s12, s12, s11
	v_add_co_u32 v4, vcc_lo, v6, s10
	v_add_co_ci_u32_e32 v5, vcc_lo, s12, v7, vcc_lo
	s_mov_b32 s10, exec_lo
	global_store_dwordx2 v[4:5], v[14:15], off
	s_waitcnt_vscnt null, 0x0
	global_atomic_cmpswap_x2 v[2:3], v8, v[12:15], s[6:7] offset:32 glc
	s_waitcnt vmcnt(0)
	v_cmpx_ne_u64_e64 v[2:3], v[14:15]
	s_cbranch_execz .LBB12_1147
; %bb.1145:
	s_mov_b32 s11, 0
.LBB12_1146:                            ; =>This Inner Loop Header: Depth=1
	v_mov_b32_e32 v0, s8
	v_mov_b32_e32 v1, s9
	s_sleep 1
	global_store_dwordx2 v[4:5], v[2:3], off
	s_waitcnt_vscnt null, 0x0
	global_atomic_cmpswap_x2 v[0:1], v8, v[0:3], s[6:7] offset:32 glc
	s_waitcnt vmcnt(0)
	v_cmp_eq_u64_e32 vcc_lo, v[0:1], v[2:3]
	v_mov_b32_e32 v3, v1
	v_mov_b32_e32 v2, v0
	s_or_b32 s11, vcc_lo, s11
	s_andn2_b32 exec_lo, exec_lo, s11
	s_cbranch_execnz .LBB12_1146
.LBB12_1147:
	s_or_b32 exec_lo, exec_lo, s10
	v_mov_b32_e32 v3, 0
	s_mov_b32 s11, exec_lo
	s_mov_b32 s10, exec_lo
	v_mbcnt_lo_u32_b32 v2, s11, 0
	global_load_dwordx2 v[0:1], v3, s[6:7] offset:16
	v_cmpx_eq_u32_e32 0, v2
	s_cbranch_execz .LBB12_1149
; %bb.1148:
	s_bcnt1_i32_b32 s11, s11
	v_mov_b32_e32 v2, s11
	s_waitcnt vmcnt(0)
	global_atomic_add_x2 v[0:1], v[2:3], off offset:8
.LBB12_1149:
	s_or_b32 exec_lo, exec_lo, s10
	s_waitcnt vmcnt(0)
	global_load_dwordx2 v[2:3], v[0:1], off offset:16
	s_waitcnt vmcnt(0)
	v_cmp_eq_u64_e32 vcc_lo, 0, v[2:3]
	s_cbranch_vccnz .LBB12_1151
; %bb.1150:
	global_load_dword v0, v[0:1], off offset:24
	v_mov_b32_e32 v1, 0
	s_waitcnt vmcnt(0)
	v_and_b32_e32 v4, 0x7fffff, v0
	s_waitcnt_vscnt null, 0x0
	global_store_dwordx2 v[2:3], v[0:1], off
	v_readfirstlane_b32 m0, v4
	s_sendmsg sendmsg(MSG_INTERRUPT)
.LBB12_1151:
	s_or_b32 exec_lo, exec_lo, s5
	s_branch .LBB12_1155
	.p2align	6
.LBB12_1152:                            ;   in Loop: Header=BB12_1155 Depth=1
	s_or_b32 exec_lo, exec_lo, s5
	v_readfirstlane_b32 s5, v0
	s_cmp_eq_u32 s5, 0
	s_cbranch_scc1 .LBB12_1154
; %bb.1153:                             ;   in Loop: Header=BB12_1155 Depth=1
	s_sleep 1
	s_cbranch_execnz .LBB12_1155
	s_branch .LBB12_1157
	.p2align	6
.LBB12_1154:
	s_branch .LBB12_1157
.LBB12_1155:                            ; =>This Inner Loop Header: Depth=1
	v_mov_b32_e32 v0, 1
	s_and_saveexec_b32 s5, s4
	s_cbranch_execz .LBB12_1152
; %bb.1156:                             ;   in Loop: Header=BB12_1155 Depth=1
	global_load_dword v0, v[10:11], off offset:20 glc dlc
	s_waitcnt vmcnt(0)
	buffer_gl1_inv
	buffer_gl0_inv
	v_and_b32_e32 v0, 1, v0
	s_branch .LBB12_1152
.LBB12_1157:
	s_and_saveexec_b32 s5, s4
	s_cbranch_execz .LBB12_1161
; %bb.1158:
	v_mov_b32_e32 v6, 0
	s_clause 0x2
	global_load_dwordx2 v[2:3], v6, s[6:7] offset:40
	global_load_dwordx2 v[7:8], v6, s[6:7] offset:24 glc dlc
	global_load_dwordx2 v[4:5], v6, s[6:7]
	s_waitcnt vmcnt(2)
	v_add_co_u32 v9, vcc_lo, v2, 1
	v_add_co_ci_u32_e32 v10, vcc_lo, 0, v3, vcc_lo
	v_add_co_u32 v0, vcc_lo, v9, s8
	v_add_co_ci_u32_e32 v1, vcc_lo, s9, v10, vcc_lo
	v_cmp_eq_u64_e32 vcc_lo, 0, v[0:1]
	v_cndmask_b32_e32 v1, v1, v10, vcc_lo
	v_cndmask_b32_e32 v0, v0, v9, vcc_lo
	v_and_b32_e32 v3, v1, v3
	v_and_b32_e32 v2, v0, v2
	v_mul_lo_u32 v3, v3, 24
	v_mul_hi_u32 v9, v2, 24
	v_mul_lo_u32 v2, v2, 24
	v_add_nc_u32_e32 v3, v9, v3
	s_waitcnt vmcnt(0)
	v_add_co_u32 v4, vcc_lo, v4, v2
	v_mov_b32_e32 v2, v7
	v_add_co_ci_u32_e32 v5, vcc_lo, v5, v3, vcc_lo
	v_mov_b32_e32 v3, v8
	global_store_dwordx2 v[4:5], v[7:8], off
	s_waitcnt_vscnt null, 0x0
	global_atomic_cmpswap_x2 v[2:3], v6, v[0:3], s[6:7] offset:24 glc
	s_waitcnt vmcnt(0)
	v_cmp_ne_u64_e32 vcc_lo, v[2:3], v[7:8]
	s_and_b32 exec_lo, exec_lo, vcc_lo
	s_cbranch_execz .LBB12_1161
; %bb.1159:
	s_mov_b32 s4, 0
.LBB12_1160:                            ; =>This Inner Loop Header: Depth=1
	s_sleep 1
	global_store_dwordx2 v[4:5], v[2:3], off
	s_waitcnt_vscnt null, 0x0
	global_atomic_cmpswap_x2 v[7:8], v6, v[0:3], s[6:7] offset:24 glc
	s_waitcnt vmcnt(0)
	v_cmp_eq_u64_e32 vcc_lo, v[7:8], v[2:3]
	v_mov_b32_e32 v2, v7
	v_mov_b32_e32 v3, v8
	s_or_b32 s4, vcc_lo, s4
	s_andn2_b32 exec_lo, exec_lo, s4
	s_cbranch_execnz .LBB12_1160
.LBB12_1161:
	s_or_b32 exec_lo, exec_lo, s5
	v_readfirstlane_b32 s4, v32
	v_mov_b32_e32 v6, 0
	v_mov_b32_e32 v7, 0
	v_cmp_eq_u32_e64 s4, s4, v32
	s_and_saveexec_b32 s5, s4
	s_cbranch_execz .LBB12_1167
; %bb.1162:
	v_mov_b32_e32 v0, 0
	s_mov_b32 s8, exec_lo
	global_load_dwordx2 v[3:4], v0, s[6:7] offset:24 glc dlc
	s_waitcnt vmcnt(0)
	buffer_gl1_inv
	buffer_gl0_inv
	s_clause 0x1
	global_load_dwordx2 v[1:2], v0, s[6:7] offset:40
	global_load_dwordx2 v[5:6], v0, s[6:7]
	s_waitcnt vmcnt(1)
	v_and_b32_e32 v2, v2, v4
	v_and_b32_e32 v1, v1, v3
	v_mul_lo_u32 v2, v2, 24
	v_mul_hi_u32 v7, v1, 24
	v_mul_lo_u32 v1, v1, 24
	v_add_nc_u32_e32 v2, v7, v2
	s_waitcnt vmcnt(0)
	v_add_co_u32 v1, vcc_lo, v5, v1
	v_add_co_ci_u32_e32 v2, vcc_lo, v6, v2, vcc_lo
	global_load_dwordx2 v[1:2], v[1:2], off glc dlc
	s_waitcnt vmcnt(0)
	global_atomic_cmpswap_x2 v[6:7], v0, v[1:4], s[6:7] offset:24 glc
	s_waitcnt vmcnt(0)
	buffer_gl1_inv
	buffer_gl0_inv
	v_cmpx_ne_u64_e64 v[6:7], v[3:4]
	s_cbranch_execz .LBB12_1166
; %bb.1163:
	s_mov_b32 s9, 0
.LBB12_1164:                            ; =>This Inner Loop Header: Depth=1
	s_sleep 1
	s_clause 0x1
	global_load_dwordx2 v[1:2], v0, s[6:7] offset:40
	global_load_dwordx2 v[8:9], v0, s[6:7]
	v_mov_b32_e32 v3, v6
	v_mov_b32_e32 v4, v7
	s_waitcnt vmcnt(1)
	v_and_b32_e32 v1, v1, v3
	v_and_b32_e32 v2, v2, v4
	s_waitcnt vmcnt(0)
	v_mad_u64_u32 v[5:6], null, v1, 24, v[8:9]
	v_mov_b32_e32 v1, v6
	v_mad_u64_u32 v[1:2], null, v2, 24, v[1:2]
	v_mov_b32_e32 v6, v1
	global_load_dwordx2 v[1:2], v[5:6], off glc dlc
	s_waitcnt vmcnt(0)
	global_atomic_cmpswap_x2 v[6:7], v0, v[1:4], s[6:7] offset:24 glc
	s_waitcnt vmcnt(0)
	buffer_gl1_inv
	buffer_gl0_inv
	v_cmp_eq_u64_e32 vcc_lo, v[6:7], v[3:4]
	s_or_b32 s9, vcc_lo, s9
	s_andn2_b32 exec_lo, exec_lo, s9
	s_cbranch_execnz .LBB12_1164
; %bb.1165:
	s_or_b32 exec_lo, exec_lo, s9
.LBB12_1166:
	s_or_b32 exec_lo, exec_lo, s8
.LBB12_1167:
	s_or_b32 exec_lo, exec_lo, s5
	v_mov_b32_e32 v5, 0
	v_readfirstlane_b32 s8, v6
	v_readfirstlane_b32 s9, v7
	s_mov_b32 s5, exec_lo
	s_clause 0x1
	global_load_dwordx2 v[8:9], v5, s[6:7] offset:40
	global_load_dwordx4 v[0:3], v5, s[6:7]
	s_waitcnt vmcnt(1)
	v_readfirstlane_b32 s10, v8
	v_readfirstlane_b32 s11, v9
	s_and_b64 s[10:11], s[8:9], s[10:11]
	s_mul_i32 s12, s11, 24
	s_mul_hi_u32 s13, s10, 24
	s_mul_i32 s14, s10, 24
	s_add_i32 s13, s13, s12
	s_waitcnt vmcnt(0)
	v_add_co_u32 v8, vcc_lo, v0, s14
	v_add_co_ci_u32_e32 v9, vcc_lo, s13, v1, vcc_lo
	s_and_saveexec_b32 s12, s4
	s_cbranch_execz .LBB12_1169
; %bb.1168:
	v_mov_b32_e32 v4, s5
	v_mov_b32_e32 v6, 2
	;; [unrolled: 1-line block ×3, first 2 shown]
	global_store_dwordx4 v[8:9], v[4:7], off offset:8
.LBB12_1169:
	s_or_b32 exec_lo, exec_lo, s12
	s_lshl_b64 s[10:11], s[10:11], 12
	s_mov_b32 s12, 0
	v_add_co_u32 v2, vcc_lo, v2, s10
	v_add_co_ci_u32_e32 v3, vcc_lo, s11, v3, vcc_lo
	s_mov_b32 s13, s12
	v_add_co_u32 v10, vcc_lo, v2, v31
	s_mov_b32 s14, s12
	s_mov_b32 s15, s12
	v_mov_b32_e32 v4, 33
	v_mov_b32_e32 v6, v5
	;; [unrolled: 1-line block ×3, first 2 shown]
	v_readfirstlane_b32 s10, v2
	v_readfirstlane_b32 s11, v3
	v_mov_b32_e32 v12, s12
	v_add_co_ci_u32_e32 v11, vcc_lo, 0, v3, vcc_lo
	v_mov_b32_e32 v13, s13
	v_mov_b32_e32 v14, s14
	;; [unrolled: 1-line block ×3, first 2 shown]
	global_store_dwordx4 v31, v[4:7], s[10:11]
	global_store_dwordx4 v31, v[12:15], s[10:11] offset:16
	global_store_dwordx4 v31, v[12:15], s[10:11] offset:32
	;; [unrolled: 1-line block ×3, first 2 shown]
	s_and_saveexec_b32 s5, s4
	s_cbranch_execz .LBB12_1177
; %bb.1170:
	v_mov_b32_e32 v6, 0
	v_mov_b32_e32 v12, s8
	;; [unrolled: 1-line block ×3, first 2 shown]
	s_clause 0x1
	global_load_dwordx2 v[14:15], v6, s[6:7] offset:32 glc dlc
	global_load_dwordx2 v[2:3], v6, s[6:7] offset:40
	s_waitcnt vmcnt(0)
	v_readfirstlane_b32 s10, v2
	v_readfirstlane_b32 s11, v3
	s_and_b64 s[10:11], s[10:11], s[8:9]
	s_mul_i32 s11, s11, 24
	s_mul_hi_u32 s12, s10, 24
	s_mul_i32 s10, s10, 24
	s_add_i32 s12, s12, s11
	v_add_co_u32 v4, vcc_lo, v0, s10
	v_add_co_ci_u32_e32 v5, vcc_lo, s12, v1, vcc_lo
	s_mov_b32 s10, exec_lo
	global_store_dwordx2 v[4:5], v[14:15], off
	s_waitcnt_vscnt null, 0x0
	global_atomic_cmpswap_x2 v[2:3], v6, v[12:15], s[6:7] offset:32 glc
	s_waitcnt vmcnt(0)
	v_cmpx_ne_u64_e64 v[2:3], v[14:15]
	s_cbranch_execz .LBB12_1173
; %bb.1171:
	s_mov_b32 s11, 0
.LBB12_1172:                            ; =>This Inner Loop Header: Depth=1
	v_mov_b32_e32 v0, s8
	v_mov_b32_e32 v1, s9
	s_sleep 1
	global_store_dwordx2 v[4:5], v[2:3], off
	s_waitcnt_vscnt null, 0x0
	global_atomic_cmpswap_x2 v[0:1], v6, v[0:3], s[6:7] offset:32 glc
	s_waitcnt vmcnt(0)
	v_cmp_eq_u64_e32 vcc_lo, v[0:1], v[2:3]
	v_mov_b32_e32 v3, v1
	v_mov_b32_e32 v2, v0
	s_or_b32 s11, vcc_lo, s11
	s_andn2_b32 exec_lo, exec_lo, s11
	s_cbranch_execnz .LBB12_1172
.LBB12_1173:
	s_or_b32 exec_lo, exec_lo, s10
	v_mov_b32_e32 v3, 0
	s_mov_b32 s11, exec_lo
	s_mov_b32 s10, exec_lo
	v_mbcnt_lo_u32_b32 v2, s11, 0
	global_load_dwordx2 v[0:1], v3, s[6:7] offset:16
	v_cmpx_eq_u32_e32 0, v2
	s_cbranch_execz .LBB12_1175
; %bb.1174:
	s_bcnt1_i32_b32 s11, s11
	v_mov_b32_e32 v2, s11
	s_waitcnt vmcnt(0)
	global_atomic_add_x2 v[0:1], v[2:3], off offset:8
.LBB12_1175:
	s_or_b32 exec_lo, exec_lo, s10
	s_waitcnt vmcnt(0)
	global_load_dwordx2 v[2:3], v[0:1], off offset:16
	s_waitcnt vmcnt(0)
	v_cmp_eq_u64_e32 vcc_lo, 0, v[2:3]
	s_cbranch_vccnz .LBB12_1177
; %bb.1176:
	global_load_dword v0, v[0:1], off offset:24
	v_mov_b32_e32 v1, 0
	s_waitcnt vmcnt(0)
	v_and_b32_e32 v4, 0x7fffff, v0
	s_waitcnt_vscnt null, 0x0
	global_store_dwordx2 v[2:3], v[0:1], off
	v_readfirstlane_b32 m0, v4
	s_sendmsg sendmsg(MSG_INTERRUPT)
.LBB12_1177:
	s_or_b32 exec_lo, exec_lo, s5
	s_branch .LBB12_1181
	.p2align	6
.LBB12_1178:                            ;   in Loop: Header=BB12_1181 Depth=1
	s_or_b32 exec_lo, exec_lo, s5
	v_readfirstlane_b32 s5, v0
	s_cmp_eq_u32 s5, 0
	s_cbranch_scc1 .LBB12_1180
; %bb.1179:                             ;   in Loop: Header=BB12_1181 Depth=1
	s_sleep 1
	s_cbranch_execnz .LBB12_1181
	s_branch .LBB12_1183
	.p2align	6
.LBB12_1180:
	s_branch .LBB12_1183
.LBB12_1181:                            ; =>This Inner Loop Header: Depth=1
	v_mov_b32_e32 v0, 1
	s_and_saveexec_b32 s5, s4
	s_cbranch_execz .LBB12_1178
; %bb.1182:                             ;   in Loop: Header=BB12_1181 Depth=1
	global_load_dword v0, v[8:9], off offset:20 glc dlc
	s_waitcnt vmcnt(0)
	buffer_gl1_inv
	buffer_gl0_inv
	v_and_b32_e32 v0, 1, v0
	s_branch .LBB12_1178
.LBB12_1183:
	global_load_dwordx2 v[0:1], v[10:11], off
	s_and_saveexec_b32 s5, s4
	s_cbranch_execz .LBB12_1187
; %bb.1184:
	v_mov_b32_e32 v8, 0
	s_clause 0x2
	global_load_dwordx2 v[4:5], v8, s[6:7] offset:40
	global_load_dwordx2 v[9:10], v8, s[6:7] offset:24 glc dlc
	global_load_dwordx2 v[6:7], v8, s[6:7]
	s_waitcnt vmcnt(2)
	v_add_co_u32 v11, vcc_lo, v4, 1
	v_add_co_ci_u32_e32 v12, vcc_lo, 0, v5, vcc_lo
	v_add_co_u32 v2, vcc_lo, v11, s8
	v_add_co_ci_u32_e32 v3, vcc_lo, s9, v12, vcc_lo
	v_cmp_eq_u64_e32 vcc_lo, 0, v[2:3]
	v_cndmask_b32_e32 v3, v3, v12, vcc_lo
	v_cndmask_b32_e32 v2, v2, v11, vcc_lo
	v_and_b32_e32 v5, v3, v5
	v_and_b32_e32 v4, v2, v4
	v_mul_lo_u32 v5, v5, 24
	v_mul_hi_u32 v11, v4, 24
	v_mul_lo_u32 v4, v4, 24
	v_add_nc_u32_e32 v5, v11, v5
	s_waitcnt vmcnt(0)
	v_add_co_u32 v6, vcc_lo, v6, v4
	v_mov_b32_e32 v4, v9
	v_add_co_ci_u32_e32 v7, vcc_lo, v7, v5, vcc_lo
	v_mov_b32_e32 v5, v10
	global_store_dwordx2 v[6:7], v[9:10], off
	s_waitcnt_vscnt null, 0x0
	global_atomic_cmpswap_x2 v[4:5], v8, v[2:5], s[6:7] offset:24 glc
	s_waitcnt vmcnt(0)
	v_cmp_ne_u64_e32 vcc_lo, v[4:5], v[9:10]
	s_and_b32 exec_lo, exec_lo, vcc_lo
	s_cbranch_execz .LBB12_1187
; %bb.1185:
	s_mov_b32 s4, 0
.LBB12_1186:                            ; =>This Inner Loop Header: Depth=1
	s_sleep 1
	global_store_dwordx2 v[6:7], v[4:5], off
	s_waitcnt_vscnt null, 0x0
	global_atomic_cmpswap_x2 v[9:10], v8, v[2:5], s[6:7] offset:24 glc
	s_waitcnt vmcnt(0)
	v_cmp_eq_u64_e32 vcc_lo, v[9:10], v[4:5]
	v_mov_b32_e32 v4, v9
	v_mov_b32_e32 v5, v10
	s_or_b32 s4, vcc_lo, s4
	s_andn2_b32 exec_lo, exec_lo, s4
	s_cbranch_execnz .LBB12_1186
.LBB12_1187:
	s_or_b32 exec_lo, exec_lo, s5
	s_and_b32 vcc_lo, exec_lo, s19
	s_cbranch_vccz .LBB12_1266
; %bb.1188:
	s_waitcnt vmcnt(0)
	v_and_b32_e32 v33, 2, v0
	v_mov_b32_e32 v6, 0
	v_and_b32_e32 v2, -3, v0
	v_mov_b32_e32 v3, v1
	v_mov_b32_e32 v7, 2
	;; [unrolled: 1-line block ×3, first 2 shown]
	s_mov_b64 s[10:11], 3
	s_getpc_b64 s[8:9]
	s_add_u32 s8, s8, .str.6@rel32@lo+4
	s_addc_u32 s9, s9, .str.6@rel32@hi+12
	s_branch .LBB12_1190
.LBB12_1189:                            ;   in Loop: Header=BB12_1190 Depth=1
	s_or_b32 exec_lo, exec_lo, s5
	s_sub_u32 s10, s10, s12
	s_subb_u32 s11, s11, s13
	s_add_u32 s8, s8, s12
	s_addc_u32 s9, s9, s13
	s_cmp_lg_u64 s[10:11], 0
	s_cbranch_scc0 .LBB12_1265
.LBB12_1190:                            ; =>This Loop Header: Depth=1
                                        ;     Child Loop BB12_1199 Depth 2
                                        ;     Child Loop BB12_1195 Depth 2
                                        ;     Child Loop BB12_1207 Depth 2
                                        ;     Child Loop BB12_1214 Depth 2
                                        ;     Child Loop BB12_1221 Depth 2
                                        ;     Child Loop BB12_1228 Depth 2
                                        ;     Child Loop BB12_1235 Depth 2
                                        ;     Child Loop BB12_1242 Depth 2
                                        ;     Child Loop BB12_1250 Depth 2
                                        ;     Child Loop BB12_1259 Depth 2
                                        ;     Child Loop BB12_1264 Depth 2
	v_cmp_lt_u64_e64 s4, s[10:11], 56
	v_cmp_gt_u64_e64 s5, s[10:11], 7
                                        ; implicit-def: $vgpr11_vgpr12
                                        ; implicit-def: $sgpr19
	s_and_b32 s4, s4, exec_lo
	s_cselect_b32 s13, s11, 0
	s_cselect_b32 s12, s10, 56
	s_and_b32 vcc_lo, exec_lo, s5
	s_mov_b32 s4, -1
	s_cbranch_vccz .LBB12_1197
; %bb.1191:                             ;   in Loop: Header=BB12_1190 Depth=1
	s_andn2_b32 vcc_lo, exec_lo, s4
	s_mov_b64 s[4:5], s[8:9]
	s_cbranch_vccz .LBB12_1201
.LBB12_1192:                            ;   in Loop: Header=BB12_1190 Depth=1
	s_cmp_gt_u32 s19, 7
	s_cbranch_scc1 .LBB12_1202
.LBB12_1193:                            ;   in Loop: Header=BB12_1190 Depth=1
	v_mov_b32_e32 v13, 0
	v_mov_b32_e32 v14, 0
	s_cmp_eq_u32 s19, 0
	s_cbranch_scc1 .LBB12_1196
; %bb.1194:                             ;   in Loop: Header=BB12_1190 Depth=1
	s_mov_b64 s[14:15], 0
	s_mov_b64 s[16:17], 0
.LBB12_1195:                            ;   Parent Loop BB12_1190 Depth=1
                                        ; =>  This Inner Loop Header: Depth=2
	s_add_u32 s20, s4, s16
	s_addc_u32 s21, s5, s17
	s_add_u32 s16, s16, 1
	global_load_ubyte v4, v6, s[20:21]
	s_addc_u32 s17, s17, 0
	s_waitcnt vmcnt(0)
	v_and_b32_e32 v5, 0xffff, v4
	v_lshlrev_b64 v[4:5], s14, v[5:6]
	s_add_u32 s14, s14, 8
	s_addc_u32 s15, s15, 0
	s_cmp_lg_u32 s19, s16
	v_or_b32_e32 v13, v4, v13
	v_or_b32_e32 v14, v5, v14
	s_cbranch_scc1 .LBB12_1195
.LBB12_1196:                            ;   in Loop: Header=BB12_1190 Depth=1
	s_mov_b32 s20, 0
	s_cbranch_execz .LBB12_1203
	s_branch .LBB12_1204
.LBB12_1197:                            ;   in Loop: Header=BB12_1190 Depth=1
	v_mov_b32_e32 v11, 0
	v_mov_b32_e32 v12, 0
	s_cmp_eq_u64 s[10:11], 0
	s_mov_b64 s[4:5], 0
	s_cbranch_scc1 .LBB12_1200
; %bb.1198:                             ;   in Loop: Header=BB12_1190 Depth=1
	v_mov_b32_e32 v11, 0
	v_mov_b32_e32 v12, 0
	s_lshl_b64 s[14:15], s[12:13], 3
	s_mov_b64 s[16:17], s[8:9]
.LBB12_1199:                            ;   Parent Loop BB12_1190 Depth=1
                                        ; =>  This Inner Loop Header: Depth=2
	global_load_ubyte v4, v6, s[16:17]
	s_waitcnt vmcnt(0)
	v_and_b32_e32 v5, 0xffff, v4
	v_lshlrev_b64 v[4:5], s4, v[5:6]
	s_add_u32 s4, s4, 8
	s_addc_u32 s5, s5, 0
	s_add_u32 s16, s16, 1
	s_addc_u32 s17, s17, 0
	s_cmp_lg_u32 s14, s4
	v_or_b32_e32 v11, v4, v11
	v_or_b32_e32 v12, v5, v12
	s_cbranch_scc1 .LBB12_1199
.LBB12_1200:                            ;   in Loop: Header=BB12_1190 Depth=1
	s_mov_b32 s19, 0
	s_mov_b64 s[4:5], s[8:9]
	s_cbranch_execnz .LBB12_1192
.LBB12_1201:                            ;   in Loop: Header=BB12_1190 Depth=1
	global_load_dwordx2 v[11:12], v6, s[8:9]
	s_add_i32 s19, s12, -8
	s_add_u32 s4, s8, 8
	s_addc_u32 s5, s9, 0
	s_cmp_gt_u32 s19, 7
	s_cbranch_scc0 .LBB12_1193
.LBB12_1202:                            ;   in Loop: Header=BB12_1190 Depth=1
                                        ; implicit-def: $vgpr13_vgpr14
                                        ; implicit-def: $sgpr20
.LBB12_1203:                            ;   in Loop: Header=BB12_1190 Depth=1
	global_load_dwordx2 v[13:14], v6, s[4:5]
	s_add_i32 s20, s19, -8
	s_add_u32 s4, s4, 8
	s_addc_u32 s5, s5, 0
.LBB12_1204:                            ;   in Loop: Header=BB12_1190 Depth=1
	s_cmp_gt_u32 s20, 7
	s_cbranch_scc1 .LBB12_1209
; %bb.1205:                             ;   in Loop: Header=BB12_1190 Depth=1
	v_mov_b32_e32 v15, 0
	v_mov_b32_e32 v16, 0
	s_cmp_eq_u32 s20, 0
	s_cbranch_scc1 .LBB12_1208
; %bb.1206:                             ;   in Loop: Header=BB12_1190 Depth=1
	s_mov_b64 s[14:15], 0
	s_mov_b64 s[16:17], 0
.LBB12_1207:                            ;   Parent Loop BB12_1190 Depth=1
                                        ; =>  This Inner Loop Header: Depth=2
	s_add_u32 s22, s4, s16
	s_addc_u32 s23, s5, s17
	s_add_u32 s16, s16, 1
	global_load_ubyte v4, v6, s[22:23]
	s_addc_u32 s17, s17, 0
	s_waitcnt vmcnt(0)
	v_and_b32_e32 v5, 0xffff, v4
	v_lshlrev_b64 v[4:5], s14, v[5:6]
	s_add_u32 s14, s14, 8
	s_addc_u32 s15, s15, 0
	s_cmp_lg_u32 s20, s16
	v_or_b32_e32 v15, v4, v15
	v_or_b32_e32 v16, v5, v16
	s_cbranch_scc1 .LBB12_1207
.LBB12_1208:                            ;   in Loop: Header=BB12_1190 Depth=1
	s_mov_b32 s19, 0
	s_cbranch_execz .LBB12_1210
	s_branch .LBB12_1211
.LBB12_1209:                            ;   in Loop: Header=BB12_1190 Depth=1
                                        ; implicit-def: $sgpr19
.LBB12_1210:                            ;   in Loop: Header=BB12_1190 Depth=1
	global_load_dwordx2 v[15:16], v6, s[4:5]
	s_add_i32 s19, s20, -8
	s_add_u32 s4, s4, 8
	s_addc_u32 s5, s5, 0
.LBB12_1211:                            ;   in Loop: Header=BB12_1190 Depth=1
	s_cmp_gt_u32 s19, 7
	s_cbranch_scc1 .LBB12_1216
; %bb.1212:                             ;   in Loop: Header=BB12_1190 Depth=1
	v_mov_b32_e32 v17, 0
	v_mov_b32_e32 v18, 0
	s_cmp_eq_u32 s19, 0
	s_cbranch_scc1 .LBB12_1215
; %bb.1213:                             ;   in Loop: Header=BB12_1190 Depth=1
	s_mov_b64 s[14:15], 0
	s_mov_b64 s[16:17], 0
.LBB12_1214:                            ;   Parent Loop BB12_1190 Depth=1
                                        ; =>  This Inner Loop Header: Depth=2
	s_add_u32 s20, s4, s16
	s_addc_u32 s21, s5, s17
	s_add_u32 s16, s16, 1
	global_load_ubyte v4, v6, s[20:21]
	s_addc_u32 s17, s17, 0
	s_waitcnt vmcnt(0)
	v_and_b32_e32 v5, 0xffff, v4
	v_lshlrev_b64 v[4:5], s14, v[5:6]
	s_add_u32 s14, s14, 8
	s_addc_u32 s15, s15, 0
	s_cmp_lg_u32 s19, s16
	v_or_b32_e32 v17, v4, v17
	v_or_b32_e32 v18, v5, v18
	s_cbranch_scc1 .LBB12_1214
.LBB12_1215:                            ;   in Loop: Header=BB12_1190 Depth=1
	s_mov_b32 s20, 0
	s_cbranch_execz .LBB12_1217
	s_branch .LBB12_1218
.LBB12_1216:                            ;   in Loop: Header=BB12_1190 Depth=1
                                        ; implicit-def: $vgpr17_vgpr18
                                        ; implicit-def: $sgpr20
.LBB12_1217:                            ;   in Loop: Header=BB12_1190 Depth=1
	global_load_dwordx2 v[17:18], v6, s[4:5]
	s_add_i32 s20, s19, -8
	s_add_u32 s4, s4, 8
	s_addc_u32 s5, s5, 0
.LBB12_1218:                            ;   in Loop: Header=BB12_1190 Depth=1
	s_cmp_gt_u32 s20, 7
	s_cbranch_scc1 .LBB12_1223
; %bb.1219:                             ;   in Loop: Header=BB12_1190 Depth=1
	v_mov_b32_e32 v19, 0
	v_mov_b32_e32 v20, 0
	s_cmp_eq_u32 s20, 0
	s_cbranch_scc1 .LBB12_1222
; %bb.1220:                             ;   in Loop: Header=BB12_1190 Depth=1
	s_mov_b64 s[14:15], 0
	s_mov_b64 s[16:17], 0
.LBB12_1221:                            ;   Parent Loop BB12_1190 Depth=1
                                        ; =>  This Inner Loop Header: Depth=2
	s_add_u32 s22, s4, s16
	s_addc_u32 s23, s5, s17
	s_add_u32 s16, s16, 1
	global_load_ubyte v4, v6, s[22:23]
	s_addc_u32 s17, s17, 0
	s_waitcnt vmcnt(0)
	v_and_b32_e32 v5, 0xffff, v4
	v_lshlrev_b64 v[4:5], s14, v[5:6]
	s_add_u32 s14, s14, 8
	s_addc_u32 s15, s15, 0
	s_cmp_lg_u32 s20, s16
	v_or_b32_e32 v19, v4, v19
	v_or_b32_e32 v20, v5, v20
	s_cbranch_scc1 .LBB12_1221
.LBB12_1222:                            ;   in Loop: Header=BB12_1190 Depth=1
	s_mov_b32 s19, 0
	s_cbranch_execz .LBB12_1224
	s_branch .LBB12_1225
.LBB12_1223:                            ;   in Loop: Header=BB12_1190 Depth=1
                                        ; implicit-def: $sgpr19
.LBB12_1224:                            ;   in Loop: Header=BB12_1190 Depth=1
	global_load_dwordx2 v[19:20], v6, s[4:5]
	s_add_i32 s19, s20, -8
	s_add_u32 s4, s4, 8
	s_addc_u32 s5, s5, 0
.LBB12_1225:                            ;   in Loop: Header=BB12_1190 Depth=1
	s_cmp_gt_u32 s19, 7
	s_cbranch_scc1 .LBB12_1230
; %bb.1226:                             ;   in Loop: Header=BB12_1190 Depth=1
	v_mov_b32_e32 v21, 0
	v_mov_b32_e32 v22, 0
	s_cmp_eq_u32 s19, 0
	s_cbranch_scc1 .LBB12_1229
; %bb.1227:                             ;   in Loop: Header=BB12_1190 Depth=1
	s_mov_b64 s[14:15], 0
	s_mov_b64 s[16:17], 0
.LBB12_1228:                            ;   Parent Loop BB12_1190 Depth=1
                                        ; =>  This Inner Loop Header: Depth=2
	s_add_u32 s20, s4, s16
	s_addc_u32 s21, s5, s17
	s_add_u32 s16, s16, 1
	global_load_ubyte v4, v6, s[20:21]
	s_addc_u32 s17, s17, 0
	s_waitcnt vmcnt(0)
	v_and_b32_e32 v5, 0xffff, v4
	v_lshlrev_b64 v[4:5], s14, v[5:6]
	s_add_u32 s14, s14, 8
	s_addc_u32 s15, s15, 0
	s_cmp_lg_u32 s19, s16
	v_or_b32_e32 v21, v4, v21
	v_or_b32_e32 v22, v5, v22
	s_cbranch_scc1 .LBB12_1228
.LBB12_1229:                            ;   in Loop: Header=BB12_1190 Depth=1
	s_mov_b32 s20, 0
	s_cbranch_execz .LBB12_1231
	s_branch .LBB12_1232
.LBB12_1230:                            ;   in Loop: Header=BB12_1190 Depth=1
                                        ; implicit-def: $vgpr21_vgpr22
                                        ; implicit-def: $sgpr20
.LBB12_1231:                            ;   in Loop: Header=BB12_1190 Depth=1
	global_load_dwordx2 v[21:22], v6, s[4:5]
	s_add_i32 s20, s19, -8
	s_add_u32 s4, s4, 8
	s_addc_u32 s5, s5, 0
.LBB12_1232:                            ;   in Loop: Header=BB12_1190 Depth=1
	s_cmp_gt_u32 s20, 7
	s_cbranch_scc1 .LBB12_1237
; %bb.1233:                             ;   in Loop: Header=BB12_1190 Depth=1
	v_mov_b32_e32 v23, 0
	v_mov_b32_e32 v24, 0
	s_cmp_eq_u32 s20, 0
	s_cbranch_scc1 .LBB12_1236
; %bb.1234:                             ;   in Loop: Header=BB12_1190 Depth=1
	s_mov_b64 s[14:15], 0
	s_mov_b64 s[16:17], s[4:5]
.LBB12_1235:                            ;   Parent Loop BB12_1190 Depth=1
                                        ; =>  This Inner Loop Header: Depth=2
	global_load_ubyte v4, v6, s[16:17]
	s_add_i32 s20, s20, -1
	s_waitcnt vmcnt(0)
	v_and_b32_e32 v5, 0xffff, v4
	v_lshlrev_b64 v[4:5], s14, v[5:6]
	s_add_u32 s14, s14, 8
	s_addc_u32 s15, s15, 0
	s_add_u32 s16, s16, 1
	s_addc_u32 s17, s17, 0
	s_cmp_lg_u32 s20, 0
	v_or_b32_e32 v23, v4, v23
	v_or_b32_e32 v24, v5, v24
	s_cbranch_scc1 .LBB12_1235
.LBB12_1236:                            ;   in Loop: Header=BB12_1190 Depth=1
	s_cbranch_execz .LBB12_1238
	s_branch .LBB12_1239
.LBB12_1237:                            ;   in Loop: Header=BB12_1190 Depth=1
.LBB12_1238:                            ;   in Loop: Header=BB12_1190 Depth=1
	global_load_dwordx2 v[23:24], v6, s[4:5]
.LBB12_1239:                            ;   in Loop: Header=BB12_1190 Depth=1
	v_readfirstlane_b32 s4, v32
	s_waitcnt vmcnt(0)
	v_mov_b32_e32 v4, 0
	v_mov_b32_e32 v5, 0
	v_cmp_eq_u32_e64 s4, s4, v32
	s_and_saveexec_b32 s5, s4
	s_cbranch_execz .LBB12_1245
; %bb.1240:                             ;   in Loop: Header=BB12_1190 Depth=1
	global_load_dwordx2 v[27:28], v6, s[6:7] offset:24 glc dlc
	s_waitcnt vmcnt(0)
	buffer_gl1_inv
	buffer_gl0_inv
	s_clause 0x1
	global_load_dwordx2 v[4:5], v6, s[6:7] offset:40
	global_load_dwordx2 v[9:10], v6, s[6:7]
	s_mov_b32 s14, exec_lo
	s_waitcnt vmcnt(1)
	v_and_b32_e32 v5, v5, v28
	v_and_b32_e32 v4, v4, v27
	v_mul_lo_u32 v5, v5, 24
	v_mul_hi_u32 v25, v4, 24
	v_mul_lo_u32 v4, v4, 24
	v_add_nc_u32_e32 v5, v25, v5
	s_waitcnt vmcnt(0)
	v_add_co_u32 v4, vcc_lo, v9, v4
	v_add_co_ci_u32_e32 v5, vcc_lo, v10, v5, vcc_lo
	global_load_dwordx2 v[25:26], v[4:5], off glc dlc
	s_waitcnt vmcnt(0)
	global_atomic_cmpswap_x2 v[4:5], v6, v[25:28], s[6:7] offset:24 glc
	s_waitcnt vmcnt(0)
	buffer_gl1_inv
	buffer_gl0_inv
	v_cmpx_ne_u64_e64 v[4:5], v[27:28]
	s_cbranch_execz .LBB12_1244
; %bb.1241:                             ;   in Loop: Header=BB12_1190 Depth=1
	s_mov_b32 s15, 0
	.p2align	6
.LBB12_1242:                            ;   Parent Loop BB12_1190 Depth=1
                                        ; =>  This Inner Loop Header: Depth=2
	s_sleep 1
	s_clause 0x1
	global_load_dwordx2 v[9:10], v6, s[6:7] offset:40
	global_load_dwordx2 v[25:26], v6, s[6:7]
	v_mov_b32_e32 v28, v5
	v_mov_b32_e32 v27, v4
	s_waitcnt vmcnt(1)
	v_and_b32_e32 v4, v9, v27
	v_and_b32_e32 v9, v10, v28
	s_waitcnt vmcnt(0)
	v_mad_u64_u32 v[4:5], null, v4, 24, v[25:26]
	v_mad_u64_u32 v[9:10], null, v9, 24, v[5:6]
	v_mov_b32_e32 v5, v9
	global_load_dwordx2 v[25:26], v[4:5], off glc dlc
	s_waitcnt vmcnt(0)
	global_atomic_cmpswap_x2 v[4:5], v6, v[25:28], s[6:7] offset:24 glc
	s_waitcnt vmcnt(0)
	buffer_gl1_inv
	buffer_gl0_inv
	v_cmp_eq_u64_e32 vcc_lo, v[4:5], v[27:28]
	s_or_b32 s15, vcc_lo, s15
	s_andn2_b32 exec_lo, exec_lo, s15
	s_cbranch_execnz .LBB12_1242
; %bb.1243:                             ;   in Loop: Header=BB12_1190 Depth=1
	s_or_b32 exec_lo, exec_lo, s15
.LBB12_1244:                            ;   in Loop: Header=BB12_1190 Depth=1
	s_or_b32 exec_lo, exec_lo, s14
.LBB12_1245:                            ;   in Loop: Header=BB12_1190 Depth=1
	s_or_b32 exec_lo, exec_lo, s5
	s_clause 0x1
	global_load_dwordx2 v[9:10], v6, s[6:7] offset:40
	global_load_dwordx4 v[25:28], v6, s[6:7]
	v_readfirstlane_b32 s14, v4
	v_readfirstlane_b32 s15, v5
	s_mov_b32 s5, exec_lo
	s_waitcnt vmcnt(1)
	v_readfirstlane_b32 s16, v9
	v_readfirstlane_b32 s17, v10
	s_and_b64 s[16:17], s[14:15], s[16:17]
	s_mul_i32 s19, s17, 24
	s_mul_hi_u32 s20, s16, 24
	s_mul_i32 s21, s16, 24
	s_add_i32 s20, s20, s19
	s_waitcnt vmcnt(0)
	v_add_co_u32 v29, vcc_lo, v25, s21
	v_add_co_ci_u32_e32 v30, vcc_lo, s20, v26, vcc_lo
	s_and_saveexec_b32 s19, s4
	s_cbranch_execz .LBB12_1247
; %bb.1246:                             ;   in Loop: Header=BB12_1190 Depth=1
	v_mov_b32_e32 v5, s5
	global_store_dwordx4 v[29:30], v[5:8], off offset:8
.LBB12_1247:                            ;   in Loop: Header=BB12_1190 Depth=1
	s_or_b32 exec_lo, exec_lo, s19
	s_lshl_b64 s[16:17], s[16:17], 12
	v_cmp_gt_u64_e64 vcc_lo, s[10:11], 56
	v_or_b32_e32 v5, v2, v33
	v_add_co_u32 v27, s5, v27, s16
	v_add_co_ci_u32_e64 v28, s5, s17, v28, s5
	s_lshl_b32 s5, s12, 2
	v_or_b32_e32 v4, 0, v3
	v_cndmask_b32_e32 v2, v5, v2, vcc_lo
	s_add_i32 s5, s5, 28
	v_readfirstlane_b32 s16, v27
	s_and_b32 s5, s5, 0x1e0
	v_cndmask_b32_e32 v10, v4, v3, vcc_lo
	v_readfirstlane_b32 s17, v28
	v_and_or_b32 v9, 0xffffff1f, v2, s5
	global_store_dwordx4 v31, v[9:12], s[16:17]
	global_store_dwordx4 v31, v[13:16], s[16:17] offset:16
	global_store_dwordx4 v31, v[17:20], s[16:17] offset:32
	;; [unrolled: 1-line block ×3, first 2 shown]
	s_and_saveexec_b32 s5, s4
	s_cbranch_execz .LBB12_1255
; %bb.1248:                             ;   in Loop: Header=BB12_1190 Depth=1
	s_clause 0x1
	global_load_dwordx2 v[13:14], v6, s[6:7] offset:32 glc dlc
	global_load_dwordx2 v[2:3], v6, s[6:7] offset:40
	v_mov_b32_e32 v11, s14
	v_mov_b32_e32 v12, s15
	s_waitcnt vmcnt(0)
	v_readfirstlane_b32 s16, v2
	v_readfirstlane_b32 s17, v3
	s_and_b64 s[16:17], s[16:17], s[14:15]
	s_mul_i32 s17, s17, 24
	s_mul_hi_u32 s19, s16, 24
	s_mul_i32 s16, s16, 24
	s_add_i32 s19, s19, s17
	v_add_co_u32 v9, vcc_lo, v25, s16
	v_add_co_ci_u32_e32 v10, vcc_lo, s19, v26, vcc_lo
	s_mov_b32 s16, exec_lo
	global_store_dwordx2 v[9:10], v[13:14], off
	s_waitcnt_vscnt null, 0x0
	global_atomic_cmpswap_x2 v[4:5], v6, v[11:14], s[6:7] offset:32 glc
	s_waitcnt vmcnt(0)
	v_cmpx_ne_u64_e64 v[4:5], v[13:14]
	s_cbranch_execz .LBB12_1251
; %bb.1249:                             ;   in Loop: Header=BB12_1190 Depth=1
	s_mov_b32 s17, 0
.LBB12_1250:                            ;   Parent Loop BB12_1190 Depth=1
                                        ; =>  This Inner Loop Header: Depth=2
	v_mov_b32_e32 v2, s14
	v_mov_b32_e32 v3, s15
	s_sleep 1
	global_store_dwordx2 v[9:10], v[4:5], off
	s_waitcnt_vscnt null, 0x0
	global_atomic_cmpswap_x2 v[2:3], v6, v[2:5], s[6:7] offset:32 glc
	s_waitcnt vmcnt(0)
	v_cmp_eq_u64_e32 vcc_lo, v[2:3], v[4:5]
	v_mov_b32_e32 v5, v3
	v_mov_b32_e32 v4, v2
	s_or_b32 s17, vcc_lo, s17
	s_andn2_b32 exec_lo, exec_lo, s17
	s_cbranch_execnz .LBB12_1250
.LBB12_1251:                            ;   in Loop: Header=BB12_1190 Depth=1
	s_or_b32 exec_lo, exec_lo, s16
	global_load_dwordx2 v[2:3], v6, s[6:7] offset:16
	s_mov_b32 s17, exec_lo
	s_mov_b32 s16, exec_lo
	v_mbcnt_lo_u32_b32 v4, s17, 0
	v_cmpx_eq_u32_e32 0, v4
	s_cbranch_execz .LBB12_1253
; %bb.1252:                             ;   in Loop: Header=BB12_1190 Depth=1
	s_bcnt1_i32_b32 s17, s17
	v_mov_b32_e32 v5, s17
	s_waitcnt vmcnt(0)
	global_atomic_add_x2 v[2:3], v[5:6], off offset:8
.LBB12_1253:                            ;   in Loop: Header=BB12_1190 Depth=1
	s_or_b32 exec_lo, exec_lo, s16
	s_waitcnt vmcnt(0)
	global_load_dwordx2 v[9:10], v[2:3], off offset:16
	s_waitcnt vmcnt(0)
	v_cmp_eq_u64_e32 vcc_lo, 0, v[9:10]
	s_cbranch_vccnz .LBB12_1255
; %bb.1254:                             ;   in Loop: Header=BB12_1190 Depth=1
	global_load_dword v5, v[2:3], off offset:24
	s_waitcnt vmcnt(0)
	v_and_b32_e32 v2, 0x7fffff, v5
	s_waitcnt_vscnt null, 0x0
	global_store_dwordx2 v[9:10], v[5:6], off
	v_readfirstlane_b32 m0, v2
	s_sendmsg sendmsg(MSG_INTERRUPT)
.LBB12_1255:                            ;   in Loop: Header=BB12_1190 Depth=1
	s_or_b32 exec_lo, exec_lo, s5
	v_add_co_u32 v2, vcc_lo, v27, v31
	v_add_co_ci_u32_e32 v3, vcc_lo, 0, v28, vcc_lo
	s_branch .LBB12_1259
	.p2align	6
.LBB12_1256:                            ;   in Loop: Header=BB12_1259 Depth=2
	s_or_b32 exec_lo, exec_lo, s5
	v_readfirstlane_b32 s5, v4
	s_cmp_eq_u32 s5, 0
	s_cbranch_scc1 .LBB12_1258
; %bb.1257:                             ;   in Loop: Header=BB12_1259 Depth=2
	s_sleep 1
	s_cbranch_execnz .LBB12_1259
	s_branch .LBB12_1261
	.p2align	6
.LBB12_1258:                            ;   in Loop: Header=BB12_1190 Depth=1
	s_branch .LBB12_1261
.LBB12_1259:                            ;   Parent Loop BB12_1190 Depth=1
                                        ; =>  This Inner Loop Header: Depth=2
	v_mov_b32_e32 v4, 1
	s_and_saveexec_b32 s5, s4
	s_cbranch_execz .LBB12_1256
; %bb.1260:                             ;   in Loop: Header=BB12_1259 Depth=2
	global_load_dword v4, v[29:30], off offset:20 glc dlc
	s_waitcnt vmcnt(0)
	buffer_gl1_inv
	buffer_gl0_inv
	v_and_b32_e32 v4, 1, v4
	s_branch .LBB12_1256
.LBB12_1261:                            ;   in Loop: Header=BB12_1190 Depth=1
	global_load_dwordx4 v[2:5], v[2:3], off
	s_and_saveexec_b32 s5, s4
	s_cbranch_execz .LBB12_1189
; %bb.1262:                             ;   in Loop: Header=BB12_1190 Depth=1
	s_clause 0x2
	global_load_dwordx2 v[4:5], v6, s[6:7] offset:40
	global_load_dwordx2 v[13:14], v6, s[6:7] offset:24 glc dlc
	global_load_dwordx2 v[11:12], v6, s[6:7]
	s_waitcnt vmcnt(2)
	v_add_co_u32 v15, vcc_lo, v4, 1
	v_add_co_ci_u32_e32 v16, vcc_lo, 0, v5, vcc_lo
	v_add_co_u32 v9, vcc_lo, v15, s14
	v_add_co_ci_u32_e32 v10, vcc_lo, s15, v16, vcc_lo
	v_cmp_eq_u64_e32 vcc_lo, 0, v[9:10]
	v_cndmask_b32_e32 v10, v10, v16, vcc_lo
	v_cndmask_b32_e32 v9, v9, v15, vcc_lo
	v_and_b32_e32 v5, v10, v5
	v_and_b32_e32 v4, v9, v4
	v_mul_lo_u32 v5, v5, 24
	v_mul_hi_u32 v15, v4, 24
	v_mul_lo_u32 v4, v4, 24
	v_add_nc_u32_e32 v5, v15, v5
	s_waitcnt vmcnt(0)
	v_add_co_u32 v4, vcc_lo, v11, v4
	v_mov_b32_e32 v11, v13
	v_add_co_ci_u32_e32 v5, vcc_lo, v12, v5, vcc_lo
	v_mov_b32_e32 v12, v14
	global_store_dwordx2 v[4:5], v[13:14], off
	s_waitcnt_vscnt null, 0x0
	global_atomic_cmpswap_x2 v[11:12], v6, v[9:12], s[6:7] offset:24 glc
	s_waitcnt vmcnt(0)
	v_cmp_ne_u64_e32 vcc_lo, v[11:12], v[13:14]
	s_and_b32 exec_lo, exec_lo, vcc_lo
	s_cbranch_execz .LBB12_1189
; %bb.1263:                             ;   in Loop: Header=BB12_1190 Depth=1
	s_mov_b32 s4, 0
.LBB12_1264:                            ;   Parent Loop BB12_1190 Depth=1
                                        ; =>  This Inner Loop Header: Depth=2
	s_sleep 1
	global_store_dwordx2 v[4:5], v[11:12], off
	s_waitcnt_vscnt null, 0x0
	global_atomic_cmpswap_x2 v[13:14], v6, v[9:12], s[6:7] offset:24 glc
	s_waitcnt vmcnt(0)
	v_cmp_eq_u64_e32 vcc_lo, v[13:14], v[11:12]
	v_mov_b32_e32 v11, v13
	v_mov_b32_e32 v12, v14
	s_or_b32 s4, vcc_lo, s4
	s_andn2_b32 exec_lo, exec_lo, s4
	s_cbranch_execnz .LBB12_1264
	s_branch .LBB12_1189
.LBB12_1265:
	s_mov_b32 s4, 0
	s_branch .LBB12_1267
.LBB12_1266:
	s_mov_b32 s4, -1
                                        ; implicit-def: $vgpr2_vgpr3
.LBB12_1267:
	s_and_b32 vcc_lo, exec_lo, s4
	s_cbranch_vccz .LBB12_1295
; %bb.1268:
	v_readfirstlane_b32 s4, v32
	v_mov_b32_e32 v8, 0
	v_mov_b32_e32 v9, 0
	v_cmp_eq_u32_e64 s4, s4, v32
	s_and_saveexec_b32 s5, s4
	s_cbranch_execz .LBB12_1274
; %bb.1269:
	s_waitcnt vmcnt(0)
	v_mov_b32_e32 v2, 0
	s_mov_b32 s8, exec_lo
	global_load_dwordx2 v[5:6], v2, s[6:7] offset:24 glc dlc
	s_waitcnt vmcnt(0)
	buffer_gl1_inv
	buffer_gl0_inv
	s_clause 0x1
	global_load_dwordx2 v[3:4], v2, s[6:7] offset:40
	global_load_dwordx2 v[7:8], v2, s[6:7]
	s_waitcnt vmcnt(1)
	v_and_b32_e32 v4, v4, v6
	v_and_b32_e32 v3, v3, v5
	v_mul_lo_u32 v4, v4, 24
	v_mul_hi_u32 v9, v3, 24
	v_mul_lo_u32 v3, v3, 24
	v_add_nc_u32_e32 v4, v9, v4
	s_waitcnt vmcnt(0)
	v_add_co_u32 v3, vcc_lo, v7, v3
	v_add_co_ci_u32_e32 v4, vcc_lo, v8, v4, vcc_lo
	global_load_dwordx2 v[3:4], v[3:4], off glc dlc
	s_waitcnt vmcnt(0)
	global_atomic_cmpswap_x2 v[8:9], v2, v[3:6], s[6:7] offset:24 glc
	s_waitcnt vmcnt(0)
	buffer_gl1_inv
	buffer_gl0_inv
	v_cmpx_ne_u64_e64 v[8:9], v[5:6]
	s_cbranch_execz .LBB12_1273
; %bb.1270:
	s_mov_b32 s9, 0
.LBB12_1271:                            ; =>This Inner Loop Header: Depth=1
	s_sleep 1
	s_clause 0x1
	global_load_dwordx2 v[3:4], v2, s[6:7] offset:40
	global_load_dwordx2 v[10:11], v2, s[6:7]
	v_mov_b32_e32 v5, v8
	v_mov_b32_e32 v6, v9
	s_waitcnt vmcnt(1)
	v_and_b32_e32 v3, v3, v5
	v_and_b32_e32 v4, v4, v6
	s_waitcnt vmcnt(0)
	v_mad_u64_u32 v[7:8], null, v3, 24, v[10:11]
	v_mov_b32_e32 v3, v8
	v_mad_u64_u32 v[3:4], null, v4, 24, v[3:4]
	v_mov_b32_e32 v8, v3
	global_load_dwordx2 v[3:4], v[7:8], off glc dlc
	s_waitcnt vmcnt(0)
	global_atomic_cmpswap_x2 v[8:9], v2, v[3:6], s[6:7] offset:24 glc
	s_waitcnt vmcnt(0)
	buffer_gl1_inv
	buffer_gl0_inv
	v_cmp_eq_u64_e32 vcc_lo, v[8:9], v[5:6]
	s_or_b32 s9, vcc_lo, s9
	s_andn2_b32 exec_lo, exec_lo, s9
	s_cbranch_execnz .LBB12_1271
; %bb.1272:
	s_or_b32 exec_lo, exec_lo, s9
.LBB12_1273:
	s_or_b32 exec_lo, exec_lo, s8
.LBB12_1274:
	s_or_b32 exec_lo, exec_lo, s5
	s_waitcnt vmcnt(0)
	v_mov_b32_e32 v2, 0
	v_readfirstlane_b32 s8, v8
	v_readfirstlane_b32 s9, v9
	s_mov_b32 s5, exec_lo
	s_clause 0x1
	global_load_dwordx2 v[10:11], v2, s[6:7] offset:40
	global_load_dwordx4 v[4:7], v2, s[6:7]
	s_waitcnt vmcnt(1)
	v_readfirstlane_b32 s10, v10
	v_readfirstlane_b32 s11, v11
	s_and_b64 s[10:11], s[8:9], s[10:11]
	s_mul_i32 s12, s11, 24
	s_mul_hi_u32 s13, s10, 24
	s_mul_i32 s14, s10, 24
	s_add_i32 s13, s13, s12
	s_waitcnt vmcnt(0)
	v_add_co_u32 v8, vcc_lo, v4, s14
	v_add_co_ci_u32_e32 v9, vcc_lo, s13, v5, vcc_lo
	s_and_saveexec_b32 s12, s4
	s_cbranch_execz .LBB12_1276
; %bb.1275:
	v_mov_b32_e32 v10, s5
	v_mov_b32_e32 v11, v2
	;; [unrolled: 1-line block ×4, first 2 shown]
	global_store_dwordx4 v[8:9], v[10:13], off offset:8
.LBB12_1276:
	s_or_b32 exec_lo, exec_lo, s12
	s_lshl_b64 s[10:11], s[10:11], 12
	s_mov_b32 s12, 0
	v_add_co_u32 v6, vcc_lo, v6, s10
	v_add_co_ci_u32_e32 v7, vcc_lo, s11, v7, vcc_lo
	s_mov_b32 s13, s12
	v_readfirstlane_b32 s10, v6
	v_add_co_u32 v6, vcc_lo, v6, v31
	s_mov_b32 s14, s12
	s_mov_b32 s15, s12
	v_and_or_b32 v0, 0xffffff1f, v0, 32
	v_mov_b32_e32 v3, v2
	v_readfirstlane_b32 s11, v7
	v_mov_b32_e32 v10, s12
	v_add_co_ci_u32_e32 v7, vcc_lo, 0, v7, vcc_lo
	v_mov_b32_e32 v11, s13
	v_mov_b32_e32 v12, s14
	;; [unrolled: 1-line block ×3, first 2 shown]
	global_store_dwordx4 v31, v[0:3], s[10:11]
	global_store_dwordx4 v31, v[10:13], s[10:11] offset:16
	global_store_dwordx4 v31, v[10:13], s[10:11] offset:32
	global_store_dwordx4 v31, v[10:13], s[10:11] offset:48
	s_and_saveexec_b32 s5, s4
	s_cbranch_execz .LBB12_1284
; %bb.1277:
	v_mov_b32_e32 v10, 0
	v_mov_b32_e32 v11, s8
	;; [unrolled: 1-line block ×3, first 2 shown]
	s_clause 0x1
	global_load_dwordx2 v[13:14], v10, s[6:7] offset:32 glc dlc
	global_load_dwordx2 v[0:1], v10, s[6:7] offset:40
	s_waitcnt vmcnt(0)
	v_readfirstlane_b32 s10, v0
	v_readfirstlane_b32 s11, v1
	s_and_b64 s[10:11], s[10:11], s[8:9]
	s_mul_i32 s11, s11, 24
	s_mul_hi_u32 s12, s10, 24
	s_mul_i32 s10, s10, 24
	s_add_i32 s12, s12, s11
	v_add_co_u32 v4, vcc_lo, v4, s10
	v_add_co_ci_u32_e32 v5, vcc_lo, s12, v5, vcc_lo
	s_mov_b32 s10, exec_lo
	global_store_dwordx2 v[4:5], v[13:14], off
	s_waitcnt_vscnt null, 0x0
	global_atomic_cmpswap_x2 v[2:3], v10, v[11:14], s[6:7] offset:32 glc
	s_waitcnt vmcnt(0)
	v_cmpx_ne_u64_e64 v[2:3], v[13:14]
	s_cbranch_execz .LBB12_1280
; %bb.1278:
	s_mov_b32 s11, 0
.LBB12_1279:                            ; =>This Inner Loop Header: Depth=1
	v_mov_b32_e32 v0, s8
	v_mov_b32_e32 v1, s9
	s_sleep 1
	global_store_dwordx2 v[4:5], v[2:3], off
	s_waitcnt_vscnt null, 0x0
	global_atomic_cmpswap_x2 v[0:1], v10, v[0:3], s[6:7] offset:32 glc
	s_waitcnt vmcnt(0)
	v_cmp_eq_u64_e32 vcc_lo, v[0:1], v[2:3]
	v_mov_b32_e32 v3, v1
	v_mov_b32_e32 v2, v0
	s_or_b32 s11, vcc_lo, s11
	s_andn2_b32 exec_lo, exec_lo, s11
	s_cbranch_execnz .LBB12_1279
.LBB12_1280:
	s_or_b32 exec_lo, exec_lo, s10
	v_mov_b32_e32 v3, 0
	s_mov_b32 s11, exec_lo
	s_mov_b32 s10, exec_lo
	v_mbcnt_lo_u32_b32 v2, s11, 0
	global_load_dwordx2 v[0:1], v3, s[6:7] offset:16
	v_cmpx_eq_u32_e32 0, v2
	s_cbranch_execz .LBB12_1282
; %bb.1281:
	s_bcnt1_i32_b32 s11, s11
	v_mov_b32_e32 v2, s11
	s_waitcnt vmcnt(0)
	global_atomic_add_x2 v[0:1], v[2:3], off offset:8
.LBB12_1282:
	s_or_b32 exec_lo, exec_lo, s10
	s_waitcnt vmcnt(0)
	global_load_dwordx2 v[2:3], v[0:1], off offset:16
	s_waitcnt vmcnt(0)
	v_cmp_eq_u64_e32 vcc_lo, 0, v[2:3]
	s_cbranch_vccnz .LBB12_1284
; %bb.1283:
	global_load_dword v0, v[0:1], off offset:24
	v_mov_b32_e32 v1, 0
	s_waitcnt vmcnt(0)
	v_and_b32_e32 v4, 0x7fffff, v0
	s_waitcnt_vscnt null, 0x0
	global_store_dwordx2 v[2:3], v[0:1], off
	v_readfirstlane_b32 m0, v4
	s_sendmsg sendmsg(MSG_INTERRUPT)
.LBB12_1284:
	s_or_b32 exec_lo, exec_lo, s5
	s_branch .LBB12_1288
	.p2align	6
.LBB12_1285:                            ;   in Loop: Header=BB12_1288 Depth=1
	s_or_b32 exec_lo, exec_lo, s5
	v_readfirstlane_b32 s5, v0
	s_cmp_eq_u32 s5, 0
	s_cbranch_scc1 .LBB12_1287
; %bb.1286:                             ;   in Loop: Header=BB12_1288 Depth=1
	s_sleep 1
	s_cbranch_execnz .LBB12_1288
	s_branch .LBB12_1290
.LBB12_1287:
	s_branch .LBB12_1290
.LBB12_1288:                            ; =>This Inner Loop Header: Depth=1
	v_mov_b32_e32 v0, 1
	s_and_saveexec_b32 s5, s4
	s_cbranch_execz .LBB12_1285
; %bb.1289:                             ;   in Loop: Header=BB12_1288 Depth=1
	global_load_dword v0, v[8:9], off offset:20 glc dlc
	s_waitcnt vmcnt(0)
	buffer_gl1_inv
	buffer_gl0_inv
	v_and_b32_e32 v0, 1, v0
	s_branch .LBB12_1285
.LBB12_1290:
	global_load_dwordx2 v[2:3], v[6:7], off
	s_and_saveexec_b32 s5, s4
	s_cbranch_execz .LBB12_1294
; %bb.1291:
	v_mov_b32_e32 v8, 0
	s_clause 0x2
	global_load_dwordx2 v[0:1], v8, s[6:7] offset:40
	global_load_dwordx2 v[9:10], v8, s[6:7] offset:24 glc dlc
	global_load_dwordx2 v[6:7], v8, s[6:7]
	s_waitcnt vmcnt(2)
	v_add_co_u32 v11, vcc_lo, v0, 1
	v_add_co_ci_u32_e32 v12, vcc_lo, 0, v1, vcc_lo
	v_add_co_u32 v4, vcc_lo, v11, s8
	v_add_co_ci_u32_e32 v5, vcc_lo, s9, v12, vcc_lo
	v_cmp_eq_u64_e32 vcc_lo, 0, v[4:5]
	v_cndmask_b32_e32 v5, v5, v12, vcc_lo
	v_cndmask_b32_e32 v4, v4, v11, vcc_lo
	v_and_b32_e32 v1, v5, v1
	v_and_b32_e32 v0, v4, v0
	v_mul_lo_u32 v1, v1, 24
	v_mul_hi_u32 v11, v0, 24
	v_mul_lo_u32 v0, v0, 24
	v_add_nc_u32_e32 v1, v11, v1
	s_waitcnt vmcnt(0)
	v_add_co_u32 v0, vcc_lo, v6, v0
	v_mov_b32_e32 v6, v9
	v_add_co_ci_u32_e32 v1, vcc_lo, v7, v1, vcc_lo
	v_mov_b32_e32 v7, v10
	global_store_dwordx2 v[0:1], v[9:10], off
	s_waitcnt_vscnt null, 0x0
	global_atomic_cmpswap_x2 v[6:7], v8, v[4:7], s[6:7] offset:24 glc
	s_waitcnt vmcnt(0)
	v_cmp_ne_u64_e32 vcc_lo, v[6:7], v[9:10]
	s_and_b32 exec_lo, exec_lo, vcc_lo
	s_cbranch_execz .LBB12_1294
; %bb.1292:
	s_mov_b32 s4, 0
.LBB12_1293:                            ; =>This Inner Loop Header: Depth=1
	s_sleep 1
	global_store_dwordx2 v[0:1], v[6:7], off
	s_waitcnt_vscnt null, 0x0
	global_atomic_cmpswap_x2 v[9:10], v8, v[4:7], s[6:7] offset:24 glc
	s_waitcnt vmcnt(0)
	v_cmp_eq_u64_e32 vcc_lo, v[9:10], v[6:7]
	v_mov_b32_e32 v6, v9
	v_mov_b32_e32 v7, v10
	s_or_b32 s4, vcc_lo, s4
	s_andn2_b32 exec_lo, exec_lo, s4
	s_cbranch_execnz .LBB12_1293
.LBB12_1294:
	s_or_b32 exec_lo, exec_lo, s5
.LBB12_1295:
	v_readfirstlane_b32 s4, v32
	s_waitcnt vmcnt(0)
	v_mov_b32_e32 v0, 0
	v_mov_b32_e32 v1, 0
	v_cmp_eq_u32_e64 s4, s4, v32
	s_and_saveexec_b32 s5, s4
	s_cbranch_execz .LBB12_1301
; %bb.1296:
	v_mov_b32_e32 v4, 0
	s_mov_b32 s8, exec_lo
	global_load_dwordx2 v[7:8], v4, s[6:7] offset:24 glc dlc
	s_waitcnt vmcnt(0)
	buffer_gl1_inv
	buffer_gl0_inv
	s_clause 0x1
	global_load_dwordx2 v[0:1], v4, s[6:7] offset:40
	global_load_dwordx2 v[5:6], v4, s[6:7]
	s_waitcnt vmcnt(1)
	v_and_b32_e32 v1, v1, v8
	v_and_b32_e32 v0, v0, v7
	v_mul_lo_u32 v1, v1, 24
	v_mul_hi_u32 v9, v0, 24
	v_mul_lo_u32 v0, v0, 24
	v_add_nc_u32_e32 v1, v9, v1
	s_waitcnt vmcnt(0)
	v_add_co_u32 v0, vcc_lo, v5, v0
	v_add_co_ci_u32_e32 v1, vcc_lo, v6, v1, vcc_lo
	global_load_dwordx2 v[5:6], v[0:1], off glc dlc
	s_waitcnt vmcnt(0)
	global_atomic_cmpswap_x2 v[0:1], v4, v[5:8], s[6:7] offset:24 glc
	s_waitcnt vmcnt(0)
	buffer_gl1_inv
	buffer_gl0_inv
	v_cmpx_ne_u64_e64 v[0:1], v[7:8]
	s_cbranch_execz .LBB12_1300
; %bb.1297:
	s_mov_b32 s9, 0
.LBB12_1298:                            ; =>This Inner Loop Header: Depth=1
	s_sleep 1
	s_clause 0x1
	global_load_dwordx2 v[5:6], v4, s[6:7] offset:40
	global_load_dwordx2 v[9:10], v4, s[6:7]
	v_mov_b32_e32 v8, v1
	v_mov_b32_e32 v7, v0
	s_waitcnt vmcnt(1)
	v_and_b32_e32 v0, v5, v7
	v_and_b32_e32 v5, v6, v8
	s_waitcnt vmcnt(0)
	v_mad_u64_u32 v[0:1], null, v0, 24, v[9:10]
	v_mad_u64_u32 v[5:6], null, v5, 24, v[1:2]
	v_mov_b32_e32 v1, v5
	global_load_dwordx2 v[5:6], v[0:1], off glc dlc
	s_waitcnt vmcnt(0)
	global_atomic_cmpswap_x2 v[0:1], v4, v[5:8], s[6:7] offset:24 glc
	s_waitcnt vmcnt(0)
	buffer_gl1_inv
	buffer_gl0_inv
	v_cmp_eq_u64_e32 vcc_lo, v[0:1], v[7:8]
	s_or_b32 s9, vcc_lo, s9
	s_andn2_b32 exec_lo, exec_lo, s9
	s_cbranch_execnz .LBB12_1298
; %bb.1299:
	s_or_b32 exec_lo, exec_lo, s9
.LBB12_1300:
	s_or_b32 exec_lo, exec_lo, s8
.LBB12_1301:
	s_or_b32 exec_lo, exec_lo, s5
	v_mov_b32_e32 v5, 0
	v_readfirstlane_b32 s8, v0
	v_readfirstlane_b32 s9, v1
	s_mov_b32 s5, exec_lo
	s_clause 0x1
	global_load_dwordx2 v[10:11], v5, s[6:7] offset:40
	global_load_dwordx4 v[6:9], v5, s[6:7]
	s_waitcnt vmcnt(1)
	v_readfirstlane_b32 s10, v10
	v_readfirstlane_b32 s11, v11
	s_and_b64 s[10:11], s[8:9], s[10:11]
	s_mul_i32 s12, s11, 24
	s_mul_hi_u32 s13, s10, 24
	s_mul_i32 s14, s10, 24
	s_add_i32 s13, s13, s12
	s_waitcnt vmcnt(0)
	v_add_co_u32 v10, vcc_lo, v6, s14
	v_add_co_ci_u32_e32 v11, vcc_lo, s13, v7, vcc_lo
	s_and_saveexec_b32 s12, s4
	s_cbranch_execz .LBB12_1303
; %bb.1302:
	v_mov_b32_e32 v4, s5
	v_mov_b32_e32 v13, v5
	;; [unrolled: 1-line block ×5, first 2 shown]
	global_store_dwordx4 v[10:11], v[12:15], off offset:8
.LBB12_1303:
	s_or_b32 exec_lo, exec_lo, s12
	s_lshl_b64 s[10:11], s[10:11], 12
	s_mov_b32 s12, 0
	v_add_co_u32 v0, vcc_lo, v8, s10
	v_add_co_ci_u32_e32 v1, vcc_lo, s11, v9, vcc_lo
	s_mov_b32 s13, s12
	s_mov_b32 s14, s12
	;; [unrolled: 1-line block ×3, first 2 shown]
	v_and_or_b32 v2, 0xffffff1d, v2, 34
	v_mov_b32_e32 v4, 10
	v_readfirstlane_b32 s10, v0
	v_readfirstlane_b32 s11, v1
	v_mov_b32_e32 v12, s12
	v_mov_b32_e32 v13, s13
	;; [unrolled: 1-line block ×4, first 2 shown]
	global_store_dwordx4 v31, v[2:5], s[10:11]
	global_store_dwordx4 v31, v[12:15], s[10:11] offset:16
	global_store_dwordx4 v31, v[12:15], s[10:11] offset:32
	;; [unrolled: 1-line block ×3, first 2 shown]
	s_and_saveexec_b32 s5, s4
	s_cbranch_execz .LBB12_1311
; %bb.1304:
	v_mov_b32_e32 v8, 0
	v_mov_b32_e32 v12, s8
	;; [unrolled: 1-line block ×3, first 2 shown]
	s_clause 0x1
	global_load_dwordx2 v[14:15], v8, s[6:7] offset:32 glc dlc
	global_load_dwordx2 v[0:1], v8, s[6:7] offset:40
	s_waitcnt vmcnt(0)
	v_readfirstlane_b32 s10, v0
	v_readfirstlane_b32 s11, v1
	s_and_b64 s[10:11], s[10:11], s[8:9]
	s_mul_i32 s11, s11, 24
	s_mul_hi_u32 s12, s10, 24
	s_mul_i32 s10, s10, 24
	s_add_i32 s12, s12, s11
	v_add_co_u32 v4, vcc_lo, v6, s10
	v_add_co_ci_u32_e32 v5, vcc_lo, s12, v7, vcc_lo
	s_mov_b32 s10, exec_lo
	global_store_dwordx2 v[4:5], v[14:15], off
	s_waitcnt_vscnt null, 0x0
	global_atomic_cmpswap_x2 v[2:3], v8, v[12:15], s[6:7] offset:32 glc
	s_waitcnt vmcnt(0)
	v_cmpx_ne_u64_e64 v[2:3], v[14:15]
	s_cbranch_execz .LBB12_1307
; %bb.1305:
	s_mov_b32 s11, 0
.LBB12_1306:                            ; =>This Inner Loop Header: Depth=1
	v_mov_b32_e32 v0, s8
	v_mov_b32_e32 v1, s9
	s_sleep 1
	global_store_dwordx2 v[4:5], v[2:3], off
	s_waitcnt_vscnt null, 0x0
	global_atomic_cmpswap_x2 v[0:1], v8, v[0:3], s[6:7] offset:32 glc
	s_waitcnt vmcnt(0)
	v_cmp_eq_u64_e32 vcc_lo, v[0:1], v[2:3]
	v_mov_b32_e32 v3, v1
	v_mov_b32_e32 v2, v0
	s_or_b32 s11, vcc_lo, s11
	s_andn2_b32 exec_lo, exec_lo, s11
	s_cbranch_execnz .LBB12_1306
.LBB12_1307:
	s_or_b32 exec_lo, exec_lo, s10
	v_mov_b32_e32 v3, 0
	s_mov_b32 s11, exec_lo
	s_mov_b32 s10, exec_lo
	v_mbcnt_lo_u32_b32 v2, s11, 0
	global_load_dwordx2 v[0:1], v3, s[6:7] offset:16
	v_cmpx_eq_u32_e32 0, v2
	s_cbranch_execz .LBB12_1309
; %bb.1308:
	s_bcnt1_i32_b32 s11, s11
	v_mov_b32_e32 v2, s11
	s_waitcnt vmcnt(0)
	global_atomic_add_x2 v[0:1], v[2:3], off offset:8
.LBB12_1309:
	s_or_b32 exec_lo, exec_lo, s10
	s_waitcnt vmcnt(0)
	global_load_dwordx2 v[2:3], v[0:1], off offset:16
	s_waitcnt vmcnt(0)
	v_cmp_eq_u64_e32 vcc_lo, 0, v[2:3]
	s_cbranch_vccnz .LBB12_1311
; %bb.1310:
	global_load_dword v0, v[0:1], off offset:24
	v_mov_b32_e32 v1, 0
	s_waitcnt vmcnt(0)
	v_and_b32_e32 v4, 0x7fffff, v0
	s_waitcnt_vscnt null, 0x0
	global_store_dwordx2 v[2:3], v[0:1], off
	v_readfirstlane_b32 m0, v4
	s_sendmsg sendmsg(MSG_INTERRUPT)
.LBB12_1311:
	s_or_b32 exec_lo, exec_lo, s5
	s_branch .LBB12_1315
	.p2align	6
.LBB12_1312:                            ;   in Loop: Header=BB12_1315 Depth=1
	s_or_b32 exec_lo, exec_lo, s5
	v_readfirstlane_b32 s5, v0
	s_cmp_eq_u32 s5, 0
	s_cbranch_scc1 .LBB12_1314
; %bb.1313:                             ;   in Loop: Header=BB12_1315 Depth=1
	s_sleep 1
	s_cbranch_execnz .LBB12_1315
	s_branch .LBB12_1317
	.p2align	6
.LBB12_1314:
	s_branch .LBB12_1317
.LBB12_1315:                            ; =>This Inner Loop Header: Depth=1
	v_mov_b32_e32 v0, 1
	s_and_saveexec_b32 s5, s4
	s_cbranch_execz .LBB12_1312
; %bb.1316:                             ;   in Loop: Header=BB12_1315 Depth=1
	global_load_dword v0, v[10:11], off offset:20 glc dlc
	s_waitcnt vmcnt(0)
	buffer_gl1_inv
	buffer_gl0_inv
	v_and_b32_e32 v0, 1, v0
	s_branch .LBB12_1312
.LBB12_1317:
	s_and_saveexec_b32 s5, s4
	s_cbranch_execz .LBB12_1321
; %bb.1318:
	v_mov_b32_e32 v6, 0
	s_clause 0x2
	global_load_dwordx2 v[2:3], v6, s[6:7] offset:40
	global_load_dwordx2 v[7:8], v6, s[6:7] offset:24 glc dlc
	global_load_dwordx2 v[4:5], v6, s[6:7]
	s_waitcnt vmcnt(2)
	v_add_co_u32 v9, vcc_lo, v2, 1
	v_add_co_ci_u32_e32 v10, vcc_lo, 0, v3, vcc_lo
	v_add_co_u32 v0, vcc_lo, v9, s8
	v_add_co_ci_u32_e32 v1, vcc_lo, s9, v10, vcc_lo
	v_cmp_eq_u64_e32 vcc_lo, 0, v[0:1]
	v_cndmask_b32_e32 v1, v1, v10, vcc_lo
	v_cndmask_b32_e32 v0, v0, v9, vcc_lo
	v_and_b32_e32 v3, v1, v3
	v_and_b32_e32 v2, v0, v2
	v_mul_lo_u32 v3, v3, 24
	v_mul_hi_u32 v9, v2, 24
	v_mul_lo_u32 v2, v2, 24
	v_add_nc_u32_e32 v3, v9, v3
	s_waitcnt vmcnt(0)
	v_add_co_u32 v4, vcc_lo, v4, v2
	v_mov_b32_e32 v2, v7
	v_add_co_ci_u32_e32 v5, vcc_lo, v5, v3, vcc_lo
	v_mov_b32_e32 v3, v8
	global_store_dwordx2 v[4:5], v[7:8], off
	s_waitcnt_vscnt null, 0x0
	global_atomic_cmpswap_x2 v[2:3], v6, v[0:3], s[6:7] offset:24 glc
	s_waitcnt vmcnt(0)
	v_cmp_ne_u64_e32 vcc_lo, v[2:3], v[7:8]
	s_and_b32 exec_lo, exec_lo, vcc_lo
	s_cbranch_execz .LBB12_1321
; %bb.1319:
	s_mov_b32 s4, 0
.LBB12_1320:                            ; =>This Inner Loop Header: Depth=1
	s_sleep 1
	global_store_dwordx2 v[4:5], v[2:3], off
	s_waitcnt_vscnt null, 0x0
	global_atomic_cmpswap_x2 v[7:8], v6, v[0:3], s[6:7] offset:24 glc
	s_waitcnt vmcnt(0)
	v_cmp_eq_u64_e32 vcc_lo, v[7:8], v[2:3]
	v_mov_b32_e32 v2, v7
	v_mov_b32_e32 v3, v8
	s_or_b32 s4, vcc_lo, s4
	s_andn2_b32 exec_lo, exec_lo, s4
	s_cbranch_execnz .LBB12_1320
.LBB12_1321:
	s_or_b32 exec_lo, exec_lo, s5
	v_readfirstlane_b32 s4, v32
	v_mov_b32_e32 v6, 0
	v_mov_b32_e32 v7, 0
	v_cmp_eq_u32_e64 s4, s4, v32
	s_and_saveexec_b32 s5, s4
	s_cbranch_execz .LBB12_1327
; %bb.1322:
	v_mov_b32_e32 v0, 0
	s_mov_b32 s8, exec_lo
	global_load_dwordx2 v[3:4], v0, s[6:7] offset:24 glc dlc
	s_waitcnt vmcnt(0)
	buffer_gl1_inv
	buffer_gl0_inv
	s_clause 0x1
	global_load_dwordx2 v[1:2], v0, s[6:7] offset:40
	global_load_dwordx2 v[5:6], v0, s[6:7]
	s_waitcnt vmcnt(1)
	v_and_b32_e32 v2, v2, v4
	v_and_b32_e32 v1, v1, v3
	v_mul_lo_u32 v2, v2, 24
	v_mul_hi_u32 v7, v1, 24
	v_mul_lo_u32 v1, v1, 24
	v_add_nc_u32_e32 v2, v7, v2
	s_waitcnt vmcnt(0)
	v_add_co_u32 v1, vcc_lo, v5, v1
	v_add_co_ci_u32_e32 v2, vcc_lo, v6, v2, vcc_lo
	global_load_dwordx2 v[1:2], v[1:2], off glc dlc
	s_waitcnt vmcnt(0)
	global_atomic_cmpswap_x2 v[6:7], v0, v[1:4], s[6:7] offset:24 glc
	s_waitcnt vmcnt(0)
	buffer_gl1_inv
	buffer_gl0_inv
	v_cmpx_ne_u64_e64 v[6:7], v[3:4]
	s_cbranch_execz .LBB12_1326
; %bb.1323:
	s_mov_b32 s9, 0
.LBB12_1324:                            ; =>This Inner Loop Header: Depth=1
	s_sleep 1
	s_clause 0x1
	global_load_dwordx2 v[1:2], v0, s[6:7] offset:40
	global_load_dwordx2 v[8:9], v0, s[6:7]
	v_mov_b32_e32 v3, v6
	v_mov_b32_e32 v4, v7
	s_waitcnt vmcnt(1)
	v_and_b32_e32 v1, v1, v3
	v_and_b32_e32 v2, v2, v4
	s_waitcnt vmcnt(0)
	v_mad_u64_u32 v[5:6], null, v1, 24, v[8:9]
	v_mov_b32_e32 v1, v6
	v_mad_u64_u32 v[1:2], null, v2, 24, v[1:2]
	v_mov_b32_e32 v6, v1
	global_load_dwordx2 v[1:2], v[5:6], off glc dlc
	s_waitcnt vmcnt(0)
	global_atomic_cmpswap_x2 v[6:7], v0, v[1:4], s[6:7] offset:24 glc
	s_waitcnt vmcnt(0)
	buffer_gl1_inv
	buffer_gl0_inv
	v_cmp_eq_u64_e32 vcc_lo, v[6:7], v[3:4]
	s_or_b32 s9, vcc_lo, s9
	s_andn2_b32 exec_lo, exec_lo, s9
	s_cbranch_execnz .LBB12_1324
; %bb.1325:
	s_or_b32 exec_lo, exec_lo, s9
.LBB12_1326:
	s_or_b32 exec_lo, exec_lo, s8
.LBB12_1327:
	s_or_b32 exec_lo, exec_lo, s5
	v_mov_b32_e32 v5, 0
	v_readfirstlane_b32 s8, v6
	v_readfirstlane_b32 s9, v7
	s_mov_b32 s5, exec_lo
	s_clause 0x1
	global_load_dwordx2 v[8:9], v5, s[6:7] offset:40
	global_load_dwordx4 v[0:3], v5, s[6:7]
	s_waitcnt vmcnt(1)
	v_readfirstlane_b32 s10, v8
	v_readfirstlane_b32 s11, v9
	s_and_b64 s[10:11], s[8:9], s[10:11]
	s_mul_i32 s12, s11, 24
	s_mul_hi_u32 s13, s10, 24
	s_mul_i32 s14, s10, 24
	s_add_i32 s13, s13, s12
	s_waitcnt vmcnt(0)
	v_add_co_u32 v8, vcc_lo, v0, s14
	v_add_co_ci_u32_e32 v9, vcc_lo, s13, v1, vcc_lo
	s_and_saveexec_b32 s12, s4
	s_cbranch_execz .LBB12_1329
; %bb.1328:
	v_mov_b32_e32 v4, s5
	v_mov_b32_e32 v6, 2
	;; [unrolled: 1-line block ×3, first 2 shown]
	global_store_dwordx4 v[8:9], v[4:7], off offset:8
.LBB12_1329:
	s_or_b32 exec_lo, exec_lo, s12
	s_lshl_b64 s[10:11], s[10:11], 12
	s_mov_b32 s12, 0
	v_add_co_u32 v2, vcc_lo, v2, s10
	v_add_co_ci_u32_e32 v3, vcc_lo, s11, v3, vcc_lo
	s_mov_b32 s13, s12
	v_add_co_u32 v10, vcc_lo, v2, v31
	s_mov_b32 s14, s12
	s_mov_b32 s15, s12
	v_mov_b32_e32 v4, 33
	v_mov_b32_e32 v6, v5
	;; [unrolled: 1-line block ×3, first 2 shown]
	v_readfirstlane_b32 s10, v2
	v_readfirstlane_b32 s11, v3
	v_mov_b32_e32 v12, s12
	v_add_co_ci_u32_e32 v11, vcc_lo, 0, v3, vcc_lo
	v_mov_b32_e32 v13, s13
	v_mov_b32_e32 v14, s14
	;; [unrolled: 1-line block ×3, first 2 shown]
	global_store_dwordx4 v31, v[4:7], s[10:11]
	global_store_dwordx4 v31, v[12:15], s[10:11] offset:16
	global_store_dwordx4 v31, v[12:15], s[10:11] offset:32
	;; [unrolled: 1-line block ×3, first 2 shown]
	s_and_saveexec_b32 s5, s4
	s_cbranch_execz .LBB12_1337
; %bb.1330:
	v_mov_b32_e32 v6, 0
	v_mov_b32_e32 v12, s8
	;; [unrolled: 1-line block ×3, first 2 shown]
	s_clause 0x1
	global_load_dwordx2 v[14:15], v6, s[6:7] offset:32 glc dlc
	global_load_dwordx2 v[2:3], v6, s[6:7] offset:40
	s_waitcnt vmcnt(0)
	v_readfirstlane_b32 s10, v2
	v_readfirstlane_b32 s11, v3
	s_and_b64 s[10:11], s[10:11], s[8:9]
	s_mul_i32 s11, s11, 24
	s_mul_hi_u32 s12, s10, 24
	s_mul_i32 s10, s10, 24
	s_add_i32 s12, s12, s11
	v_add_co_u32 v4, vcc_lo, v0, s10
	v_add_co_ci_u32_e32 v5, vcc_lo, s12, v1, vcc_lo
	s_mov_b32 s10, exec_lo
	global_store_dwordx2 v[4:5], v[14:15], off
	s_waitcnt_vscnt null, 0x0
	global_atomic_cmpswap_x2 v[2:3], v6, v[12:15], s[6:7] offset:32 glc
	s_waitcnt vmcnt(0)
	v_cmpx_ne_u64_e64 v[2:3], v[14:15]
	s_cbranch_execz .LBB12_1333
; %bb.1331:
	s_mov_b32 s11, 0
.LBB12_1332:                            ; =>This Inner Loop Header: Depth=1
	v_mov_b32_e32 v0, s8
	v_mov_b32_e32 v1, s9
	s_sleep 1
	global_store_dwordx2 v[4:5], v[2:3], off
	s_waitcnt_vscnt null, 0x0
	global_atomic_cmpswap_x2 v[0:1], v6, v[0:3], s[6:7] offset:32 glc
	s_waitcnt vmcnt(0)
	v_cmp_eq_u64_e32 vcc_lo, v[0:1], v[2:3]
	v_mov_b32_e32 v3, v1
	v_mov_b32_e32 v2, v0
	s_or_b32 s11, vcc_lo, s11
	s_andn2_b32 exec_lo, exec_lo, s11
	s_cbranch_execnz .LBB12_1332
.LBB12_1333:
	s_or_b32 exec_lo, exec_lo, s10
	v_mov_b32_e32 v3, 0
	s_mov_b32 s11, exec_lo
	s_mov_b32 s10, exec_lo
	v_mbcnt_lo_u32_b32 v2, s11, 0
	global_load_dwordx2 v[0:1], v3, s[6:7] offset:16
	v_cmpx_eq_u32_e32 0, v2
	s_cbranch_execz .LBB12_1335
; %bb.1334:
	s_bcnt1_i32_b32 s11, s11
	v_mov_b32_e32 v2, s11
	s_waitcnt vmcnt(0)
	global_atomic_add_x2 v[0:1], v[2:3], off offset:8
.LBB12_1335:
	s_or_b32 exec_lo, exec_lo, s10
	s_waitcnt vmcnt(0)
	global_load_dwordx2 v[2:3], v[0:1], off offset:16
	s_waitcnt vmcnt(0)
	v_cmp_eq_u64_e32 vcc_lo, 0, v[2:3]
	s_cbranch_vccnz .LBB12_1337
; %bb.1336:
	global_load_dword v0, v[0:1], off offset:24
	v_mov_b32_e32 v1, 0
	s_waitcnt vmcnt(0)
	v_and_b32_e32 v4, 0x7fffff, v0
	s_waitcnt_vscnt null, 0x0
	global_store_dwordx2 v[2:3], v[0:1], off
	v_readfirstlane_b32 m0, v4
	s_sendmsg sendmsg(MSG_INTERRUPT)
.LBB12_1337:
	s_or_b32 exec_lo, exec_lo, s5
	s_branch .LBB12_1341
	.p2align	6
.LBB12_1338:                            ;   in Loop: Header=BB12_1341 Depth=1
	s_or_b32 exec_lo, exec_lo, s5
	v_readfirstlane_b32 s5, v0
	s_cmp_eq_u32 s5, 0
	s_cbranch_scc1 .LBB12_1340
; %bb.1339:                             ;   in Loop: Header=BB12_1341 Depth=1
	s_sleep 1
	s_cbranch_execnz .LBB12_1341
	s_branch .LBB12_1343
	.p2align	6
.LBB12_1340:
	s_branch .LBB12_1343
.LBB12_1341:                            ; =>This Inner Loop Header: Depth=1
	v_mov_b32_e32 v0, 1
	s_and_saveexec_b32 s5, s4
	s_cbranch_execz .LBB12_1338
; %bb.1342:                             ;   in Loop: Header=BB12_1341 Depth=1
	global_load_dword v0, v[8:9], off offset:20 glc dlc
	s_waitcnt vmcnt(0)
	buffer_gl1_inv
	buffer_gl0_inv
	v_and_b32_e32 v0, 1, v0
	s_branch .LBB12_1338
.LBB12_1343:
	global_load_dwordx2 v[4:5], v[10:11], off
	s_and_saveexec_b32 s5, s4
	s_cbranch_execz .LBB12_1347
; %bb.1344:
	v_mov_b32_e32 v8, 0
	s_clause 0x2
	global_load_dwordx2 v[2:3], v8, s[6:7] offset:40
	global_load_dwordx2 v[9:10], v8, s[6:7] offset:24 glc dlc
	global_load_dwordx2 v[6:7], v8, s[6:7]
	s_waitcnt vmcnt(2)
	v_add_co_u32 v11, vcc_lo, v2, 1
	v_add_co_ci_u32_e32 v12, vcc_lo, 0, v3, vcc_lo
	v_add_co_u32 v0, vcc_lo, v11, s8
	v_add_co_ci_u32_e32 v1, vcc_lo, s9, v12, vcc_lo
	v_cmp_eq_u64_e32 vcc_lo, 0, v[0:1]
	v_cndmask_b32_e32 v1, v1, v12, vcc_lo
	v_cndmask_b32_e32 v0, v0, v11, vcc_lo
	v_and_b32_e32 v3, v1, v3
	v_and_b32_e32 v2, v0, v2
	v_mul_lo_u32 v3, v3, 24
	v_mul_hi_u32 v11, v2, 24
	v_mul_lo_u32 v2, v2, 24
	v_add_nc_u32_e32 v3, v11, v3
	s_waitcnt vmcnt(0)
	v_add_co_u32 v6, vcc_lo, v6, v2
	v_mov_b32_e32 v2, v9
	v_add_co_ci_u32_e32 v7, vcc_lo, v7, v3, vcc_lo
	v_mov_b32_e32 v3, v10
	global_store_dwordx2 v[6:7], v[9:10], off
	s_waitcnt_vscnt null, 0x0
	global_atomic_cmpswap_x2 v[2:3], v8, v[0:3], s[6:7] offset:24 glc
	s_waitcnt vmcnt(0)
	v_cmp_ne_u64_e32 vcc_lo, v[2:3], v[9:10]
	s_and_b32 exec_lo, exec_lo, vcc_lo
	s_cbranch_execz .LBB12_1347
; %bb.1345:
	s_mov_b32 s4, 0
.LBB12_1346:                            ; =>This Inner Loop Header: Depth=1
	s_sleep 1
	global_store_dwordx2 v[6:7], v[2:3], off
	s_waitcnt_vscnt null, 0x0
	global_atomic_cmpswap_x2 v[9:10], v8, v[0:3], s[6:7] offset:24 glc
	s_waitcnt vmcnt(0)
	v_cmp_eq_u64_e32 vcc_lo, v[9:10], v[2:3]
	v_mov_b32_e32 v2, v9
	v_mov_b32_e32 v3, v10
	s_or_b32 s4, vcc_lo, s4
	s_andn2_b32 exec_lo, exec_lo, s4
	s_cbranch_execnz .LBB12_1346
.LBB12_1347:
	s_or_b32 exec_lo, exec_lo, s5
	s_and_b32 vcc_lo, exec_lo, s18
	s_cbranch_vccz .LBB12_1426
; %bb.1348:
	s_waitcnt vmcnt(0)
	v_and_b32_e32 v28, 2, v4
	v_mov_b32_e32 v7, 0
	v_and_b32_e32 v0, -3, v4
	v_mov_b32_e32 v1, v5
	v_mov_b32_e32 v8, 2
	v_mov_b32_e32 v9, 1
	s_mov_b64 s[10:11], 3
	s_getpc_b64 s[8:9]
	s_add_u32 s8, s8, .str.5@rel32@lo+4
	s_addc_u32 s9, s9, .str.5@rel32@hi+12
	s_branch .LBB12_1350
.LBB12_1349:                            ;   in Loop: Header=BB12_1350 Depth=1
	s_or_b32 exec_lo, exec_lo, s5
	s_sub_u32 s10, s10, s12
	s_subb_u32 s11, s11, s13
	s_add_u32 s8, s8, s12
	s_addc_u32 s9, s9, s13
	s_cmp_lg_u64 s[10:11], 0
	s_cbranch_scc0 .LBB12_1425
.LBB12_1350:                            ; =>This Loop Header: Depth=1
                                        ;     Child Loop BB12_1359 Depth 2
                                        ;     Child Loop BB12_1355 Depth 2
	;; [unrolled: 1-line block ×11, first 2 shown]
	v_cmp_lt_u64_e64 s4, s[10:11], 56
	v_cmp_gt_u64_e64 s5, s[10:11], 7
                                        ; implicit-def: $vgpr2_vgpr3
                                        ; implicit-def: $sgpr18
	s_and_b32 s4, s4, exec_lo
	s_cselect_b32 s13, s11, 0
	s_cselect_b32 s12, s10, 56
	s_and_b32 vcc_lo, exec_lo, s5
	s_mov_b32 s4, -1
	s_cbranch_vccz .LBB12_1357
; %bb.1351:                             ;   in Loop: Header=BB12_1350 Depth=1
	s_andn2_b32 vcc_lo, exec_lo, s4
	s_mov_b64 s[4:5], s[8:9]
	s_cbranch_vccz .LBB12_1361
.LBB12_1352:                            ;   in Loop: Header=BB12_1350 Depth=1
	s_cmp_gt_u32 s18, 7
	s_cbranch_scc1 .LBB12_1362
.LBB12_1353:                            ;   in Loop: Header=BB12_1350 Depth=1
	v_mov_b32_e32 v10, 0
	v_mov_b32_e32 v11, 0
	s_cmp_eq_u32 s18, 0
	s_cbranch_scc1 .LBB12_1356
; %bb.1354:                             ;   in Loop: Header=BB12_1350 Depth=1
	s_mov_b64 s[14:15], 0
	s_mov_b64 s[16:17], 0
.LBB12_1355:                            ;   Parent Loop BB12_1350 Depth=1
                                        ; =>  This Inner Loop Header: Depth=2
	s_add_u32 s20, s4, s16
	s_addc_u32 s21, s5, s17
	s_add_u32 s16, s16, 1
	global_load_ubyte v6, v7, s[20:21]
	s_addc_u32 s17, s17, 0
	s_waitcnt vmcnt(0)
	v_and_b32_e32 v6, 0xffff, v6
	v_lshlrev_b64 v[12:13], s14, v[6:7]
	s_add_u32 s14, s14, 8
	s_addc_u32 s15, s15, 0
	s_cmp_lg_u32 s18, s16
	v_or_b32_e32 v10, v12, v10
	v_or_b32_e32 v11, v13, v11
	s_cbranch_scc1 .LBB12_1355
.LBB12_1356:                            ;   in Loop: Header=BB12_1350 Depth=1
	s_mov_b32 s19, 0
	s_cbranch_execz .LBB12_1363
	s_branch .LBB12_1364
.LBB12_1357:                            ;   in Loop: Header=BB12_1350 Depth=1
	s_waitcnt vmcnt(0)
	v_mov_b32_e32 v2, 0
	v_mov_b32_e32 v3, 0
	s_cmp_eq_u64 s[10:11], 0
	s_mov_b64 s[4:5], 0
	s_cbranch_scc1 .LBB12_1360
; %bb.1358:                             ;   in Loop: Header=BB12_1350 Depth=1
	v_mov_b32_e32 v2, 0
	v_mov_b32_e32 v3, 0
	s_lshl_b64 s[14:15], s[12:13], 3
	s_mov_b64 s[16:17], s[8:9]
.LBB12_1359:                            ;   Parent Loop BB12_1350 Depth=1
                                        ; =>  This Inner Loop Header: Depth=2
	global_load_ubyte v6, v7, s[16:17]
	s_waitcnt vmcnt(0)
	v_and_b32_e32 v6, 0xffff, v6
	v_lshlrev_b64 v[10:11], s4, v[6:7]
	s_add_u32 s4, s4, 8
	s_addc_u32 s5, s5, 0
	s_add_u32 s16, s16, 1
	s_addc_u32 s17, s17, 0
	s_cmp_lg_u32 s14, s4
	v_or_b32_e32 v2, v10, v2
	v_or_b32_e32 v3, v11, v3
	s_cbranch_scc1 .LBB12_1359
.LBB12_1360:                            ;   in Loop: Header=BB12_1350 Depth=1
	s_mov_b32 s18, 0
	s_mov_b64 s[4:5], s[8:9]
	s_cbranch_execnz .LBB12_1352
.LBB12_1361:                            ;   in Loop: Header=BB12_1350 Depth=1
	global_load_dwordx2 v[2:3], v7, s[8:9]
	s_add_i32 s18, s12, -8
	s_add_u32 s4, s8, 8
	s_addc_u32 s5, s9, 0
	s_cmp_gt_u32 s18, 7
	s_cbranch_scc0 .LBB12_1353
.LBB12_1362:                            ;   in Loop: Header=BB12_1350 Depth=1
                                        ; implicit-def: $vgpr10_vgpr11
                                        ; implicit-def: $sgpr19
.LBB12_1363:                            ;   in Loop: Header=BB12_1350 Depth=1
	global_load_dwordx2 v[10:11], v7, s[4:5]
	s_add_i32 s19, s18, -8
	s_add_u32 s4, s4, 8
	s_addc_u32 s5, s5, 0
.LBB12_1364:                            ;   in Loop: Header=BB12_1350 Depth=1
	s_cmp_gt_u32 s19, 7
	s_cbranch_scc1 .LBB12_1369
; %bb.1365:                             ;   in Loop: Header=BB12_1350 Depth=1
	v_mov_b32_e32 v12, 0
	v_mov_b32_e32 v13, 0
	s_cmp_eq_u32 s19, 0
	s_cbranch_scc1 .LBB12_1368
; %bb.1366:                             ;   in Loop: Header=BB12_1350 Depth=1
	s_mov_b64 s[14:15], 0
	s_mov_b64 s[16:17], 0
.LBB12_1367:                            ;   Parent Loop BB12_1350 Depth=1
                                        ; =>  This Inner Loop Header: Depth=2
	s_add_u32 s20, s4, s16
	s_addc_u32 s21, s5, s17
	s_add_u32 s16, s16, 1
	global_load_ubyte v6, v7, s[20:21]
	s_addc_u32 s17, s17, 0
	s_waitcnt vmcnt(0)
	v_and_b32_e32 v6, 0xffff, v6
	v_lshlrev_b64 v[14:15], s14, v[6:7]
	s_add_u32 s14, s14, 8
	s_addc_u32 s15, s15, 0
	s_cmp_lg_u32 s19, s16
	v_or_b32_e32 v12, v14, v12
	v_or_b32_e32 v13, v15, v13
	s_cbranch_scc1 .LBB12_1367
.LBB12_1368:                            ;   in Loop: Header=BB12_1350 Depth=1
	s_mov_b32 s18, 0
	s_cbranch_execz .LBB12_1370
	s_branch .LBB12_1371
.LBB12_1369:                            ;   in Loop: Header=BB12_1350 Depth=1
                                        ; implicit-def: $sgpr18
.LBB12_1370:                            ;   in Loop: Header=BB12_1350 Depth=1
	global_load_dwordx2 v[12:13], v7, s[4:5]
	s_add_i32 s18, s19, -8
	s_add_u32 s4, s4, 8
	s_addc_u32 s5, s5, 0
.LBB12_1371:                            ;   in Loop: Header=BB12_1350 Depth=1
	s_cmp_gt_u32 s18, 7
	s_cbranch_scc1 .LBB12_1376
; %bb.1372:                             ;   in Loop: Header=BB12_1350 Depth=1
	v_mov_b32_e32 v14, 0
	v_mov_b32_e32 v15, 0
	s_cmp_eq_u32 s18, 0
	s_cbranch_scc1 .LBB12_1375
; %bb.1373:                             ;   in Loop: Header=BB12_1350 Depth=1
	s_mov_b64 s[14:15], 0
	s_mov_b64 s[16:17], 0
.LBB12_1374:                            ;   Parent Loop BB12_1350 Depth=1
                                        ; =>  This Inner Loop Header: Depth=2
	s_add_u32 s20, s4, s16
	s_addc_u32 s21, s5, s17
	s_add_u32 s16, s16, 1
	global_load_ubyte v6, v7, s[20:21]
	s_addc_u32 s17, s17, 0
	s_waitcnt vmcnt(0)
	v_and_b32_e32 v6, 0xffff, v6
	v_lshlrev_b64 v[16:17], s14, v[6:7]
	s_add_u32 s14, s14, 8
	s_addc_u32 s15, s15, 0
	s_cmp_lg_u32 s18, s16
	v_or_b32_e32 v14, v16, v14
	v_or_b32_e32 v15, v17, v15
	s_cbranch_scc1 .LBB12_1374
.LBB12_1375:                            ;   in Loop: Header=BB12_1350 Depth=1
	s_mov_b32 s19, 0
	s_cbranch_execz .LBB12_1377
	s_branch .LBB12_1378
.LBB12_1376:                            ;   in Loop: Header=BB12_1350 Depth=1
                                        ; implicit-def: $vgpr14_vgpr15
                                        ; implicit-def: $sgpr19
.LBB12_1377:                            ;   in Loop: Header=BB12_1350 Depth=1
	global_load_dwordx2 v[14:15], v7, s[4:5]
	s_add_i32 s19, s18, -8
	s_add_u32 s4, s4, 8
	s_addc_u32 s5, s5, 0
.LBB12_1378:                            ;   in Loop: Header=BB12_1350 Depth=1
	s_cmp_gt_u32 s19, 7
	s_cbranch_scc1 .LBB12_1383
; %bb.1379:                             ;   in Loop: Header=BB12_1350 Depth=1
	v_mov_b32_e32 v16, 0
	v_mov_b32_e32 v17, 0
	s_cmp_eq_u32 s19, 0
	s_cbranch_scc1 .LBB12_1382
; %bb.1380:                             ;   in Loop: Header=BB12_1350 Depth=1
	s_mov_b64 s[14:15], 0
	s_mov_b64 s[16:17], 0
.LBB12_1381:                            ;   Parent Loop BB12_1350 Depth=1
                                        ; =>  This Inner Loop Header: Depth=2
	s_add_u32 s20, s4, s16
	s_addc_u32 s21, s5, s17
	s_add_u32 s16, s16, 1
	global_load_ubyte v6, v7, s[20:21]
	s_addc_u32 s17, s17, 0
	s_waitcnt vmcnt(0)
	v_and_b32_e32 v6, 0xffff, v6
	v_lshlrev_b64 v[18:19], s14, v[6:7]
	s_add_u32 s14, s14, 8
	s_addc_u32 s15, s15, 0
	s_cmp_lg_u32 s19, s16
	v_or_b32_e32 v16, v18, v16
	v_or_b32_e32 v17, v19, v17
	s_cbranch_scc1 .LBB12_1381
.LBB12_1382:                            ;   in Loop: Header=BB12_1350 Depth=1
	s_mov_b32 s18, 0
	s_cbranch_execz .LBB12_1384
	s_branch .LBB12_1385
.LBB12_1383:                            ;   in Loop: Header=BB12_1350 Depth=1
                                        ; implicit-def: $sgpr18
.LBB12_1384:                            ;   in Loop: Header=BB12_1350 Depth=1
	global_load_dwordx2 v[16:17], v7, s[4:5]
	s_add_i32 s18, s19, -8
	s_add_u32 s4, s4, 8
	s_addc_u32 s5, s5, 0
.LBB12_1385:                            ;   in Loop: Header=BB12_1350 Depth=1
	s_cmp_gt_u32 s18, 7
	s_cbranch_scc1 .LBB12_1390
; %bb.1386:                             ;   in Loop: Header=BB12_1350 Depth=1
	v_mov_b32_e32 v18, 0
	v_mov_b32_e32 v19, 0
	s_cmp_eq_u32 s18, 0
	s_cbranch_scc1 .LBB12_1389
; %bb.1387:                             ;   in Loop: Header=BB12_1350 Depth=1
	s_mov_b64 s[14:15], 0
	s_mov_b64 s[16:17], 0
.LBB12_1388:                            ;   Parent Loop BB12_1350 Depth=1
                                        ; =>  This Inner Loop Header: Depth=2
	s_add_u32 s20, s4, s16
	s_addc_u32 s21, s5, s17
	s_add_u32 s16, s16, 1
	global_load_ubyte v6, v7, s[20:21]
	s_addc_u32 s17, s17, 0
	s_waitcnt vmcnt(0)
	v_and_b32_e32 v6, 0xffff, v6
	v_lshlrev_b64 v[20:21], s14, v[6:7]
	s_add_u32 s14, s14, 8
	s_addc_u32 s15, s15, 0
	s_cmp_lg_u32 s18, s16
	v_or_b32_e32 v18, v20, v18
	v_or_b32_e32 v19, v21, v19
	s_cbranch_scc1 .LBB12_1388
.LBB12_1389:                            ;   in Loop: Header=BB12_1350 Depth=1
	s_mov_b32 s19, 0
	s_cbranch_execz .LBB12_1391
	s_branch .LBB12_1392
.LBB12_1390:                            ;   in Loop: Header=BB12_1350 Depth=1
                                        ; implicit-def: $vgpr18_vgpr19
                                        ; implicit-def: $sgpr19
.LBB12_1391:                            ;   in Loop: Header=BB12_1350 Depth=1
	global_load_dwordx2 v[18:19], v7, s[4:5]
	s_add_i32 s19, s18, -8
	s_add_u32 s4, s4, 8
	s_addc_u32 s5, s5, 0
.LBB12_1392:                            ;   in Loop: Header=BB12_1350 Depth=1
	s_cmp_gt_u32 s19, 7
	s_cbranch_scc1 .LBB12_1397
; %bb.1393:                             ;   in Loop: Header=BB12_1350 Depth=1
	v_mov_b32_e32 v20, 0
	v_mov_b32_e32 v21, 0
	s_cmp_eq_u32 s19, 0
	s_cbranch_scc1 .LBB12_1396
; %bb.1394:                             ;   in Loop: Header=BB12_1350 Depth=1
	s_mov_b64 s[14:15], 0
	s_mov_b64 s[16:17], s[4:5]
.LBB12_1395:                            ;   Parent Loop BB12_1350 Depth=1
                                        ; =>  This Inner Loop Header: Depth=2
	global_load_ubyte v6, v7, s[16:17]
	s_add_i32 s19, s19, -1
	s_waitcnt vmcnt(0)
	v_and_b32_e32 v6, 0xffff, v6
	v_lshlrev_b64 v[22:23], s14, v[6:7]
	s_add_u32 s14, s14, 8
	s_addc_u32 s15, s15, 0
	s_add_u32 s16, s16, 1
	s_addc_u32 s17, s17, 0
	s_cmp_lg_u32 s19, 0
	v_or_b32_e32 v20, v22, v20
	v_or_b32_e32 v21, v23, v21
	s_cbranch_scc1 .LBB12_1395
.LBB12_1396:                            ;   in Loop: Header=BB12_1350 Depth=1
	s_cbranch_execz .LBB12_1398
	s_branch .LBB12_1399
.LBB12_1397:                            ;   in Loop: Header=BB12_1350 Depth=1
.LBB12_1398:                            ;   in Loop: Header=BB12_1350 Depth=1
	global_load_dwordx2 v[20:21], v7, s[4:5]
.LBB12_1399:                            ;   in Loop: Header=BB12_1350 Depth=1
	v_readfirstlane_b32 s4, v32
	v_mov_b32_e32 v26, 0
	v_mov_b32_e32 v27, 0
	v_cmp_eq_u32_e64 s4, s4, v32
	s_and_saveexec_b32 s5, s4
	s_cbranch_execz .LBB12_1405
; %bb.1400:                             ;   in Loop: Header=BB12_1350 Depth=1
	global_load_dwordx2 v[24:25], v7, s[6:7] offset:24 glc dlc
	s_waitcnt vmcnt(0)
	buffer_gl1_inv
	buffer_gl0_inv
	s_clause 0x1
	global_load_dwordx2 v[22:23], v7, s[6:7] offset:40
	global_load_dwordx2 v[26:27], v7, s[6:7]
	s_mov_b32 s14, exec_lo
	s_waitcnt vmcnt(1)
	v_and_b32_e32 v6, v23, v25
	v_and_b32_e32 v22, v22, v24
	v_mul_lo_u32 v6, v6, 24
	v_mul_hi_u32 v23, v22, 24
	v_mul_lo_u32 v22, v22, 24
	v_add_nc_u32_e32 v6, v23, v6
	s_waitcnt vmcnt(0)
	v_add_co_u32 v22, vcc_lo, v26, v22
	v_add_co_ci_u32_e32 v23, vcc_lo, v27, v6, vcc_lo
	global_load_dwordx2 v[22:23], v[22:23], off glc dlc
	s_waitcnt vmcnt(0)
	global_atomic_cmpswap_x2 v[26:27], v7, v[22:25], s[6:7] offset:24 glc
	s_waitcnt vmcnt(0)
	buffer_gl1_inv
	buffer_gl0_inv
	v_cmpx_ne_u64_e64 v[26:27], v[24:25]
	s_cbranch_execz .LBB12_1404
; %bb.1401:                             ;   in Loop: Header=BB12_1350 Depth=1
	s_mov_b32 s15, 0
	.p2align	6
.LBB12_1402:                            ;   Parent Loop BB12_1350 Depth=1
                                        ; =>  This Inner Loop Header: Depth=2
	s_sleep 1
	s_clause 0x1
	global_load_dwordx2 v[22:23], v7, s[6:7] offset:40
	global_load_dwordx2 v[29:30], v7, s[6:7]
	v_mov_b32_e32 v24, v26
	v_mov_b32_e32 v25, v27
	s_waitcnt vmcnt(1)
	v_and_b32_e32 v6, v22, v24
	v_and_b32_e32 v22, v23, v25
	s_waitcnt vmcnt(0)
	v_mad_u64_u32 v[26:27], null, v6, 24, v[29:30]
	v_mov_b32_e32 v6, v27
	v_mad_u64_u32 v[22:23], null, v22, 24, v[6:7]
	v_mov_b32_e32 v27, v22
	global_load_dwordx2 v[22:23], v[26:27], off glc dlc
	s_waitcnt vmcnt(0)
	global_atomic_cmpswap_x2 v[26:27], v7, v[22:25], s[6:7] offset:24 glc
	s_waitcnt vmcnt(0)
	buffer_gl1_inv
	buffer_gl0_inv
	v_cmp_eq_u64_e32 vcc_lo, v[26:27], v[24:25]
	s_or_b32 s15, vcc_lo, s15
	s_andn2_b32 exec_lo, exec_lo, s15
	s_cbranch_execnz .LBB12_1402
; %bb.1403:                             ;   in Loop: Header=BB12_1350 Depth=1
	s_or_b32 exec_lo, exec_lo, s15
.LBB12_1404:                            ;   in Loop: Header=BB12_1350 Depth=1
	s_or_b32 exec_lo, exec_lo, s14
.LBB12_1405:                            ;   in Loop: Header=BB12_1350 Depth=1
	s_or_b32 exec_lo, exec_lo, s5
	s_clause 0x1
	global_load_dwordx2 v[29:30], v7, s[6:7] offset:40
	global_load_dwordx4 v[22:25], v7, s[6:7]
	v_readfirstlane_b32 s14, v26
	v_readfirstlane_b32 s15, v27
	s_mov_b32 s5, exec_lo
	s_waitcnt vmcnt(1)
	v_readfirstlane_b32 s16, v29
	v_readfirstlane_b32 s17, v30
	s_and_b64 s[16:17], s[14:15], s[16:17]
	s_mul_i32 s18, s17, 24
	s_mul_hi_u32 s19, s16, 24
	s_mul_i32 s20, s16, 24
	s_add_i32 s19, s19, s18
	s_waitcnt vmcnt(0)
	v_add_co_u32 v26, vcc_lo, v22, s20
	v_add_co_ci_u32_e32 v27, vcc_lo, s19, v23, vcc_lo
	s_and_saveexec_b32 s18, s4
	s_cbranch_execz .LBB12_1407
; %bb.1406:                             ;   in Loop: Header=BB12_1350 Depth=1
	v_mov_b32_e32 v6, s5
	global_store_dwordx4 v[26:27], v[6:9], off offset:8
.LBB12_1407:                            ;   in Loop: Header=BB12_1350 Depth=1
	s_or_b32 exec_lo, exec_lo, s18
	s_lshl_b64 s[16:17], s[16:17], 12
	v_cmp_gt_u64_e64 vcc_lo, s[10:11], 56
	v_or_b32_e32 v29, v0, v28
	v_add_co_u32 v24, s5, v24, s16
	v_add_co_ci_u32_e64 v25, s5, s17, v25, s5
	s_lshl_b32 s5, s12, 2
	v_or_b32_e32 v6, 0, v1
	v_cndmask_b32_e32 v0, v29, v0, vcc_lo
	s_add_i32 s5, s5, 28
	v_readfirstlane_b32 s16, v24
	s_and_b32 s5, s5, 0x1e0
	v_cndmask_b32_e32 v1, v6, v1, vcc_lo
	v_readfirstlane_b32 s17, v25
	v_and_or_b32 v0, 0xffffff1f, v0, s5
	global_store_dwordx4 v31, v[0:3], s[16:17]
	global_store_dwordx4 v31, v[10:13], s[16:17] offset:16
	global_store_dwordx4 v31, v[14:17], s[16:17] offset:32
	;; [unrolled: 1-line block ×3, first 2 shown]
	s_and_saveexec_b32 s5, s4
	s_cbranch_execz .LBB12_1415
; %bb.1408:                             ;   in Loop: Header=BB12_1350 Depth=1
	s_clause 0x1
	global_load_dwordx2 v[14:15], v7, s[6:7] offset:32 glc dlc
	global_load_dwordx2 v[0:1], v7, s[6:7] offset:40
	v_mov_b32_e32 v12, s14
	v_mov_b32_e32 v13, s15
	s_waitcnt vmcnt(0)
	v_readfirstlane_b32 s16, v0
	v_readfirstlane_b32 s17, v1
	s_and_b64 s[16:17], s[16:17], s[14:15]
	s_mul_i32 s17, s17, 24
	s_mul_hi_u32 s18, s16, 24
	s_mul_i32 s16, s16, 24
	s_add_i32 s18, s18, s17
	v_add_co_u32 v10, vcc_lo, v22, s16
	v_add_co_ci_u32_e32 v11, vcc_lo, s18, v23, vcc_lo
	s_mov_b32 s16, exec_lo
	global_store_dwordx2 v[10:11], v[14:15], off
	s_waitcnt_vscnt null, 0x0
	global_atomic_cmpswap_x2 v[2:3], v7, v[12:15], s[6:7] offset:32 glc
	s_waitcnt vmcnt(0)
	v_cmpx_ne_u64_e64 v[2:3], v[14:15]
	s_cbranch_execz .LBB12_1411
; %bb.1409:                             ;   in Loop: Header=BB12_1350 Depth=1
	s_mov_b32 s17, 0
.LBB12_1410:                            ;   Parent Loop BB12_1350 Depth=1
                                        ; =>  This Inner Loop Header: Depth=2
	v_mov_b32_e32 v0, s14
	v_mov_b32_e32 v1, s15
	s_sleep 1
	global_store_dwordx2 v[10:11], v[2:3], off
	s_waitcnt_vscnt null, 0x0
	global_atomic_cmpswap_x2 v[0:1], v7, v[0:3], s[6:7] offset:32 glc
	s_waitcnt vmcnt(0)
	v_cmp_eq_u64_e32 vcc_lo, v[0:1], v[2:3]
	v_mov_b32_e32 v3, v1
	v_mov_b32_e32 v2, v0
	s_or_b32 s17, vcc_lo, s17
	s_andn2_b32 exec_lo, exec_lo, s17
	s_cbranch_execnz .LBB12_1410
.LBB12_1411:                            ;   in Loop: Header=BB12_1350 Depth=1
	s_or_b32 exec_lo, exec_lo, s16
	global_load_dwordx2 v[0:1], v7, s[6:7] offset:16
	s_mov_b32 s17, exec_lo
	s_mov_b32 s16, exec_lo
	v_mbcnt_lo_u32_b32 v2, s17, 0
	v_cmpx_eq_u32_e32 0, v2
	s_cbranch_execz .LBB12_1413
; %bb.1412:                             ;   in Loop: Header=BB12_1350 Depth=1
	s_bcnt1_i32_b32 s17, s17
	v_mov_b32_e32 v6, s17
	s_waitcnt vmcnt(0)
	global_atomic_add_x2 v[0:1], v[6:7], off offset:8
.LBB12_1413:                            ;   in Loop: Header=BB12_1350 Depth=1
	s_or_b32 exec_lo, exec_lo, s16
	s_waitcnt vmcnt(0)
	global_load_dwordx2 v[2:3], v[0:1], off offset:16
	s_waitcnt vmcnt(0)
	v_cmp_eq_u64_e32 vcc_lo, 0, v[2:3]
	s_cbranch_vccnz .LBB12_1415
; %bb.1414:                             ;   in Loop: Header=BB12_1350 Depth=1
	global_load_dword v6, v[0:1], off offset:24
	s_waitcnt vmcnt(0)
	v_and_b32_e32 v0, 0x7fffff, v6
	s_waitcnt_vscnt null, 0x0
	global_store_dwordx2 v[2:3], v[6:7], off
	v_readfirstlane_b32 m0, v0
	s_sendmsg sendmsg(MSG_INTERRUPT)
.LBB12_1415:                            ;   in Loop: Header=BB12_1350 Depth=1
	s_or_b32 exec_lo, exec_lo, s5
	v_add_co_u32 v0, vcc_lo, v24, v31
	v_add_co_ci_u32_e32 v1, vcc_lo, 0, v25, vcc_lo
	s_branch .LBB12_1419
	.p2align	6
.LBB12_1416:                            ;   in Loop: Header=BB12_1419 Depth=2
	s_or_b32 exec_lo, exec_lo, s5
	v_readfirstlane_b32 s5, v2
	s_cmp_eq_u32 s5, 0
	s_cbranch_scc1 .LBB12_1418
; %bb.1417:                             ;   in Loop: Header=BB12_1419 Depth=2
	s_sleep 1
	s_cbranch_execnz .LBB12_1419
	s_branch .LBB12_1421
	.p2align	6
.LBB12_1418:                            ;   in Loop: Header=BB12_1350 Depth=1
	s_branch .LBB12_1421
.LBB12_1419:                            ;   Parent Loop BB12_1350 Depth=1
                                        ; =>  This Inner Loop Header: Depth=2
	v_mov_b32_e32 v2, 1
	s_and_saveexec_b32 s5, s4
	s_cbranch_execz .LBB12_1416
; %bb.1420:                             ;   in Loop: Header=BB12_1419 Depth=2
	global_load_dword v2, v[26:27], off offset:20 glc dlc
	s_waitcnt vmcnt(0)
	buffer_gl1_inv
	buffer_gl0_inv
	v_and_b32_e32 v2, 1, v2
	s_branch .LBB12_1416
.LBB12_1421:                            ;   in Loop: Header=BB12_1350 Depth=1
	global_load_dwordx4 v[0:3], v[0:1], off
	s_and_saveexec_b32 s5, s4
	s_cbranch_execz .LBB12_1349
; %bb.1422:                             ;   in Loop: Header=BB12_1350 Depth=1
	s_clause 0x2
	global_load_dwordx2 v[2:3], v7, s[6:7] offset:40
	global_load_dwordx2 v[14:15], v7, s[6:7] offset:24 glc dlc
	global_load_dwordx2 v[12:13], v7, s[6:7]
	s_waitcnt vmcnt(2)
	v_add_co_u32 v6, vcc_lo, v2, 1
	v_add_co_ci_u32_e32 v16, vcc_lo, 0, v3, vcc_lo
	v_add_co_u32 v10, vcc_lo, v6, s14
	v_add_co_ci_u32_e32 v11, vcc_lo, s15, v16, vcc_lo
	v_cmp_eq_u64_e32 vcc_lo, 0, v[10:11]
	v_cndmask_b32_e32 v11, v11, v16, vcc_lo
	v_cndmask_b32_e32 v10, v10, v6, vcc_lo
	v_and_b32_e32 v3, v11, v3
	v_and_b32_e32 v2, v10, v2
	v_mul_lo_u32 v3, v3, 24
	v_mul_hi_u32 v6, v2, 24
	v_mul_lo_u32 v2, v2, 24
	v_add_nc_u32_e32 v3, v6, v3
	s_waitcnt vmcnt(0)
	v_add_co_u32 v2, vcc_lo, v12, v2
	v_mov_b32_e32 v12, v14
	v_add_co_ci_u32_e32 v3, vcc_lo, v13, v3, vcc_lo
	v_mov_b32_e32 v13, v15
	global_store_dwordx2 v[2:3], v[14:15], off
	s_waitcnt_vscnt null, 0x0
	global_atomic_cmpswap_x2 v[12:13], v7, v[10:13], s[6:7] offset:24 glc
	s_waitcnt vmcnt(0)
	v_cmp_ne_u64_e32 vcc_lo, v[12:13], v[14:15]
	s_and_b32 exec_lo, exec_lo, vcc_lo
	s_cbranch_execz .LBB12_1349
; %bb.1423:                             ;   in Loop: Header=BB12_1350 Depth=1
	s_mov_b32 s4, 0
.LBB12_1424:                            ;   Parent Loop BB12_1350 Depth=1
                                        ; =>  This Inner Loop Header: Depth=2
	s_sleep 1
	global_store_dwordx2 v[2:3], v[12:13], off
	s_waitcnt_vscnt null, 0x0
	global_atomic_cmpswap_x2 v[14:15], v7, v[10:13], s[6:7] offset:24 glc
	s_waitcnt vmcnt(0)
	v_cmp_eq_u64_e32 vcc_lo, v[14:15], v[12:13]
	v_mov_b32_e32 v12, v14
	v_mov_b32_e32 v13, v15
	s_or_b32 s4, vcc_lo, s4
	s_andn2_b32 exec_lo, exec_lo, s4
	s_cbranch_execnz .LBB12_1424
	s_branch .LBB12_1349
.LBB12_1425:
	s_mov_b32 s4, 0
	s_branch .LBB12_1427
.LBB12_1426:
	s_mov_b32 s4, -1
                                        ; implicit-def: $vgpr0_vgpr1
.LBB12_1427:
	s_and_b32 vcc_lo, exec_lo, s4
	s_cbranch_vccz .LBB12_1455
; %bb.1428:
	v_readfirstlane_b32 s4, v32
	v_mov_b32_e32 v7, 0
	v_mov_b32_e32 v8, 0
	v_cmp_eq_u32_e64 s4, s4, v32
	s_and_saveexec_b32 s5, s4
	s_cbranch_execz .LBB12_1434
; %bb.1429:
	s_waitcnt vmcnt(0)
	v_mov_b32_e32 v0, 0
	s_mov_b32 s8, exec_lo
	global_load_dwordx2 v[9:10], v0, s[6:7] offset:24 glc dlc
	s_waitcnt vmcnt(0)
	buffer_gl1_inv
	buffer_gl0_inv
	s_clause 0x1
	global_load_dwordx2 v[1:2], v0, s[6:7] offset:40
	global_load_dwordx2 v[6:7], v0, s[6:7]
	s_waitcnt vmcnt(1)
	v_and_b32_e32 v2, v2, v10
	v_and_b32_e32 v1, v1, v9
	v_mul_lo_u32 v2, v2, 24
	v_mul_hi_u32 v3, v1, 24
	v_mul_lo_u32 v1, v1, 24
	v_add_nc_u32_e32 v2, v3, v2
	s_waitcnt vmcnt(0)
	v_add_co_u32 v1, vcc_lo, v6, v1
	v_add_co_ci_u32_e32 v2, vcc_lo, v7, v2, vcc_lo
	global_load_dwordx2 v[7:8], v[1:2], off glc dlc
	s_waitcnt vmcnt(0)
	global_atomic_cmpswap_x2 v[7:8], v0, v[7:10], s[6:7] offset:24 glc
	s_waitcnt vmcnt(0)
	buffer_gl1_inv
	buffer_gl0_inv
	v_cmpx_ne_u64_e64 v[7:8], v[9:10]
	s_cbranch_execz .LBB12_1433
; %bb.1430:
	s_mov_b32 s9, 0
.LBB12_1431:                            ; =>This Inner Loop Header: Depth=1
	s_sleep 1
	s_clause 0x1
	global_load_dwordx2 v[1:2], v0, s[6:7] offset:40
	global_load_dwordx2 v[11:12], v0, s[6:7]
	v_mov_b32_e32 v10, v8
	v_mov_b32_e32 v9, v7
	s_waitcnt vmcnt(1)
	v_and_b32_e32 v1, v1, v9
	v_and_b32_e32 v2, v2, v10
	s_waitcnt vmcnt(0)
	v_mad_u64_u32 v[6:7], null, v1, 24, v[11:12]
	v_mov_b32_e32 v1, v7
	v_mad_u64_u32 v[1:2], null, v2, 24, v[1:2]
	v_mov_b32_e32 v7, v1
	global_load_dwordx2 v[7:8], v[6:7], off glc dlc
	s_waitcnt vmcnt(0)
	global_atomic_cmpswap_x2 v[7:8], v0, v[7:10], s[6:7] offset:24 glc
	s_waitcnt vmcnt(0)
	buffer_gl1_inv
	buffer_gl0_inv
	v_cmp_eq_u64_e32 vcc_lo, v[7:8], v[9:10]
	s_or_b32 s9, vcc_lo, s9
	s_andn2_b32 exec_lo, exec_lo, s9
	s_cbranch_execnz .LBB12_1431
; %bb.1432:
	s_or_b32 exec_lo, exec_lo, s9
.LBB12_1433:
	s_or_b32 exec_lo, exec_lo, s8
.LBB12_1434:
	s_or_b32 exec_lo, exec_lo, s5
	v_mov_b32_e32 v6, 0
	v_readfirstlane_b32 s8, v7
	v_readfirstlane_b32 s9, v8
	s_mov_b32 s5, exec_lo
	s_clause 0x1
	global_load_dwordx2 v[9:10], v6, s[6:7] offset:40
	global_load_dwordx4 v[0:3], v6, s[6:7]
	s_waitcnt vmcnt(1)
	v_readfirstlane_b32 s10, v9
	v_readfirstlane_b32 s11, v10
	s_and_b64 s[10:11], s[8:9], s[10:11]
	s_mul_i32 s12, s11, 24
	s_mul_hi_u32 s13, s10, 24
	s_mul_i32 s14, s10, 24
	s_add_i32 s13, s13, s12
	s_waitcnt vmcnt(0)
	v_add_co_u32 v8, vcc_lo, v0, s14
	v_add_co_ci_u32_e32 v9, vcc_lo, s13, v1, vcc_lo
	s_and_saveexec_b32 s12, s4
	s_cbranch_execz .LBB12_1436
; %bb.1435:
	v_mov_b32_e32 v10, s5
	v_mov_b32_e32 v11, v6
	;; [unrolled: 1-line block ×4, first 2 shown]
	global_store_dwordx4 v[8:9], v[10:13], off offset:8
.LBB12_1436:
	s_or_b32 exec_lo, exec_lo, s12
	s_lshl_b64 s[10:11], s[10:11], 12
	s_mov_b32 s12, 0
	v_add_co_u32 v2, vcc_lo, v2, s10
	v_add_co_ci_u32_e32 v3, vcc_lo, s11, v3, vcc_lo
	s_mov_b32 s13, s12
	v_add_co_u32 v10, vcc_lo, v2, v31
	s_mov_b32 s14, s12
	s_mov_b32 s15, s12
	v_and_or_b32 v4, 0xffffff1f, v4, 32
	v_mov_b32_e32 v7, v6
	v_readfirstlane_b32 s10, v2
	v_readfirstlane_b32 s11, v3
	v_mov_b32_e32 v12, s12
	v_add_co_ci_u32_e32 v11, vcc_lo, 0, v3, vcc_lo
	v_mov_b32_e32 v13, s13
	v_mov_b32_e32 v14, s14
	;; [unrolled: 1-line block ×3, first 2 shown]
	global_store_dwordx4 v31, v[4:7], s[10:11]
	global_store_dwordx4 v31, v[12:15], s[10:11] offset:16
	global_store_dwordx4 v31, v[12:15], s[10:11] offset:32
	;; [unrolled: 1-line block ×3, first 2 shown]
	s_and_saveexec_b32 s5, s4
	s_cbranch_execz .LBB12_1444
; %bb.1437:
	v_mov_b32_e32 v6, 0
	v_mov_b32_e32 v12, s8
	;; [unrolled: 1-line block ×3, first 2 shown]
	s_clause 0x1
	global_load_dwordx2 v[14:15], v6, s[6:7] offset:32 glc dlc
	global_load_dwordx2 v[2:3], v6, s[6:7] offset:40
	s_waitcnt vmcnt(0)
	v_readfirstlane_b32 s10, v2
	v_readfirstlane_b32 s11, v3
	s_and_b64 s[10:11], s[10:11], s[8:9]
	s_mul_i32 s11, s11, 24
	s_mul_hi_u32 s12, s10, 24
	s_mul_i32 s10, s10, 24
	s_add_i32 s12, s12, s11
	v_add_co_u32 v4, vcc_lo, v0, s10
	v_add_co_ci_u32_e32 v5, vcc_lo, s12, v1, vcc_lo
	s_mov_b32 s10, exec_lo
	global_store_dwordx2 v[4:5], v[14:15], off
	s_waitcnt_vscnt null, 0x0
	global_atomic_cmpswap_x2 v[2:3], v6, v[12:15], s[6:7] offset:32 glc
	s_waitcnt vmcnt(0)
	v_cmpx_ne_u64_e64 v[2:3], v[14:15]
	s_cbranch_execz .LBB12_1440
; %bb.1438:
	s_mov_b32 s11, 0
.LBB12_1439:                            ; =>This Inner Loop Header: Depth=1
	v_mov_b32_e32 v0, s8
	v_mov_b32_e32 v1, s9
	s_sleep 1
	global_store_dwordx2 v[4:5], v[2:3], off
	s_waitcnt_vscnt null, 0x0
	global_atomic_cmpswap_x2 v[0:1], v6, v[0:3], s[6:7] offset:32 glc
	s_waitcnt vmcnt(0)
	v_cmp_eq_u64_e32 vcc_lo, v[0:1], v[2:3]
	v_mov_b32_e32 v3, v1
	v_mov_b32_e32 v2, v0
	s_or_b32 s11, vcc_lo, s11
	s_andn2_b32 exec_lo, exec_lo, s11
	s_cbranch_execnz .LBB12_1439
.LBB12_1440:
	s_or_b32 exec_lo, exec_lo, s10
	v_mov_b32_e32 v3, 0
	s_mov_b32 s11, exec_lo
	s_mov_b32 s10, exec_lo
	v_mbcnt_lo_u32_b32 v2, s11, 0
	global_load_dwordx2 v[0:1], v3, s[6:7] offset:16
	v_cmpx_eq_u32_e32 0, v2
	s_cbranch_execz .LBB12_1442
; %bb.1441:
	s_bcnt1_i32_b32 s11, s11
	v_mov_b32_e32 v2, s11
	s_waitcnt vmcnt(0)
	global_atomic_add_x2 v[0:1], v[2:3], off offset:8
.LBB12_1442:
	s_or_b32 exec_lo, exec_lo, s10
	s_waitcnt vmcnt(0)
	global_load_dwordx2 v[2:3], v[0:1], off offset:16
	s_waitcnt vmcnt(0)
	v_cmp_eq_u64_e32 vcc_lo, 0, v[2:3]
	s_cbranch_vccnz .LBB12_1444
; %bb.1443:
	global_load_dword v0, v[0:1], off offset:24
	v_mov_b32_e32 v1, 0
	s_waitcnt vmcnt(0)
	v_and_b32_e32 v4, 0x7fffff, v0
	s_waitcnt_vscnt null, 0x0
	global_store_dwordx2 v[2:3], v[0:1], off
	v_readfirstlane_b32 m0, v4
	s_sendmsg sendmsg(MSG_INTERRUPT)
.LBB12_1444:
	s_or_b32 exec_lo, exec_lo, s5
	s_branch .LBB12_1448
	.p2align	6
.LBB12_1445:                            ;   in Loop: Header=BB12_1448 Depth=1
	s_or_b32 exec_lo, exec_lo, s5
	v_readfirstlane_b32 s5, v0
	s_cmp_eq_u32 s5, 0
	s_cbranch_scc1 .LBB12_1447
; %bb.1446:                             ;   in Loop: Header=BB12_1448 Depth=1
	s_sleep 1
	s_cbranch_execnz .LBB12_1448
	s_branch .LBB12_1450
.LBB12_1447:
	s_branch .LBB12_1450
.LBB12_1448:                            ; =>This Inner Loop Header: Depth=1
	v_mov_b32_e32 v0, 1
	s_and_saveexec_b32 s5, s4
	s_cbranch_execz .LBB12_1445
; %bb.1449:                             ;   in Loop: Header=BB12_1448 Depth=1
	global_load_dword v0, v[8:9], off offset:20 glc dlc
	s_waitcnt vmcnt(0)
	buffer_gl1_inv
	buffer_gl0_inv
	v_and_b32_e32 v0, 1, v0
	s_branch .LBB12_1445
.LBB12_1450:
	global_load_dwordx2 v[0:1], v[10:11], off
	s_and_saveexec_b32 s5, s4
	s_cbranch_execz .LBB12_1454
; %bb.1451:
	v_mov_b32_e32 v8, 0
	s_clause 0x2
	global_load_dwordx2 v[4:5], v8, s[6:7] offset:40
	global_load_dwordx2 v[9:10], v8, s[6:7] offset:24 glc dlc
	global_load_dwordx2 v[6:7], v8, s[6:7]
	s_waitcnt vmcnt(2)
	v_add_co_u32 v11, vcc_lo, v4, 1
	v_add_co_ci_u32_e32 v12, vcc_lo, 0, v5, vcc_lo
	v_add_co_u32 v2, vcc_lo, v11, s8
	v_add_co_ci_u32_e32 v3, vcc_lo, s9, v12, vcc_lo
	v_cmp_eq_u64_e32 vcc_lo, 0, v[2:3]
	v_cndmask_b32_e32 v3, v3, v12, vcc_lo
	v_cndmask_b32_e32 v2, v2, v11, vcc_lo
	v_and_b32_e32 v5, v3, v5
	v_and_b32_e32 v4, v2, v4
	v_mul_lo_u32 v5, v5, 24
	v_mul_hi_u32 v11, v4, 24
	v_mul_lo_u32 v4, v4, 24
	v_add_nc_u32_e32 v5, v11, v5
	s_waitcnt vmcnt(0)
	v_add_co_u32 v6, vcc_lo, v6, v4
	v_mov_b32_e32 v4, v9
	v_add_co_ci_u32_e32 v7, vcc_lo, v7, v5, vcc_lo
	v_mov_b32_e32 v5, v10
	global_store_dwordx2 v[6:7], v[9:10], off
	s_waitcnt_vscnt null, 0x0
	global_atomic_cmpswap_x2 v[4:5], v8, v[2:5], s[6:7] offset:24 glc
	s_waitcnt vmcnt(0)
	v_cmp_ne_u64_e32 vcc_lo, v[4:5], v[9:10]
	s_and_b32 exec_lo, exec_lo, vcc_lo
	s_cbranch_execz .LBB12_1454
; %bb.1452:
	s_mov_b32 s4, 0
.LBB12_1453:                            ; =>This Inner Loop Header: Depth=1
	s_sleep 1
	global_store_dwordx2 v[6:7], v[4:5], off
	s_waitcnt_vscnt null, 0x0
	global_atomic_cmpswap_x2 v[9:10], v8, v[2:5], s[6:7] offset:24 glc
	s_waitcnt vmcnt(0)
	v_cmp_eq_u64_e32 vcc_lo, v[9:10], v[4:5]
	v_mov_b32_e32 v4, v9
	v_mov_b32_e32 v5, v10
	s_or_b32 s4, vcc_lo, s4
	s_andn2_b32 exec_lo, exec_lo, s4
	s_cbranch_execnz .LBB12_1453
.LBB12_1454:
	s_or_b32 exec_lo, exec_lo, s5
.LBB12_1455:
	s_getpc_b64 s[8:9]
	s_add_u32 s8, s8, .str.2@rel32@lo+4
	s_addc_u32 s9, s9, .str.2@rel32@hi+12
	s_cmp_lg_u64 s[8:9], 0
	s_cbranch_scc0 .LBB12_1534
; %bb.1456:
	s_waitcnt vmcnt(0)
	v_and_b32_e32 v6, -3, v0
	v_mov_b32_e32 v7, v1
	v_mov_b32_e32 v3, 0
	v_mov_b32_e32 v4, 2
	v_mov_b32_e32 v5, 1
	s_mov_b64 s[10:11], 13
	s_branch .LBB12_1458
.LBB12_1457:                            ;   in Loop: Header=BB12_1458 Depth=1
	s_or_b32 exec_lo, exec_lo, s5
	s_sub_u32 s10, s10, s12
	s_subb_u32 s11, s11, s13
	s_add_u32 s8, s8, s12
	s_addc_u32 s9, s9, s13
	s_cmp_lg_u64 s[10:11], 0
	s_cbranch_scc0 .LBB12_1533
.LBB12_1458:                            ; =>This Loop Header: Depth=1
                                        ;     Child Loop BB12_1467 Depth 2
                                        ;     Child Loop BB12_1463 Depth 2
	;; [unrolled: 1-line block ×11, first 2 shown]
	v_cmp_lt_u64_e64 s4, s[10:11], 56
	v_cmp_gt_u64_e64 s5, s[10:11], 7
                                        ; implicit-def: $sgpr18
	s_and_b32 s4, s4, exec_lo
	s_cselect_b32 s13, s11, 0
	s_cselect_b32 s12, s10, 56
	s_and_b32 vcc_lo, exec_lo, s5
	s_mov_b32 s4, -1
	s_cbranch_vccz .LBB12_1465
; %bb.1459:                             ;   in Loop: Header=BB12_1458 Depth=1
	s_andn2_b32 vcc_lo, exec_lo, s4
	s_mov_b64 s[4:5], s[8:9]
	s_cbranch_vccz .LBB12_1469
.LBB12_1460:                            ;   in Loop: Header=BB12_1458 Depth=1
	s_cmp_gt_u32 s18, 7
	s_cbranch_scc1 .LBB12_1470
.LBB12_1461:                            ;   in Loop: Header=BB12_1458 Depth=1
	v_mov_b32_e32 v10, 0
	v_mov_b32_e32 v11, 0
	s_cmp_eq_u32 s18, 0
	s_cbranch_scc1 .LBB12_1464
; %bb.1462:                             ;   in Loop: Header=BB12_1458 Depth=1
	s_mov_b64 s[14:15], 0
	s_mov_b64 s[16:17], 0
.LBB12_1463:                            ;   Parent Loop BB12_1458 Depth=1
                                        ; =>  This Inner Loop Header: Depth=2
	s_add_u32 s20, s4, s16
	s_addc_u32 s21, s5, s17
	s_add_u32 s16, s16, 1
	global_load_ubyte v2, v3, s[20:21]
	s_addc_u32 s17, s17, 0
	s_waitcnt vmcnt(0)
	v_and_b32_e32 v2, 0xffff, v2
	v_lshlrev_b64 v[12:13], s14, v[2:3]
	s_add_u32 s14, s14, 8
	s_addc_u32 s15, s15, 0
	s_cmp_lg_u32 s18, s16
	v_or_b32_e32 v10, v12, v10
	v_or_b32_e32 v11, v13, v11
	s_cbranch_scc1 .LBB12_1463
.LBB12_1464:                            ;   in Loop: Header=BB12_1458 Depth=1
	s_mov_b32 s19, 0
	s_cbranch_execz .LBB12_1471
	s_branch .LBB12_1472
.LBB12_1465:                            ;   in Loop: Header=BB12_1458 Depth=1
	s_waitcnt vmcnt(0)
	v_mov_b32_e32 v8, 0
	v_mov_b32_e32 v9, 0
	s_cmp_eq_u64 s[10:11], 0
	s_mov_b64 s[4:5], 0
	s_cbranch_scc1 .LBB12_1468
; %bb.1466:                             ;   in Loop: Header=BB12_1458 Depth=1
	v_mov_b32_e32 v8, 0
	v_mov_b32_e32 v9, 0
	s_lshl_b64 s[14:15], s[12:13], 3
	s_mov_b64 s[16:17], s[8:9]
.LBB12_1467:                            ;   Parent Loop BB12_1458 Depth=1
                                        ; =>  This Inner Loop Header: Depth=2
	global_load_ubyte v2, v3, s[16:17]
	s_waitcnt vmcnt(0)
	v_and_b32_e32 v2, 0xffff, v2
	v_lshlrev_b64 v[10:11], s4, v[2:3]
	s_add_u32 s4, s4, 8
	s_addc_u32 s5, s5, 0
	s_add_u32 s16, s16, 1
	s_addc_u32 s17, s17, 0
	s_cmp_lg_u32 s14, s4
	v_or_b32_e32 v8, v10, v8
	v_or_b32_e32 v9, v11, v9
	s_cbranch_scc1 .LBB12_1467
.LBB12_1468:                            ;   in Loop: Header=BB12_1458 Depth=1
	s_mov_b32 s18, 0
	s_mov_b64 s[4:5], s[8:9]
	s_cbranch_execnz .LBB12_1460
.LBB12_1469:                            ;   in Loop: Header=BB12_1458 Depth=1
	global_load_dwordx2 v[8:9], v3, s[8:9]
	s_add_i32 s18, s12, -8
	s_add_u32 s4, s8, 8
	s_addc_u32 s5, s9, 0
	s_cmp_gt_u32 s18, 7
	s_cbranch_scc0 .LBB12_1461
.LBB12_1470:                            ;   in Loop: Header=BB12_1458 Depth=1
                                        ; implicit-def: $vgpr10_vgpr11
                                        ; implicit-def: $sgpr19
.LBB12_1471:                            ;   in Loop: Header=BB12_1458 Depth=1
	global_load_dwordx2 v[10:11], v3, s[4:5]
	s_add_i32 s19, s18, -8
	s_add_u32 s4, s4, 8
	s_addc_u32 s5, s5, 0
.LBB12_1472:                            ;   in Loop: Header=BB12_1458 Depth=1
	s_cmp_gt_u32 s19, 7
	s_cbranch_scc1 .LBB12_1477
; %bb.1473:                             ;   in Loop: Header=BB12_1458 Depth=1
	v_mov_b32_e32 v12, 0
	v_mov_b32_e32 v13, 0
	s_cmp_eq_u32 s19, 0
	s_cbranch_scc1 .LBB12_1476
; %bb.1474:                             ;   in Loop: Header=BB12_1458 Depth=1
	s_mov_b64 s[14:15], 0
	s_mov_b64 s[16:17], 0
.LBB12_1475:                            ;   Parent Loop BB12_1458 Depth=1
                                        ; =>  This Inner Loop Header: Depth=2
	s_add_u32 s20, s4, s16
	s_addc_u32 s21, s5, s17
	s_add_u32 s16, s16, 1
	global_load_ubyte v2, v3, s[20:21]
	s_addc_u32 s17, s17, 0
	s_waitcnt vmcnt(0)
	v_and_b32_e32 v2, 0xffff, v2
	v_lshlrev_b64 v[14:15], s14, v[2:3]
	s_add_u32 s14, s14, 8
	s_addc_u32 s15, s15, 0
	s_cmp_lg_u32 s19, s16
	v_or_b32_e32 v12, v14, v12
	v_or_b32_e32 v13, v15, v13
	s_cbranch_scc1 .LBB12_1475
.LBB12_1476:                            ;   in Loop: Header=BB12_1458 Depth=1
	s_mov_b32 s18, 0
	s_cbranch_execz .LBB12_1478
	s_branch .LBB12_1479
.LBB12_1477:                            ;   in Loop: Header=BB12_1458 Depth=1
                                        ; implicit-def: $sgpr18
.LBB12_1478:                            ;   in Loop: Header=BB12_1458 Depth=1
	global_load_dwordx2 v[12:13], v3, s[4:5]
	s_add_i32 s18, s19, -8
	s_add_u32 s4, s4, 8
	s_addc_u32 s5, s5, 0
.LBB12_1479:                            ;   in Loop: Header=BB12_1458 Depth=1
	s_cmp_gt_u32 s18, 7
	s_cbranch_scc1 .LBB12_1484
; %bb.1480:                             ;   in Loop: Header=BB12_1458 Depth=1
	v_mov_b32_e32 v14, 0
	v_mov_b32_e32 v15, 0
	s_cmp_eq_u32 s18, 0
	s_cbranch_scc1 .LBB12_1483
; %bb.1481:                             ;   in Loop: Header=BB12_1458 Depth=1
	s_mov_b64 s[14:15], 0
	s_mov_b64 s[16:17], 0
.LBB12_1482:                            ;   Parent Loop BB12_1458 Depth=1
                                        ; =>  This Inner Loop Header: Depth=2
	s_add_u32 s20, s4, s16
	s_addc_u32 s21, s5, s17
	s_add_u32 s16, s16, 1
	global_load_ubyte v2, v3, s[20:21]
	s_addc_u32 s17, s17, 0
	s_waitcnt vmcnt(0)
	v_and_b32_e32 v2, 0xffff, v2
	v_lshlrev_b64 v[16:17], s14, v[2:3]
	s_add_u32 s14, s14, 8
	s_addc_u32 s15, s15, 0
	s_cmp_lg_u32 s18, s16
	v_or_b32_e32 v14, v16, v14
	v_or_b32_e32 v15, v17, v15
	s_cbranch_scc1 .LBB12_1482
.LBB12_1483:                            ;   in Loop: Header=BB12_1458 Depth=1
	s_mov_b32 s19, 0
	s_cbranch_execz .LBB12_1485
	s_branch .LBB12_1486
.LBB12_1484:                            ;   in Loop: Header=BB12_1458 Depth=1
                                        ; implicit-def: $vgpr14_vgpr15
                                        ; implicit-def: $sgpr19
.LBB12_1485:                            ;   in Loop: Header=BB12_1458 Depth=1
	global_load_dwordx2 v[14:15], v3, s[4:5]
	s_add_i32 s19, s18, -8
	s_add_u32 s4, s4, 8
	s_addc_u32 s5, s5, 0
.LBB12_1486:                            ;   in Loop: Header=BB12_1458 Depth=1
	s_cmp_gt_u32 s19, 7
	s_cbranch_scc1 .LBB12_1491
; %bb.1487:                             ;   in Loop: Header=BB12_1458 Depth=1
	v_mov_b32_e32 v16, 0
	v_mov_b32_e32 v17, 0
	s_cmp_eq_u32 s19, 0
	s_cbranch_scc1 .LBB12_1490
; %bb.1488:                             ;   in Loop: Header=BB12_1458 Depth=1
	s_mov_b64 s[14:15], 0
	s_mov_b64 s[16:17], 0
.LBB12_1489:                            ;   Parent Loop BB12_1458 Depth=1
                                        ; =>  This Inner Loop Header: Depth=2
	s_add_u32 s20, s4, s16
	s_addc_u32 s21, s5, s17
	s_add_u32 s16, s16, 1
	global_load_ubyte v2, v3, s[20:21]
	s_addc_u32 s17, s17, 0
	s_waitcnt vmcnt(0)
	v_and_b32_e32 v2, 0xffff, v2
	v_lshlrev_b64 v[18:19], s14, v[2:3]
	s_add_u32 s14, s14, 8
	s_addc_u32 s15, s15, 0
	s_cmp_lg_u32 s19, s16
	v_or_b32_e32 v16, v18, v16
	v_or_b32_e32 v17, v19, v17
	s_cbranch_scc1 .LBB12_1489
.LBB12_1490:                            ;   in Loop: Header=BB12_1458 Depth=1
	s_mov_b32 s18, 0
	s_cbranch_execz .LBB12_1492
	s_branch .LBB12_1493
.LBB12_1491:                            ;   in Loop: Header=BB12_1458 Depth=1
                                        ; implicit-def: $sgpr18
.LBB12_1492:                            ;   in Loop: Header=BB12_1458 Depth=1
	global_load_dwordx2 v[16:17], v3, s[4:5]
	s_add_i32 s18, s19, -8
	s_add_u32 s4, s4, 8
	s_addc_u32 s5, s5, 0
.LBB12_1493:                            ;   in Loop: Header=BB12_1458 Depth=1
	s_cmp_gt_u32 s18, 7
	s_cbranch_scc1 .LBB12_1498
; %bb.1494:                             ;   in Loop: Header=BB12_1458 Depth=1
	v_mov_b32_e32 v18, 0
	v_mov_b32_e32 v19, 0
	s_cmp_eq_u32 s18, 0
	s_cbranch_scc1 .LBB12_1497
; %bb.1495:                             ;   in Loop: Header=BB12_1458 Depth=1
	s_mov_b64 s[14:15], 0
	s_mov_b64 s[16:17], 0
.LBB12_1496:                            ;   Parent Loop BB12_1458 Depth=1
                                        ; =>  This Inner Loop Header: Depth=2
	s_add_u32 s20, s4, s16
	s_addc_u32 s21, s5, s17
	s_add_u32 s16, s16, 1
	global_load_ubyte v2, v3, s[20:21]
	s_addc_u32 s17, s17, 0
	s_waitcnt vmcnt(0)
	v_and_b32_e32 v2, 0xffff, v2
	v_lshlrev_b64 v[20:21], s14, v[2:3]
	s_add_u32 s14, s14, 8
	s_addc_u32 s15, s15, 0
	s_cmp_lg_u32 s18, s16
	v_or_b32_e32 v18, v20, v18
	v_or_b32_e32 v19, v21, v19
	s_cbranch_scc1 .LBB12_1496
.LBB12_1497:                            ;   in Loop: Header=BB12_1458 Depth=1
	s_mov_b32 s19, 0
	s_cbranch_execz .LBB12_1499
	s_branch .LBB12_1500
.LBB12_1498:                            ;   in Loop: Header=BB12_1458 Depth=1
                                        ; implicit-def: $vgpr18_vgpr19
                                        ; implicit-def: $sgpr19
.LBB12_1499:                            ;   in Loop: Header=BB12_1458 Depth=1
	global_load_dwordx2 v[18:19], v3, s[4:5]
	s_add_i32 s19, s18, -8
	s_add_u32 s4, s4, 8
	s_addc_u32 s5, s5, 0
.LBB12_1500:                            ;   in Loop: Header=BB12_1458 Depth=1
	s_cmp_gt_u32 s19, 7
	s_cbranch_scc1 .LBB12_1505
; %bb.1501:                             ;   in Loop: Header=BB12_1458 Depth=1
	v_mov_b32_e32 v20, 0
	v_mov_b32_e32 v21, 0
	s_cmp_eq_u32 s19, 0
	s_cbranch_scc1 .LBB12_1504
; %bb.1502:                             ;   in Loop: Header=BB12_1458 Depth=1
	s_mov_b64 s[14:15], 0
	s_mov_b64 s[16:17], s[4:5]
.LBB12_1503:                            ;   Parent Loop BB12_1458 Depth=1
                                        ; =>  This Inner Loop Header: Depth=2
	global_load_ubyte v2, v3, s[16:17]
	s_add_i32 s19, s19, -1
	s_waitcnt vmcnt(0)
	v_and_b32_e32 v2, 0xffff, v2
	v_lshlrev_b64 v[22:23], s14, v[2:3]
	s_add_u32 s14, s14, 8
	s_addc_u32 s15, s15, 0
	s_add_u32 s16, s16, 1
	s_addc_u32 s17, s17, 0
	s_cmp_lg_u32 s19, 0
	v_or_b32_e32 v20, v22, v20
	v_or_b32_e32 v21, v23, v21
	s_cbranch_scc1 .LBB12_1503
.LBB12_1504:                            ;   in Loop: Header=BB12_1458 Depth=1
	s_cbranch_execz .LBB12_1506
	s_branch .LBB12_1507
.LBB12_1505:                            ;   in Loop: Header=BB12_1458 Depth=1
.LBB12_1506:                            ;   in Loop: Header=BB12_1458 Depth=1
	global_load_dwordx2 v[20:21], v3, s[4:5]
.LBB12_1507:                            ;   in Loop: Header=BB12_1458 Depth=1
	v_readfirstlane_b32 s4, v32
	v_mov_b32_e32 v26, 0
	v_mov_b32_e32 v27, 0
	v_cmp_eq_u32_e64 s4, s4, v32
	s_and_saveexec_b32 s5, s4
	s_cbranch_execz .LBB12_1513
; %bb.1508:                             ;   in Loop: Header=BB12_1458 Depth=1
	global_load_dwordx2 v[24:25], v3, s[6:7] offset:24 glc dlc
	s_waitcnt vmcnt(0)
	buffer_gl1_inv
	buffer_gl0_inv
	s_clause 0x1
	global_load_dwordx2 v[22:23], v3, s[6:7] offset:40
	global_load_dwordx2 v[26:27], v3, s[6:7]
	s_mov_b32 s14, exec_lo
	s_waitcnt vmcnt(1)
	v_and_b32_e32 v2, v23, v25
	v_and_b32_e32 v22, v22, v24
	v_mul_lo_u32 v2, v2, 24
	v_mul_hi_u32 v23, v22, 24
	v_mul_lo_u32 v22, v22, 24
	v_add_nc_u32_e32 v2, v23, v2
	s_waitcnt vmcnt(0)
	v_add_co_u32 v22, vcc_lo, v26, v22
	v_add_co_ci_u32_e32 v23, vcc_lo, v27, v2, vcc_lo
	global_load_dwordx2 v[22:23], v[22:23], off glc dlc
	s_waitcnt vmcnt(0)
	global_atomic_cmpswap_x2 v[26:27], v3, v[22:25], s[6:7] offset:24 glc
	s_waitcnt vmcnt(0)
	buffer_gl1_inv
	buffer_gl0_inv
	v_cmpx_ne_u64_e64 v[26:27], v[24:25]
	s_cbranch_execz .LBB12_1512
; %bb.1509:                             ;   in Loop: Header=BB12_1458 Depth=1
	s_mov_b32 s15, 0
	.p2align	6
.LBB12_1510:                            ;   Parent Loop BB12_1458 Depth=1
                                        ; =>  This Inner Loop Header: Depth=2
	s_sleep 1
	s_clause 0x1
	global_load_dwordx2 v[22:23], v3, s[6:7] offset:40
	global_load_dwordx2 v[28:29], v3, s[6:7]
	v_mov_b32_e32 v24, v26
	v_mov_b32_e32 v25, v27
	s_waitcnt vmcnt(1)
	v_and_b32_e32 v2, v22, v24
	v_and_b32_e32 v22, v23, v25
	s_waitcnt vmcnt(0)
	v_mad_u64_u32 v[26:27], null, v2, 24, v[28:29]
	v_mov_b32_e32 v2, v27
	v_mad_u64_u32 v[22:23], null, v22, 24, v[2:3]
	v_mov_b32_e32 v27, v22
	global_load_dwordx2 v[22:23], v[26:27], off glc dlc
	s_waitcnt vmcnt(0)
	global_atomic_cmpswap_x2 v[26:27], v3, v[22:25], s[6:7] offset:24 glc
	s_waitcnt vmcnt(0)
	buffer_gl1_inv
	buffer_gl0_inv
	v_cmp_eq_u64_e32 vcc_lo, v[26:27], v[24:25]
	s_or_b32 s15, vcc_lo, s15
	s_andn2_b32 exec_lo, exec_lo, s15
	s_cbranch_execnz .LBB12_1510
; %bb.1511:                             ;   in Loop: Header=BB12_1458 Depth=1
	s_or_b32 exec_lo, exec_lo, s15
.LBB12_1512:                            ;   in Loop: Header=BB12_1458 Depth=1
	s_or_b32 exec_lo, exec_lo, s14
.LBB12_1513:                            ;   in Loop: Header=BB12_1458 Depth=1
	s_or_b32 exec_lo, exec_lo, s5
	s_clause 0x1
	global_load_dwordx2 v[28:29], v3, s[6:7] offset:40
	global_load_dwordx4 v[22:25], v3, s[6:7]
	v_readfirstlane_b32 s14, v26
	v_readfirstlane_b32 s15, v27
	s_mov_b32 s5, exec_lo
	s_waitcnt vmcnt(1)
	v_readfirstlane_b32 s16, v28
	v_readfirstlane_b32 s17, v29
	s_and_b64 s[16:17], s[14:15], s[16:17]
	s_mul_i32 s18, s17, 24
	s_mul_hi_u32 s19, s16, 24
	s_mul_i32 s20, s16, 24
	s_add_i32 s19, s19, s18
	s_waitcnt vmcnt(0)
	v_add_co_u32 v26, vcc_lo, v22, s20
	v_add_co_ci_u32_e32 v27, vcc_lo, s19, v23, vcc_lo
	s_and_saveexec_b32 s18, s4
	s_cbranch_execz .LBB12_1515
; %bb.1514:                             ;   in Loop: Header=BB12_1458 Depth=1
	v_mov_b32_e32 v2, s5
	global_store_dwordx4 v[26:27], v[2:5], off offset:8
.LBB12_1515:                            ;   in Loop: Header=BB12_1458 Depth=1
	s_or_b32 exec_lo, exec_lo, s18
	s_lshl_b64 s[16:17], s[16:17], 12
	v_or_b32_e32 v2, 2, v6
	v_add_co_u32 v24, vcc_lo, v24, s16
	v_add_co_ci_u32_e32 v25, vcc_lo, s17, v25, vcc_lo
	v_cmp_gt_u64_e64 vcc_lo, s[10:11], 56
	s_lshl_b32 s5, s12, 2
	v_readfirstlane_b32 s16, v24
	s_add_i32 s5, s5, 28
	v_readfirstlane_b32 s17, v25
	s_and_b32 s5, s5, 0x1e0
	v_cndmask_b32_e32 v2, v2, v6, vcc_lo
	v_and_or_b32 v6, 0xffffff1f, v2, s5
	global_store_dwordx4 v31, v[10:13], s[16:17] offset:16
	global_store_dwordx4 v31, v[6:9], s[16:17]
	global_store_dwordx4 v31, v[14:17], s[16:17] offset:32
	global_store_dwordx4 v31, v[18:21], s[16:17] offset:48
	s_and_saveexec_b32 s5, s4
	s_cbranch_execz .LBB12_1523
; %bb.1516:                             ;   in Loop: Header=BB12_1458 Depth=1
	s_clause 0x1
	global_load_dwordx2 v[14:15], v3, s[6:7] offset:32 glc dlc
	global_load_dwordx2 v[6:7], v3, s[6:7] offset:40
	v_mov_b32_e32 v12, s14
	v_mov_b32_e32 v13, s15
	s_waitcnt vmcnt(0)
	v_readfirstlane_b32 s16, v6
	v_readfirstlane_b32 s17, v7
	s_and_b64 s[16:17], s[16:17], s[14:15]
	s_mul_i32 s17, s17, 24
	s_mul_hi_u32 s18, s16, 24
	s_mul_i32 s16, s16, 24
	s_add_i32 s18, s18, s17
	v_add_co_u32 v10, vcc_lo, v22, s16
	v_add_co_ci_u32_e32 v11, vcc_lo, s18, v23, vcc_lo
	s_mov_b32 s16, exec_lo
	global_store_dwordx2 v[10:11], v[14:15], off
	s_waitcnt_vscnt null, 0x0
	global_atomic_cmpswap_x2 v[8:9], v3, v[12:15], s[6:7] offset:32 glc
	s_waitcnt vmcnt(0)
	v_cmpx_ne_u64_e64 v[8:9], v[14:15]
	s_cbranch_execz .LBB12_1519
; %bb.1517:                             ;   in Loop: Header=BB12_1458 Depth=1
	s_mov_b32 s17, 0
.LBB12_1518:                            ;   Parent Loop BB12_1458 Depth=1
                                        ; =>  This Inner Loop Header: Depth=2
	v_mov_b32_e32 v6, s14
	v_mov_b32_e32 v7, s15
	s_sleep 1
	global_store_dwordx2 v[10:11], v[8:9], off
	s_waitcnt_vscnt null, 0x0
	global_atomic_cmpswap_x2 v[6:7], v3, v[6:9], s[6:7] offset:32 glc
	s_waitcnt vmcnt(0)
	v_cmp_eq_u64_e32 vcc_lo, v[6:7], v[8:9]
	v_mov_b32_e32 v9, v7
	v_mov_b32_e32 v8, v6
	s_or_b32 s17, vcc_lo, s17
	s_andn2_b32 exec_lo, exec_lo, s17
	s_cbranch_execnz .LBB12_1518
.LBB12_1519:                            ;   in Loop: Header=BB12_1458 Depth=1
	s_or_b32 exec_lo, exec_lo, s16
	global_load_dwordx2 v[6:7], v3, s[6:7] offset:16
	s_mov_b32 s17, exec_lo
	s_mov_b32 s16, exec_lo
	v_mbcnt_lo_u32_b32 v2, s17, 0
	v_cmpx_eq_u32_e32 0, v2
	s_cbranch_execz .LBB12_1521
; %bb.1520:                             ;   in Loop: Header=BB12_1458 Depth=1
	s_bcnt1_i32_b32 s17, s17
	v_mov_b32_e32 v2, s17
	s_waitcnt vmcnt(0)
	global_atomic_add_x2 v[6:7], v[2:3], off offset:8
.LBB12_1521:                            ;   in Loop: Header=BB12_1458 Depth=1
	s_or_b32 exec_lo, exec_lo, s16
	s_waitcnt vmcnt(0)
	global_load_dwordx2 v[8:9], v[6:7], off offset:16
	s_waitcnt vmcnt(0)
	v_cmp_eq_u64_e32 vcc_lo, 0, v[8:9]
	s_cbranch_vccnz .LBB12_1523
; %bb.1522:                             ;   in Loop: Header=BB12_1458 Depth=1
	global_load_dword v2, v[6:7], off offset:24
	s_waitcnt vmcnt(0)
	v_and_b32_e32 v6, 0x7fffff, v2
	s_waitcnt_vscnt null, 0x0
	global_store_dwordx2 v[8:9], v[2:3], off
	v_readfirstlane_b32 m0, v6
	s_sendmsg sendmsg(MSG_INTERRUPT)
.LBB12_1523:                            ;   in Loop: Header=BB12_1458 Depth=1
	s_or_b32 exec_lo, exec_lo, s5
	v_add_co_u32 v6, vcc_lo, v24, v31
	v_add_co_ci_u32_e32 v7, vcc_lo, 0, v25, vcc_lo
	s_branch .LBB12_1527
	.p2align	6
.LBB12_1524:                            ;   in Loop: Header=BB12_1527 Depth=2
	s_or_b32 exec_lo, exec_lo, s5
	v_readfirstlane_b32 s5, v2
	s_cmp_eq_u32 s5, 0
	s_cbranch_scc1 .LBB12_1526
; %bb.1525:                             ;   in Loop: Header=BB12_1527 Depth=2
	s_sleep 1
	s_cbranch_execnz .LBB12_1527
	s_branch .LBB12_1529
	.p2align	6
.LBB12_1526:                            ;   in Loop: Header=BB12_1458 Depth=1
	s_branch .LBB12_1529
.LBB12_1527:                            ;   Parent Loop BB12_1458 Depth=1
                                        ; =>  This Inner Loop Header: Depth=2
	v_mov_b32_e32 v2, 1
	s_and_saveexec_b32 s5, s4
	s_cbranch_execz .LBB12_1524
; %bb.1528:                             ;   in Loop: Header=BB12_1527 Depth=2
	global_load_dword v2, v[26:27], off offset:20 glc dlc
	s_waitcnt vmcnt(0)
	buffer_gl1_inv
	buffer_gl0_inv
	v_and_b32_e32 v2, 1, v2
	s_branch .LBB12_1524
.LBB12_1529:                            ;   in Loop: Header=BB12_1458 Depth=1
	global_load_dwordx4 v[6:9], v[6:7], off
	s_and_saveexec_b32 s5, s4
	s_cbranch_execz .LBB12_1457
; %bb.1530:                             ;   in Loop: Header=BB12_1458 Depth=1
	s_clause 0x2
	global_load_dwordx2 v[10:11], v3, s[6:7] offset:40
	global_load_dwordx2 v[14:15], v3, s[6:7] offset:24 glc dlc
	global_load_dwordx2 v[12:13], v3, s[6:7]
	s_waitcnt vmcnt(2)
	v_add_co_u32 v2, vcc_lo, v10, 1
	v_add_co_ci_u32_e32 v16, vcc_lo, 0, v11, vcc_lo
	v_add_co_u32 v8, vcc_lo, v2, s14
	v_add_co_ci_u32_e32 v9, vcc_lo, s15, v16, vcc_lo
	v_cmp_eq_u64_e32 vcc_lo, 0, v[8:9]
	v_cndmask_b32_e32 v9, v9, v16, vcc_lo
	v_cndmask_b32_e32 v8, v8, v2, vcc_lo
	v_and_b32_e32 v2, v9, v11
	v_and_b32_e32 v10, v8, v10
	v_mul_lo_u32 v2, v2, 24
	v_mul_hi_u32 v11, v10, 24
	v_mul_lo_u32 v10, v10, 24
	v_add_nc_u32_e32 v2, v11, v2
	s_waitcnt vmcnt(0)
	v_add_co_u32 v12, vcc_lo, v12, v10
	v_mov_b32_e32 v10, v14
	v_mov_b32_e32 v11, v15
	v_add_co_ci_u32_e32 v13, vcc_lo, v13, v2, vcc_lo
	global_store_dwordx2 v[12:13], v[14:15], off
	s_waitcnt_vscnt null, 0x0
	global_atomic_cmpswap_x2 v[10:11], v3, v[8:11], s[6:7] offset:24 glc
	s_waitcnt vmcnt(0)
	v_cmp_ne_u64_e32 vcc_lo, v[10:11], v[14:15]
	s_and_b32 exec_lo, exec_lo, vcc_lo
	s_cbranch_execz .LBB12_1457
; %bb.1531:                             ;   in Loop: Header=BB12_1458 Depth=1
	s_mov_b32 s4, 0
.LBB12_1532:                            ;   Parent Loop BB12_1458 Depth=1
                                        ; =>  This Inner Loop Header: Depth=2
	s_sleep 1
	global_store_dwordx2 v[12:13], v[10:11], off
	s_waitcnt_vscnt null, 0x0
	global_atomic_cmpswap_x2 v[14:15], v3, v[8:11], s[6:7] offset:24 glc
	s_waitcnt vmcnt(0)
	v_cmp_eq_u64_e32 vcc_lo, v[14:15], v[10:11]
	v_mov_b32_e32 v10, v14
	v_mov_b32_e32 v11, v15
	s_or_b32 s4, vcc_lo, s4
	s_andn2_b32 exec_lo, exec_lo, s4
	s_cbranch_execnz .LBB12_1532
	s_branch .LBB12_1457
.LBB12_1533:
	s_mov_b32 s4, 0
	s_branch .LBB12_1535
.LBB12_1534:
	s_mov_b32 s4, -1
.LBB12_1535:
	s_and_b32 vcc_lo, exec_lo, s4
	s_cbranch_vccz .LBB12_1563
; %bb.1536:
	v_readfirstlane_b32 s4, v32
	s_waitcnt vmcnt(0)
	v_mov_b32_e32 v8, 0
	v_mov_b32_e32 v9, 0
	v_cmp_eq_u32_e64 s4, s4, v32
	s_and_saveexec_b32 s5, s4
	s_cbranch_execz .LBB12_1542
; %bb.1537:
	v_mov_b32_e32 v2, 0
	s_mov_b32 s8, exec_lo
	global_load_dwordx2 v[5:6], v2, s[6:7] offset:24 glc dlc
	s_waitcnt vmcnt(0)
	buffer_gl1_inv
	buffer_gl0_inv
	s_clause 0x1
	global_load_dwordx2 v[3:4], v2, s[6:7] offset:40
	global_load_dwordx2 v[7:8], v2, s[6:7]
	s_waitcnt vmcnt(1)
	v_and_b32_e32 v4, v4, v6
	v_and_b32_e32 v3, v3, v5
	v_mul_lo_u32 v4, v4, 24
	v_mul_hi_u32 v9, v3, 24
	v_mul_lo_u32 v3, v3, 24
	v_add_nc_u32_e32 v4, v9, v4
	s_waitcnt vmcnt(0)
	v_add_co_u32 v3, vcc_lo, v7, v3
	v_add_co_ci_u32_e32 v4, vcc_lo, v8, v4, vcc_lo
	global_load_dwordx2 v[3:4], v[3:4], off glc dlc
	s_waitcnt vmcnt(0)
	global_atomic_cmpswap_x2 v[8:9], v2, v[3:6], s[6:7] offset:24 glc
	s_waitcnt vmcnt(0)
	buffer_gl1_inv
	buffer_gl0_inv
	v_cmpx_ne_u64_e64 v[8:9], v[5:6]
	s_cbranch_execz .LBB12_1541
; %bb.1538:
	s_mov_b32 s9, 0
.LBB12_1539:                            ; =>This Inner Loop Header: Depth=1
	s_sleep 1
	s_clause 0x1
	global_load_dwordx2 v[3:4], v2, s[6:7] offset:40
	global_load_dwordx2 v[10:11], v2, s[6:7]
	v_mov_b32_e32 v5, v8
	v_mov_b32_e32 v6, v9
	s_waitcnt vmcnt(1)
	v_and_b32_e32 v3, v3, v5
	v_and_b32_e32 v4, v4, v6
	s_waitcnt vmcnt(0)
	v_mad_u64_u32 v[7:8], null, v3, 24, v[10:11]
	v_mov_b32_e32 v3, v8
	v_mad_u64_u32 v[3:4], null, v4, 24, v[3:4]
	v_mov_b32_e32 v8, v3
	global_load_dwordx2 v[3:4], v[7:8], off glc dlc
	s_waitcnt vmcnt(0)
	global_atomic_cmpswap_x2 v[8:9], v2, v[3:6], s[6:7] offset:24 glc
	s_waitcnt vmcnt(0)
	buffer_gl1_inv
	buffer_gl0_inv
	v_cmp_eq_u64_e32 vcc_lo, v[8:9], v[5:6]
	s_or_b32 s9, vcc_lo, s9
	s_andn2_b32 exec_lo, exec_lo, s9
	s_cbranch_execnz .LBB12_1539
; %bb.1540:
	s_or_b32 exec_lo, exec_lo, s9
.LBB12_1541:
	s_or_b32 exec_lo, exec_lo, s8
.LBB12_1542:
	s_or_b32 exec_lo, exec_lo, s5
	v_mov_b32_e32 v2, 0
	v_readfirstlane_b32 s8, v8
	v_readfirstlane_b32 s9, v9
	s_mov_b32 s5, exec_lo
	s_clause 0x1
	global_load_dwordx2 v[10:11], v2, s[6:7] offset:40
	global_load_dwordx4 v[4:7], v2, s[6:7]
	s_waitcnt vmcnt(1)
	v_readfirstlane_b32 s10, v10
	v_readfirstlane_b32 s11, v11
	s_and_b64 s[10:11], s[8:9], s[10:11]
	s_mul_i32 s12, s11, 24
	s_mul_hi_u32 s13, s10, 24
	s_mul_i32 s14, s10, 24
	s_add_i32 s13, s13, s12
	s_waitcnt vmcnt(0)
	v_add_co_u32 v8, vcc_lo, v4, s14
	v_add_co_ci_u32_e32 v9, vcc_lo, s13, v5, vcc_lo
	s_and_saveexec_b32 s12, s4
	s_cbranch_execz .LBB12_1544
; %bb.1543:
	v_mov_b32_e32 v10, s5
	v_mov_b32_e32 v11, v2
	;; [unrolled: 1-line block ×4, first 2 shown]
	global_store_dwordx4 v[8:9], v[10:13], off offset:8
.LBB12_1544:
	s_or_b32 exec_lo, exec_lo, s12
	s_lshl_b64 s[10:11], s[10:11], 12
	s_mov_b32 s12, 0
	v_add_co_u32 v6, vcc_lo, v6, s10
	v_add_co_ci_u32_e32 v7, vcc_lo, s11, v7, vcc_lo
	s_mov_b32 s13, s12
	s_mov_b32 s14, s12
	;; [unrolled: 1-line block ×3, first 2 shown]
	v_and_or_b32 v0, 0xffffff1d, v0, 34
	v_mov_b32_e32 v3, v2
	v_readfirstlane_b32 s10, v6
	v_readfirstlane_b32 s11, v7
	v_mov_b32_e32 v10, s12
	v_mov_b32_e32 v11, s13
	;; [unrolled: 1-line block ×4, first 2 shown]
	global_store_dwordx4 v31, v[0:3], s[10:11]
	global_store_dwordx4 v31, v[10:13], s[10:11] offset:16
	global_store_dwordx4 v31, v[10:13], s[10:11] offset:32
	;; [unrolled: 1-line block ×3, first 2 shown]
	s_and_saveexec_b32 s5, s4
	s_cbranch_execz .LBB12_1552
; %bb.1545:
	v_mov_b32_e32 v6, 0
	v_mov_b32_e32 v10, s8
	;; [unrolled: 1-line block ×3, first 2 shown]
	s_clause 0x1
	global_load_dwordx2 v[12:13], v6, s[6:7] offset:32 glc dlc
	global_load_dwordx2 v[0:1], v6, s[6:7] offset:40
	s_waitcnt vmcnt(0)
	v_readfirstlane_b32 s10, v0
	v_readfirstlane_b32 s11, v1
	s_and_b64 s[10:11], s[10:11], s[8:9]
	s_mul_i32 s11, s11, 24
	s_mul_hi_u32 s12, s10, 24
	s_mul_i32 s10, s10, 24
	s_add_i32 s12, s12, s11
	v_add_co_u32 v4, vcc_lo, v4, s10
	v_add_co_ci_u32_e32 v5, vcc_lo, s12, v5, vcc_lo
	s_mov_b32 s10, exec_lo
	global_store_dwordx2 v[4:5], v[12:13], off
	s_waitcnt_vscnt null, 0x0
	global_atomic_cmpswap_x2 v[2:3], v6, v[10:13], s[6:7] offset:32 glc
	s_waitcnt vmcnt(0)
	v_cmpx_ne_u64_e64 v[2:3], v[12:13]
	s_cbranch_execz .LBB12_1548
; %bb.1546:
	s_mov_b32 s11, 0
.LBB12_1547:                            ; =>This Inner Loop Header: Depth=1
	v_mov_b32_e32 v0, s8
	v_mov_b32_e32 v1, s9
	s_sleep 1
	global_store_dwordx2 v[4:5], v[2:3], off
	s_waitcnt_vscnt null, 0x0
	global_atomic_cmpswap_x2 v[0:1], v6, v[0:3], s[6:7] offset:32 glc
	s_waitcnt vmcnt(0)
	v_cmp_eq_u64_e32 vcc_lo, v[0:1], v[2:3]
	v_mov_b32_e32 v3, v1
	v_mov_b32_e32 v2, v0
	s_or_b32 s11, vcc_lo, s11
	s_andn2_b32 exec_lo, exec_lo, s11
	s_cbranch_execnz .LBB12_1547
.LBB12_1548:
	s_or_b32 exec_lo, exec_lo, s10
	v_mov_b32_e32 v3, 0
	s_mov_b32 s11, exec_lo
	s_mov_b32 s10, exec_lo
	v_mbcnt_lo_u32_b32 v2, s11, 0
	global_load_dwordx2 v[0:1], v3, s[6:7] offset:16
	v_cmpx_eq_u32_e32 0, v2
	s_cbranch_execz .LBB12_1550
; %bb.1549:
	s_bcnt1_i32_b32 s11, s11
	v_mov_b32_e32 v2, s11
	s_waitcnt vmcnt(0)
	global_atomic_add_x2 v[0:1], v[2:3], off offset:8
.LBB12_1550:
	s_or_b32 exec_lo, exec_lo, s10
	s_waitcnt vmcnt(0)
	global_load_dwordx2 v[2:3], v[0:1], off offset:16
	s_waitcnt vmcnt(0)
	v_cmp_eq_u64_e32 vcc_lo, 0, v[2:3]
	s_cbranch_vccnz .LBB12_1552
; %bb.1551:
	global_load_dword v0, v[0:1], off offset:24
	v_mov_b32_e32 v1, 0
	s_waitcnt vmcnt(0)
	v_and_b32_e32 v4, 0x7fffff, v0
	s_waitcnt_vscnt null, 0x0
	global_store_dwordx2 v[2:3], v[0:1], off
	v_readfirstlane_b32 m0, v4
	s_sendmsg sendmsg(MSG_INTERRUPT)
.LBB12_1552:
	s_or_b32 exec_lo, exec_lo, s5
	s_branch .LBB12_1556
	.p2align	6
.LBB12_1553:                            ;   in Loop: Header=BB12_1556 Depth=1
	s_or_b32 exec_lo, exec_lo, s5
	v_readfirstlane_b32 s5, v0
	s_cmp_eq_u32 s5, 0
	s_cbranch_scc1 .LBB12_1555
; %bb.1554:                             ;   in Loop: Header=BB12_1556 Depth=1
	s_sleep 1
	s_cbranch_execnz .LBB12_1556
	s_branch .LBB12_1558
.LBB12_1555:
	s_branch .LBB12_1558
.LBB12_1556:                            ; =>This Inner Loop Header: Depth=1
	v_mov_b32_e32 v0, 1
	s_and_saveexec_b32 s5, s4
	s_cbranch_execz .LBB12_1553
; %bb.1557:                             ;   in Loop: Header=BB12_1556 Depth=1
	global_load_dword v0, v[8:9], off offset:20 glc dlc
	s_waitcnt vmcnt(0)
	buffer_gl1_inv
	buffer_gl0_inv
	v_and_b32_e32 v0, 1, v0
	s_branch .LBB12_1553
.LBB12_1558:
	s_and_saveexec_b32 s5, s4
	s_cbranch_execz .LBB12_1562
; %bb.1559:
	v_mov_b32_e32 v6, 0
	s_clause 0x2
	global_load_dwordx2 v[2:3], v6, s[6:7] offset:40
	global_load_dwordx2 v[7:8], v6, s[6:7] offset:24 glc dlc
	global_load_dwordx2 v[4:5], v6, s[6:7]
	s_waitcnt vmcnt(2)
	v_add_co_u32 v9, vcc_lo, v2, 1
	v_add_co_ci_u32_e32 v10, vcc_lo, 0, v3, vcc_lo
	v_add_co_u32 v0, vcc_lo, v9, s8
	v_add_co_ci_u32_e32 v1, vcc_lo, s9, v10, vcc_lo
	v_cmp_eq_u64_e32 vcc_lo, 0, v[0:1]
	v_cndmask_b32_e32 v1, v1, v10, vcc_lo
	v_cndmask_b32_e32 v0, v0, v9, vcc_lo
	v_and_b32_e32 v3, v1, v3
	v_and_b32_e32 v2, v0, v2
	v_mul_lo_u32 v3, v3, 24
	v_mul_hi_u32 v9, v2, 24
	v_mul_lo_u32 v2, v2, 24
	v_add_nc_u32_e32 v3, v9, v3
	s_waitcnt vmcnt(0)
	v_add_co_u32 v4, vcc_lo, v4, v2
	v_mov_b32_e32 v2, v7
	v_add_co_ci_u32_e32 v5, vcc_lo, v5, v3, vcc_lo
	v_mov_b32_e32 v3, v8
	global_store_dwordx2 v[4:5], v[7:8], off
	s_waitcnt_vscnt null, 0x0
	global_atomic_cmpswap_x2 v[2:3], v6, v[0:3], s[6:7] offset:24 glc
	s_waitcnt vmcnt(0)
	v_cmp_ne_u64_e32 vcc_lo, v[2:3], v[7:8]
	s_and_b32 exec_lo, exec_lo, vcc_lo
	s_cbranch_execz .LBB12_1562
; %bb.1560:
	s_mov_b32 s4, 0
.LBB12_1561:                            ; =>This Inner Loop Header: Depth=1
	s_sleep 1
	global_store_dwordx2 v[4:5], v[2:3], off
	s_waitcnt_vscnt null, 0x0
	global_atomic_cmpswap_x2 v[7:8], v6, v[0:3], s[6:7] offset:24 glc
	s_waitcnt vmcnt(0)
	v_cmp_eq_u64_e32 vcc_lo, v[7:8], v[2:3]
	v_mov_b32_e32 v2, v7
	v_mov_b32_e32 v3, v8
	s_or_b32 s4, vcc_lo, s4
	s_andn2_b32 exec_lo, exec_lo, s4
	s_cbranch_execnz .LBB12_1561
.LBB12_1562:
	s_or_b32 exec_lo, exec_lo, s5
.LBB12_1563:
	s_add_u32 s38, s50, 16
	s_addc_u32 s39, s51, 0
	s_getpc_b64 s[4:5]
	s_add_u32 s4, s4, .str@rel32@lo+4
	s_addc_u32 s5, s5, .str@rel32@hi+12
	s_waitcnt vmcnt(0)
	v_mov_b32_e32 v0, s4
	v_mov_b32_e32 v1, s5
	s_mov_b64 s[8:9], s[38:39]
	s_mov_b64 s[22:23], src_shared_base
	s_getpc_b64 s[42:43]
	s_add_u32 s42, s42, _ZNK8migraphx13basic_printerIZNS_4coutEvEUlT_E_ElsEPKc@rel32@lo+4
	s_addc_u32 s43, s43, _ZNK8migraphx13basic_printerIZNS_4coutEvEUlT_E_ElsEPKc@rel32@hi+12
	s_swappc_b64 s[30:31], s[42:43]
	s_getpc_b64 s[4:5]
	s_add_u32 s4, s4, .str.3@rel32@lo+4
	s_addc_u32 s5, s5, .str.3@rel32@hi+12
	v_mov_b32_e32 v0, s4
	v_mov_b32_e32 v1, s5
	s_mov_b64 s[8:9], s[38:39]
	s_swappc_b64 s[30:31], s[42:43]
	v_mov_b32_e32 v0, v36
	v_mov_b32_e32 v1, s23
	s_mov_b64 s[8:9], s[38:39]
	s_getpc_b64 s[4:5]
	s_add_u32 s4, s4, _ZN8migraphx4testlsIKNS_13basic_printerIZNS_4coutEvEUlT_E_EEEERS3_S7_RKNS0_10expressionINS0_14lhs_expressionIRNS_5arrayIiLj6EEENS0_3nopEEESC_NS0_5equalEEE@rel32@lo+4
	s_addc_u32 s5, s5, _ZN8migraphx4testlsIKNS_13basic_printerIZNS_4coutEvEUlT_E_EEEERS3_S7_RKNS0_10expressionINS0_14lhs_expressionIRNS_5arrayIiLj6EEENS0_3nopEEESC_NS0_5equalEEE@rel32@hi+12
	s_swappc_b64 s[30:31], s[4:5]
	s_getpc_b64 s[4:5]
	s_add_u32 s4, s4, .str.4@rel32@lo+4
	s_addc_u32 s5, s5, .str.4@rel32@hi+12
	v_mov_b32_e32 v0, s4
	v_mov_b32_e32 v1, s5
	s_mov_b64 s[8:9], s[38:39]
	s_swappc_b64 s[30:31], s[42:43]
	v_mov_b32_e32 v0, 10
	s_mov_b64 s[8:9], s[38:39]
	s_getpc_b64 s[4:5]
	s_add_u32 s4, s4, _ZNK8migraphx13basic_printerIZNS_4coutEvEUlT_E_ElsEc@rel32@lo+4
	s_addc_u32 s5, s5, _ZNK8migraphx13basic_printerIZNS_4coutEvEUlT_E_ElsEc@rel32@hi+12
	s_swappc_b64 s[30:31], s[4:5]
	s_clause 0x1
	buffer_load_dword v0, off, s[0:3], 0 offset:48
	buffer_load_dword v1, off, s[0:3], 0 offset:52
	s_waitcnt vmcnt(0)
	flat_load_dword v2, v[0:1]
	s_waitcnt vmcnt(0) lgkmcnt(0)
	v_add_nc_u32_e32 v2, 1, v2
	flat_store_dword v[0:1], v2
.LBB12_1564:
	s_or_b32 exec_lo, exec_lo, s41
	s_add_u32 s8, s50, 16
	s_addc_u32 s9, s51, 0
	s_mov_b32 s12, s56
	s_mov_b32 s13, s55
	;; [unrolled: 1-line block ×3, first 2 shown]
	s_getpc_b64 s[4:5]
	s_add_u32 s4, s4, _ZN8migraphx4test4failEv@rel32@lo+4
	s_addc_u32 s5, s5, _ZN8migraphx4test4failEv@rel32@hi+12
	s_swappc_b64 s[30:31], s[4:5]
	; divergent unreachable
.LBB12_1565:
	s_andn2_saveexec_b32 s4, s40
; %bb.1566:
	s_mov_b32 s37, exec_lo
; %bb.1567:
	s_or_b32 exec_lo, exec_lo, s4
	s_and_saveexec_b32 s4, s37
	s_endpgm
	.section	.rodata,"a",@progbits
	.p2align	6, 0x0
	.amdhsa_kernel gpu_test_kernel
		.amdhsa_group_segment_fixed_size 40960
		.amdhsa_private_segment_fixed_size 208
		.amdhsa_kernarg_size 272
		.amdhsa_user_sgpr_count 10
		.amdhsa_user_sgpr_private_segment_buffer 1
		.amdhsa_user_sgpr_dispatch_ptr 1
		.amdhsa_user_sgpr_queue_ptr 0
		.amdhsa_user_sgpr_kernarg_segment_ptr 1
		.amdhsa_user_sgpr_dispatch_id 0
		.amdhsa_user_sgpr_flat_scratch_init 1
		.amdhsa_user_sgpr_private_segment_size 0
		.amdhsa_wavefront_size32 1
		.amdhsa_uses_dynamic_stack 0
		.amdhsa_system_sgpr_private_segment_wavefront_offset 1
		.amdhsa_system_sgpr_workgroup_id_x 1
		.amdhsa_system_sgpr_workgroup_id_y 1
		.amdhsa_system_sgpr_workgroup_id_z 1
		.amdhsa_system_sgpr_workgroup_info 0
		.amdhsa_system_vgpr_workitem_id 2
		.amdhsa_next_free_vgpr 70
		.amdhsa_next_free_sgpr 60
		.amdhsa_reserve_vcc 1
		.amdhsa_reserve_flat_scratch 1
		.amdhsa_float_round_mode_32 0
		.amdhsa_float_round_mode_16_64 0
		.amdhsa_float_denorm_mode_32 3
		.amdhsa_float_denorm_mode_16_64 3
		.amdhsa_dx10_clamp 1
		.amdhsa_ieee_mode 1
		.amdhsa_fp16_overflow 0
		.amdhsa_workgroup_processor_mode 1
		.amdhsa_memory_ordered 1
		.amdhsa_forward_progress 0
		.amdhsa_shared_vgpr_count 0
		.amdhsa_exception_fp_ieee_invalid_op 0
		.amdhsa_exception_fp_denorm_src 0
		.amdhsa_exception_fp_ieee_div_zero 0
		.amdhsa_exception_fp_ieee_overflow 0
		.amdhsa_exception_fp_ieee_underflow 0
		.amdhsa_exception_fp_ieee_inexact 0
		.amdhsa_exception_int_div_zero 0
	.end_amdhsa_kernel
	.text
.Lfunc_end12:
	.size	gpu_test_kernel, .Lfunc_end12-gpu_test_kernel
                                        ; -- End function
	.section	.AMDGPU.csdata,"",@progbits
; Kernel info:
; codeLenInByte = 55968
; NumSgprs: 62
; NumVgprs: 70
; ScratchSize: 208
; MemoryBound: 0
; FloatMode: 240
; IeeeMode: 1
; LDSByteSize: 40960 bytes/workgroup (compile time only)
; SGPRBlocks: 7
; VGPRBlocks: 8
; NumSGPRsForWavesPerEU: 62
; NumVGPRsForWavesPerEU: 70
; Occupancy: 12
; WaveLimiterHint : 1
; COMPUTE_PGM_RSRC2:SCRATCH_EN: 1
; COMPUTE_PGM_RSRC2:USER_SGPR: 10
; COMPUTE_PGM_RSRC2:TRAP_HANDLER: 0
; COMPUTE_PGM_RSRC2:TGID_X_EN: 1
; COMPUTE_PGM_RSRC2:TGID_Y_EN: 1
; COMPUTE_PGM_RSRC2:TGID_Z_EN: 1
; COMPUTE_PGM_RSRC2:TIDIG_COMP_CNT: 2
	.text
	.p2alignl 6, 3214868480
	.fill 48, 4, 3214868480
	.type	.str,@object                    ; @.str
	.section	.rodata.str1.1,"aMS",@progbits,1
.str:
	.asciz	"result == expected"
	.size	.str, 19

	.type	__PRETTY_FUNCTION__._ZL23merge_first_all_smallerRN8migraphx4test12test_managerE,@object ; @__PRETTY_FUNCTION__._ZL23merge_first_all_smallerRN8migraphx4test12test_managerE
__PRETTY_FUNCTION__._ZL23merge_first_all_smallerRN8migraphx4test12test_managerE:
	.asciz	"void merge_first_all_smaller(migraphx::test::test_manager &)"
	.size	__PRETTY_FUNCTION__._ZL23merge_first_all_smallerRN8migraphx4test12test_managerE, 61

	.type	.str.1,@object                  ; @.str.1
.str.1:
	.asciz	"/root/src/amdgpu-assembly/repos/ROCm__AMDMIGraphX/_shim/test_algorithm_24_shim.cpp"
	.size	.str.1, 83

	.type	.str.2,@object                  ; @.str.2
.str.2:
	.asciz	"    FAILED: "
	.size	.str.2, 13

	.type	.str.3,@object                  ; @.str.3
.str.3:
	.asciz	" [ "
	.size	.str.3, 4

	.type	.str.4,@object                  ; @.str.4
.str.4:
	.asciz	" ]"
	.size	.str.4, 3

	.type	.str.5,@object                  ; @.str.5
.str.5:
	.asciz	"%s"
	.size	.str.5, 3

	.type	.str.6,@object                  ; @.str.6
.str.6:
	.asciz	"%c"
	.size	.str.6, 3

	.type	.str.7,@object                  ; @.str.7
.str.7:
	.asciz	"%li"
	.size	.str.7, 4

	.type	.str.8,@object                  ; @.str.8
.str.8:
	.asciz	" "
	.size	.str.8, 2

	.type	.str.10,@object                 ; @.str.10
.str.10:
	.asciz	"=="
	.size	.str.10, 3

	.type	.str.11,@object                 ; @.str.11
.str.11:
	.asciz	", "
	.size	.str.11, 3

	.type	__PRETTY_FUNCTION__._ZL22merge_first_all_largerRN8migraphx4test12test_managerE,@object ; @__PRETTY_FUNCTION__._ZL22merge_first_all_largerRN8migraphx4test12test_managerE
__PRETTY_FUNCTION__._ZL22merge_first_all_largerRN8migraphx4test12test_managerE:
	.asciz	"void merge_first_all_larger(migraphx::test::test_manager &)"
	.size	__PRETTY_FUNCTION__._ZL22merge_first_all_largerRN8migraphx4test12test_managerE, 60

	.type	__PRETTY_FUNCTION__._ZL17merge_interleavedRN8migraphx4test12test_managerE,@object ; @__PRETTY_FUNCTION__._ZL17merge_interleavedRN8migraphx4test12test_managerE
__PRETTY_FUNCTION__._ZL17merge_interleavedRN8migraphx4test12test_managerE:
	.asciz	"void merge_interleaved(migraphx::test::test_manager &)"
	.size	__PRETTY_FUNCTION__._ZL17merge_interleavedRN8migraphx4test12test_managerE, 55

	.type	__PRETTY_FUNCTION__._ZL21merge_many_duplicatesRN8migraphx4test12test_managerE,@object ; @__PRETTY_FUNCTION__._ZL21merge_many_duplicatesRN8migraphx4test12test_managerE
__PRETTY_FUNCTION__._ZL21merge_many_duplicatesRN8migraphx4test12test_managerE:
	.asciz	"void merge_many_duplicates(migraphx::test::test_manager &)"
	.size	__PRETTY_FUNCTION__._ZL21merge_many_duplicatesRN8migraphx4test12test_managerE, 59

	.type	__PRETTY_FUNCTION__._ZL24merge_all_equal_elementsRN8migraphx4test12test_managerE,@object ; @__PRETTY_FUNCTION__._ZL24merge_all_equal_elementsRN8migraphx4test12test_managerE
__PRETTY_FUNCTION__._ZL24merge_all_equal_elementsRN8migraphx4test12test_managerE:
	.asciz	"void merge_all_equal_elements(migraphx::test::test_manager &)"
	.size	__PRETTY_FUNCTION__._ZL24merge_all_equal_elementsRN8migraphx4test12test_managerE, 62

	.type	__PRETTY_FUNCTION__._ZL21merge_single_elementsRN8migraphx4test12test_managerE,@object ; @__PRETTY_FUNCTION__._ZL21merge_single_elementsRN8migraphx4test12test_managerE
__PRETTY_FUNCTION__._ZL21merge_single_elementsRN8migraphx4test12test_managerE:
	.asciz	"void merge_single_elements(migraphx::test::test_manager &)"
	.size	__PRETTY_FUNCTION__._ZL21merge_single_elementsRN8migraphx4test12test_managerE, 59

	.type	__hip_cuid_c2839ae89c0f4541,@object ; @__hip_cuid_c2839ae89c0f4541
	.section	.bss,"aw",@nobits
	.globl	__hip_cuid_c2839ae89c0f4541
__hip_cuid_c2839ae89c0f4541:
	.byte	0                               ; 0x0
	.size	__hip_cuid_c2839ae89c0f4541, 1

	.ident	"AMD clang version 19.0.0git (https://github.com/RadeonOpenCompute/llvm-project roc-6.4.0 25133 c7fe45cf4b819c5991fe208aaa96edf142730f1d)"
	.section	".note.GNU-stack","",@progbits
	.addrsig
	.addrsig_sym __hip_cuid_c2839ae89c0f4541
	.amdgpu_metadata
---
amdhsa.kernels:
  - .args:
      - .offset:         0
        .size:           4
        .value_kind:     by_value
      - .address_space:  global
        .offset:         8
        .size:           8
        .value_kind:     global_buffer
      - .offset:         16
        .size:           4
        .value_kind:     hidden_block_count_x
      - .offset:         20
        .size:           4
        .value_kind:     hidden_block_count_y
      - .offset:         24
        .size:           4
        .value_kind:     hidden_block_count_z
      - .offset:         28
        .size:           2
        .value_kind:     hidden_group_size_x
      - .offset:         30
        .size:           2
        .value_kind:     hidden_group_size_y
      - .offset:         32
        .size:           2
        .value_kind:     hidden_group_size_z
      - .offset:         34
        .size:           2
        .value_kind:     hidden_remainder_x
      - .offset:         36
        .size:           2
        .value_kind:     hidden_remainder_y
      - .offset:         38
        .size:           2
        .value_kind:     hidden_remainder_z
      - .offset:         56
        .size:           8
        .value_kind:     hidden_global_offset_x
      - .offset:         64
        .size:           8
        .value_kind:     hidden_global_offset_y
      - .offset:         72
        .size:           8
        .value_kind:     hidden_global_offset_z
      - .offset:         80
        .size:           2
        .value_kind:     hidden_grid_dims
      - .offset:         96
        .size:           8
        .value_kind:     hidden_hostcall_buffer
    .group_segment_fixed_size: 40960
    .kernarg_segment_align: 8
    .kernarg_segment_size: 272
    .language:       OpenCL C
    .language_version:
      - 2
      - 0
    .max_flat_workgroup_size: 1024
    .name:           gpu_test_kernel
    .private_segment_fixed_size: 208
    .sgpr_count:     62
    .sgpr_spill_count: 0
    .symbol:         gpu_test_kernel.kd
    .uniform_work_group_size: 1
    .uses_dynamic_stack: false
    .vgpr_count:     70
    .vgpr_spill_count: 0
    .wavefront_size: 32
    .workgroup_processor_mode: 1
amdhsa.target:   amdgcn-amd-amdhsa--gfx1030
amdhsa.version:
  - 1
  - 2
...

	.end_amdgpu_metadata
